;; amdgpu-corpus repo=ggml-org/llama.cpp kind=compiled arch=gfx942 opt=O3
	.text
	.amdgcn_target "amdgcn-amd-amdhsa--gfx942"
	.amdhsa_code_object_version 6
	.section	.text._ZL18flash_attn_ext_f16ILi64ELi64ELi32ELi1ELb0ELb0EEvPKcS1_S1_S1_S1_PKiPfP15HIP_vector_typeIfLj2EEffffjfiS5_IjLj3EEiiiiiiiiiiiliiliiiiil,"axG",@progbits,_ZL18flash_attn_ext_f16ILi64ELi64ELi32ELi1ELb0ELb0EEvPKcS1_S1_S1_S1_PKiPfP15HIP_vector_typeIfLj2EEffffjfiS5_IjLj3EEiiiiiiiiiiiliiliiiiil,comdat
	.globl	_ZL18flash_attn_ext_f16ILi64ELi64ELi32ELi1ELb0ELb0EEvPKcS1_S1_S1_S1_PKiPfP15HIP_vector_typeIfLj2EEffffjfiS5_IjLj3EEiiiiiiiiiiiliiliiiiil ; -- Begin function _ZL18flash_attn_ext_f16ILi64ELi64ELi32ELi1ELb0ELb0EEvPKcS1_S1_S1_S1_PKiPfP15HIP_vector_typeIfLj2EEffffjfiS5_IjLj3EEiiiiiiiiiiiliiliiiiil
	.p2align	8
	.type	_ZL18flash_attn_ext_f16ILi64ELi64ELi32ELi1ELb0ELb0EEvPKcS1_S1_S1_S1_PKiPfP15HIP_vector_typeIfLj2EEffffjfiS5_IjLj3EEiiiiiiiiiiiliiliiiiil,@function
_ZL18flash_attn_ext_f16ILi64ELi64ELi32ELi1ELb0ELb0EEvPKcS1_S1_S1_S1_PKiPfP15HIP_vector_typeIfLj2EEffffjfiS5_IjLj3EEiiiiiiiiiiiliiliiiiil: ; @_ZL18flash_attn_ext_f16ILi64ELi64ELi32ELi1ELb0ELb0EEvPKcS1_S1_S1_S1_PKiPfP15HIP_vector_typeIfLj2EEffffjfiS5_IjLj3EEiiiiiiiiiiiliiliiiiil
; %bb.0:
	s_load_dwordx2 s[10:11], s[0:1], 0x80
	s_load_dwordx4 s[72:75], s[0:1], 0x64
	s_mov_b32 s52, s2
                                        ; implicit-def: $vgpr191 : SGPR spill to VGPR lane
	s_load_dword s50, s[0:1], 0xd0
	s_mov_b32 s4, 0
	s_waitcnt lgkmcnt(0)
	s_abs_i32 s2, s11
	v_cvt_f32_u32_e32 v1, s2
	s_sub_i32 s6, 0, s2
	s_abs_i32 s5, s73
	s_xor_b32 s3, s73, s11
	v_rcp_iflag_f32_e32 v1, v1
	s_ashr_i32 s3, s3, 31
	v_cvt_f32_u32_e32 v2, s50
	v_cvt_f32_ubyte0_e32 v3, 0
	v_mul_f32_e32 v1, 0x4f7ffffe, v1
	v_cvt_u32_f32_e32 v1, v1
	s_nop 0
	v_readfirstlane_b32 s7, v1
	s_mul_i32 s6, s6, s7
	s_mul_hi_u32 s6, s7, s6
	s_add_i32 s7, s7, s6
	s_mul_hi_u32 s6, s5, s7
	s_mul_i32 s7, s6, s2
	s_sub_i32 s5, s5, s7
	s_add_i32 s8, s6, 1
	s_sub_i32 s7, s5, s2
	s_cmp_ge_u32 s5, s2
	s_cselect_b32 s6, s8, s6
	s_cselect_b32 s5, s7, s5
	s_add_i32 s7, s6, 1
	s_cmp_ge_u32 s5, s2
	s_cselect_b32 s2, s7, s6
	s_add_i32 s5, s10, 63
	s_xor_b32 s2, s2, s3
	s_ashr_i32 s6, s5, 31
	s_sub_i32 s3, s2, s3
	s_lshr_b32 s2, s6, 26
	s_add_i32 s5, s5, s2
	s_add_i32 s2, s72, 31
	s_lshr_b32 s2, s2, 5
	s_ashr_i32 s5, s5, 6
	v_writelane_b32 v191, s2, 0
	v_writelane_b32 v191, s5, 1
	s_mul_i32 s2, s2, s5
	v_writelane_b32 v191, s3, 2
	v_writelane_b32 v191, s2, 3
	s_mul_i32 s3, s2, s3
	s_mov_b32 s2, s10
	v_writelane_b32 v191, s2, 4
	s_nop 1
	v_writelane_b32 v191, s3, 5
	s_mul_i32 s2, s3, s11
	s_mul_i32 s6, s2, s74
	v_writelane_b32 v191, s3, 6
	s_ashr_i32 s7, s6, 31
	v_writelane_b32 v191, s2, 7
	s_mul_i32 s2, s7, s52
	s_mul_hi_u32 s3, s6, s52
	s_add_i32 s5, s3, s2
	s_mul_i32 s8, s6, s52
	s_cmp_lg_u64 s[4:5], 0
	s_cbranch_scc0 .LBB0_2
; %bb.1:
	v_fmamk_f32 v1, v3, 0x4f800000, v2
	v_rcp_f32_e32 v1, v1
	s_sub_u32 s4, 0, s50
	s_subb_u32 s9, 0, 0
	s_mov_b64 s[2:3], 0
	v_mul_f32_e32 v1, 0x5f7ffffc, v1
	v_mul_f32_e32 v4, 0x2f800000, v1
	v_trunc_f32_e32 v4, v4
	v_fmamk_f32 v1, v4, 0xcf800000, v1
	v_cvt_u32_f32_e32 v4, v4
	v_cvt_u32_f32_e32 v1, v1
	v_readfirstlane_b32 s10, v4
	v_readfirstlane_b32 s11, v1
	s_mul_hi_u32 s13, s4, s11
	s_mul_i32 s14, s4, s10
	s_mul_i32 s12, s9, s11
	s_add_i32 s13, s13, s14
	s_add_i32 s13, s13, s12
	s_mul_i32 s15, s4, s11
	s_mul_hi_u32 s12, s11, s13
	s_mul_i32 s14, s11, s13
	s_mul_hi_u32 s11, s11, s15
	s_add_u32 s11, s11, s14
	s_addc_u32 s12, 0, s12
	s_mul_hi_u32 s16, s10, s15
	s_mul_i32 s15, s10, s15
	s_add_u32 s11, s11, s15
	s_mul_hi_u32 s14, s10, s13
	s_addc_u32 s11, s12, s16
	s_addc_u32 s12, s14, 0
	s_mul_i32 s13, s10, s13
	s_add_u32 s11, s11, s13
	s_addc_u32 s12, 0, s12
	v_add_co_u32_e32 v1, vcc, s11, v1
	s_cmp_lg_u64 vcc, 0
	s_addc_u32 s10, s10, s12
	v_readfirstlane_b32 s12, v1
	s_mul_i32 s11, s4, s10
	s_mul_hi_u32 s13, s4, s12
	s_add_i32 s11, s13, s11
	s_mul_i32 s9, s9, s12
	s_add_i32 s11, s11, s9
	s_mul_i32 s4, s4, s12
	s_mul_hi_u32 s13, s10, s4
	s_mul_i32 s14, s10, s4
	s_mul_i32 s16, s12, s11
	s_mul_hi_u32 s4, s12, s4
	s_mul_hi_u32 s15, s12, s11
	s_add_u32 s4, s4, s16
	s_addc_u32 s12, 0, s15
	s_add_u32 s4, s4, s14
	s_mul_hi_u32 s9, s10, s11
	s_addc_u32 s4, s12, s13
	s_addc_u32 s9, s9, 0
	s_mul_i32 s11, s10, s11
	s_add_u32 s4, s4, s11
	s_addc_u32 s9, 0, s9
	v_add_co_u32_e32 v1, vcc, s4, v1
	s_cmp_lg_u64 vcc, 0
	s_addc_u32 s9, s10, s9
	s_ashr_i32 s10, s5, 31
	s_add_u32 s4, s8, s10
	s_mov_b32 s11, s10
	s_addc_u32 s5, s5, s10
	s_xor_b64 s[4:5], s[4:5], s[10:11]
	v_readfirstlane_b32 s14, v1
	s_mul_i32 s13, s4, s9
	s_mul_hi_u32 s15, s4, s14
	s_mul_hi_u32 s12, s4, s9
	s_add_u32 s13, s15, s13
	s_addc_u32 s12, 0, s12
	s_mul_hi_u32 s16, s5, s14
	s_mul_i32 s14, s5, s14
	s_add_u32 s13, s13, s14
	s_mul_hi_u32 s15, s5, s9
	s_addc_u32 s12, s12, s16
	s_addc_u32 s13, s15, 0
	s_mul_i32 s9, s5, s9
	s_add_u32 s9, s12, s9
	s_addc_u32 s12, 0, s13
	s_add_u32 s13, s9, 1
	s_addc_u32 s14, s12, 0
	s_add_u32 s15, s9, 2
	s_mul_i32 s17, s50, s12
	s_mul_hi_u32 s18, s50, s9
	s_addc_u32 s16, s12, 0
	s_add_i32 s18, s18, s17
	s_mul_i32 s17, s50, s9
	v_mov_b32_e32 v1, s17
	v_sub_co_u32_e32 v1, vcc, s4, v1
	s_cmp_lg_u64 vcc, 0
	s_subb_u32 s4, s5, s18
	v_subrev_co_u32_e32 v4, vcc, s50, v1
	s_cmp_lg_u64 vcc, 0
	s_subb_u32 s5, s4, 0
	v_readfirstlane_b32 s17, v4
	s_cmp_ge_u32 s17, s50
	s_cselect_b32 s17, -1, 0
	s_cmp_eq_u32 s5, 0
	s_cselect_b32 s5, s17, -1
	s_cmp_lg_u32 s5, 0
	s_cselect_b32 s5, s16, s14
	v_readfirstlane_b32 s14, v1
	s_cselect_b32 s13, s15, s13
	s_cmp_ge_u32 s14, s50
	s_cselect_b32 s14, -1, 0
	s_cmp_eq_u32 s4, 0
	s_cselect_b32 s4, s14, -1
	s_cmp_lg_u32 s4, 0
	s_cselect_b32 s5, s5, s12
	s_cselect_b32 s4, s13, s9
	s_xor_b64 s[4:5], s[4:5], s[10:11]
	s_sub_u32 s96, s4, s10
	s_branch .LBB0_3
.LBB0_2:
	s_mov_b64 s[2:3], -1
                                        ; implicit-def: $sgpr96_sgpr97
.LBB0_3:
	s_load_dwordx2 s[4:5], s[0:1], 0x74
	v_cvt_f32_u32_e32 v1, s50
	s_andn2_b64 vcc, exec, s[2:3]
	s_waitcnt lgkmcnt(0)
	v_writelane_b32 v191, s4, 8
	s_nop 1
	v_writelane_b32 v191, s5, 9
	s_cbranch_vccnz .LBB0_5
; %bb.4:
	v_rcp_iflag_f32_e32 v4, v1
	s_sub_i32 s2, 0, s50
	v_mul_f32_e32 v4, 0x4f7ffffe, v4
	v_cvt_u32_f32_e32 v4, v4
	s_nop 0
	v_readfirstlane_b32 s3, v4
	s_mul_i32 s2, s2, s3
	s_mul_hi_u32 s2, s3, s2
	s_add_i32 s3, s3, s2
	s_mul_hi_u32 s2, s8, s3
	s_mul_i32 s4, s2, s50
	s_sub_i32 s4, s8, s4
	s_add_i32 s3, s2, 1
	s_sub_i32 s5, s4, s50
	s_cmp_ge_u32 s4, s50
	s_cselect_b32 s2, s3, s2
	s_cselect_b32 s4, s5, s4
	s_add_i32 s3, s2, 1
	s_cmp_ge_u32 s4, s50
	s_cselect_b32 s96, s3, s2
.LBB0_5:
	s_add_i32 s2, s52, 1
	s_mul_i32 s3, s7, s2
	s_mul_hi_u32 s4, s6, s2
	s_add_i32 s5, s4, s3
	s_mov_b32 s4, 0
	s_cmp_lg_u64 s[4:5], 0
	s_mul_i32 s4, s6, s2
	s_cbranch_scc0 .LBB0_238
; %bb.6:
	v_fmamk_f32 v2, v3, 0x4f800000, v2
	v_rcp_f32_e32 v2, v2
	s_sub_u32 s6, 0, s50
	s_subb_u32 s7, 0, 0
	v_mul_f32_e32 v2, 0x5f7ffffc, v2
	v_mul_f32_e32 v3, 0x2f800000, v2
	v_trunc_f32_e32 v3, v3
	v_fmamk_f32 v2, v3, 0xcf800000, v2
	v_cvt_u32_f32_e32 v3, v3
	v_cvt_u32_f32_e32 v2, v2
	v_readfirstlane_b32 s8, v3
	v_readfirstlane_b32 s9, v2
	s_mul_hi_u32 s11, s6, s9
	s_mul_i32 s12, s6, s8
	s_mul_i32 s10, s7, s9
	s_add_i32 s11, s11, s12
	s_add_i32 s11, s11, s10
	s_mul_i32 s13, s6, s9
	s_mul_hi_u32 s10, s9, s11
	s_mul_i32 s12, s9, s11
	s_mul_hi_u32 s9, s9, s13
	s_add_u32 s9, s9, s12
	s_addc_u32 s10, 0, s10
	s_mul_hi_u32 s14, s8, s13
	s_mul_i32 s13, s8, s13
	s_add_u32 s9, s9, s13
	s_mul_hi_u32 s12, s8, s11
	s_addc_u32 s9, s10, s14
	s_addc_u32 s10, s12, 0
	s_mul_i32 s11, s8, s11
	s_add_u32 s9, s9, s11
	s_addc_u32 s10, 0, s10
	v_add_co_u32_e32 v2, vcc, s9, v2
	s_cmp_lg_u64 vcc, 0
	s_addc_u32 s8, s8, s10
	v_readfirstlane_b32 s10, v2
	s_mul_i32 s9, s6, s8
	s_mul_hi_u32 s11, s6, s10
	s_add_i32 s9, s11, s9
	s_mul_i32 s7, s7, s10
	s_add_i32 s9, s9, s7
	s_mul_i32 s6, s6, s10
	s_mul_hi_u32 s11, s8, s6
	s_mul_i32 s12, s8, s6
	s_mul_i32 s14, s10, s9
	s_mul_hi_u32 s6, s10, s6
	s_mul_hi_u32 s13, s10, s9
	s_add_u32 s6, s6, s14
	s_addc_u32 s10, 0, s13
	s_add_u32 s6, s6, s12
	s_mul_hi_u32 s7, s8, s9
	s_addc_u32 s6, s10, s11
	s_addc_u32 s7, s7, 0
	s_mul_i32 s9, s8, s9
	s_add_u32 s6, s6, s9
	s_addc_u32 s7, 0, s7
	v_add_co_u32_e32 v2, vcc, s6, v2
	s_cmp_lg_u64 vcc, 0
	s_addc_u32 s10, s8, s7
	s_ashr_i32 s6, s5, 31
	s_add_u32 s8, s4, s6
	s_mov_b32 s7, s6
	s_addc_u32 s9, s5, s6
	s_xor_b64 s[8:9], s[8:9], s[6:7]
	v_readfirstlane_b32 s12, v2
	s_mul_i32 s11, s8, s10
	s_mul_hi_u32 s13, s8, s12
	s_mul_hi_u32 s5, s8, s10
	s_add_u32 s11, s13, s11
	s_addc_u32 s5, 0, s5
	s_mul_hi_u32 s14, s9, s12
	s_mul_i32 s12, s9, s12
	s_add_u32 s11, s11, s12
	s_mul_hi_u32 s13, s9, s10
	s_addc_u32 s5, s5, s14
	s_addc_u32 s11, s13, 0
	s_mul_i32 s10, s9, s10
	s_add_u32 s5, s5, s10
	s_addc_u32 s10, 0, s11
	s_add_u32 s11, s5, 1
	s_addc_u32 s12, s10, 0
	s_add_u32 s13, s5, 2
	s_mul_i32 s15, s50, s10
	s_mul_hi_u32 s16, s50, s5
	s_addc_u32 s14, s10, 0
	s_add_i32 s16, s16, s15
	s_mul_i32 s15, s50, s5
	v_mov_b32_e32 v2, s15
	v_sub_co_u32_e32 v2, vcc, s8, v2
	s_cmp_lg_u64 vcc, 0
	s_subb_u32 s8, s9, s16
	v_subrev_co_u32_e32 v3, vcc, s50, v2
	s_cmp_lg_u64 vcc, 0
	s_subb_u32 s9, s8, 0
	v_readfirstlane_b32 s15, v3
	s_cmp_ge_u32 s15, s50
	s_cselect_b32 s15, -1, 0
	s_cmp_eq_u32 s9, 0
	s_cselect_b32 s9, s15, -1
	s_cmp_lg_u32 s9, 0
	s_cselect_b32 s9, s14, s12
	v_readfirstlane_b32 s12, v2
	s_cselect_b32 s11, s13, s11
	s_cmp_ge_u32 s12, s50
	s_cselect_b32 s12, -1, 0
	s_cmp_eq_u32 s8, 0
	s_cselect_b32 s8, s12, -1
	s_cmp_lg_u32 s8, 0
	s_cselect_b32 s9, s9, s10
	s_cselect_b32 s8, s11, s5
	s_xor_b64 s[8:9], s[8:9], s[6:7]
	s_sub_u32 s6, s8, s6
	v_writelane_b32 v191, s6, 10
	s_nop 1
	v_writelane_b32 v191, s7, 11
	s_load_dwordx2 s[86:87], s[0:1], 0x5c
	s_cbranch_execnz .LBB0_8
.LBB0_7:
	v_rcp_iflag_f32_e32 v1, v1
	s_sub_i32 s2, 0, s50
	v_mul_f32_e32 v1, 0x4f7ffffe, v1
	v_cvt_u32_f32_e32 v1, v1
	s_nop 0
	v_readfirstlane_b32 s3, v1
	s_mul_i32 s2, s2, s3
	s_mul_hi_u32 s2, s3, s2
	s_add_i32 s3, s3, s2
	s_mul_hi_u32 s2, s4, s3
	s_mul_i32 s5, s2, s50
	s_sub_i32 s4, s4, s5
	s_add_i32 s3, s2, 1
	s_sub_i32 s5, s4, s50
	s_cmp_ge_u32 s4, s50
	s_cselect_b32 s2, s3, s2
	s_cselect_b32 s4, s5, s4
	s_add_i32 s3, s2, 1
	s_cmp_ge_u32 s4, s50
	s_cselect_b32 s2, s3, s2
	v_writelane_b32 v191, s2, 10
	s_nop 1
	v_writelane_b32 v191, s3, 11
.LBB0_8:
	s_load_dwordx16 s[56:71], s[0:1], 0x0
	s_load_dwordx4 s[16:19], s[0:1], 0x40
	s_load_dword s2, s[0:1], 0x50
	s_ashr_i32 s95, s75, 3
	v_bfe_u32 v80, v0, 10, 10
	v_lshlrev_b32_e32 v82, 3, v80
	v_lshlrev_b32_e32 v81, 4, v80
	s_waitcnt lgkmcnt(0)
	v_writelane_b32 v191, s2, 12
	s_load_dwordx2 s[2:3], s[0:1], 0x8c
	s_load_dwordx4 s[4:7], s[0:1], 0x98
	s_load_dwordx2 s[8:9], s[0:1], 0xa8
	s_load_dwordx2 s[14:15], s[0:1], 0xb8
	s_nop 0
	s_load_dwordx2 s[0:1], s[0:1], 0xc8
	v_and_b32_e32 v83, 1, v80
	s_waitcnt lgkmcnt(0)
	s_ashr_i32 s74, s2, 2
	s_ashr_i32 s54, s6, 2
	v_writelane_b32 v191, s8, 13
	s_ashr_i32 s88, s15, 1
	v_mbcnt_lo_u32_b32 v84, -1, 0
	v_writelane_b32 v191, s9, 14
	v_writelane_b32 v191, s0, 15
	s_nop 1
	v_writelane_b32 v191, s1, 16
	s_mov_b32 s1, s3
	v_readlane_b32 s8, v191, 1
	s_abs_i32 s97, s8
	v_cvt_f32_u32_e32 v1, s97
	v_writelane_b32 v191, s0, 17
	s_mov_b32 s3, s7
	v_rcp_iflag_f32_e32 v1, v1
	v_writelane_b32 v191, s1, 18
	s_mov_b64 s[0:1], s[4:5]
	v_writelane_b32 v191, s0, 19
	v_mul_f32_e32 v1, 0x4f7ffffe, v1
	v_cvt_u32_f32_e32 v1, v1
	v_writelane_b32 v191, s1, 20
	v_writelane_b32 v191, s2, 21
	;; [unrolled: 1-line block ×3, first 2 shown]
	s_sub_i32 s2, 0, s97
	v_readfirstlane_b32 s4, v1
	s_mul_i32 s2, s2, s4
	s_ashr_i32 s1, s8, 31
	s_mul_hi_u32 s2, s4, s2
	v_writelane_b32 v191, s1, 23
	s_abs_i32 s1, s96
	s_add_i32 s41, s4, s2
	s_mul_hi_u32 s2, s1, s41
	s_mul_i32 s2, s2, s97
	s_sub_i32 s1, s1, s2
	s_ashr_i32 s0, s96, 31
	s_sub_i32 s2, s1, s97
	s_cmp_ge_u32 s1, s97
	s_cselect_b32 s1, s2, s1
	s_sub_i32 s2, s1, s97
	s_cmp_ge_u32 s1, s97
	s_cselect_b32 s1, s2, s1
	s_xor_b32 s1, s1, s0
	s_sub_i32 s40, s1, s0
	v_readlane_b32 s0, v191, 10
	s_mov_b32 s4, s0
	s_sub_i32 s0, s0, s96
	s_add_i32 s2, s0, s40
	s_min_i32 s92, s8, s2
	s_cmp_gt_i32 s4, s96
	v_readlane_b32 s1, v191, 11
	s_cselect_b64 s[24:25], -1, 0
	s_cmp_le_i32 s4, s96
	v_cvt_f16_f32_e32 v1, s16
	s_cselect_b64 s[0:1], -1, 0
	s_cmp_gt_i32 s8, s2
	s_cselect_b64 s[4:5], -1, 0
	s_or_b64 s[0:1], s[4:5], s[0:1]
	s_mov_b32 s3, 0
	s_and_b64 vcc, exec, s[0:1]
	v_pack_b32_f16 v23, v1, v1
	s_cbranch_vccz .LBB0_11
; %bb.9:
	s_andn2_b64 vcc, exec, s[24:25]
	s_cbranch_vccz .LBB0_204
.LBB0_10:
	s_endpgm
.LBB0_11:
	s_cmp_lg_u64 s[62:63], 0
	v_and_b32_e32 v22, 0x3ff, v0
	v_writelane_b32 v191, s50, 24
	s_cselect_b64 s[0:1], -1, 0
	v_lshrrev_b32_e32 v5, 3, v22
	v_writelane_b32 v191, s0, 25
	v_and_b32_e32 v3, 15, v22
	v_and_b32_e32 v6, 30, v5
	v_writelane_b32 v191, s1, 26
	s_mul_i32 s0, s72, s73
	s_cmp_eq_u64 s[64:65], 0
	v_mul_u32_u24_e32 v4, 0x90, v3
	v_lshlrev_b32_e32 v7, 2, v6
	v_add_u32_e32 v87, v82, v5
	v_lshlrev_b32_e32 v5, 2, v22
	v_writelane_b32 v191, s0, 27
	s_cselect_b64 s[0:1], -1, 0
	v_add3_u32 v33, 0, v4, v7
	v_mul_u32_u24_e32 v4, 0x90, v80
	v_lshlrev_b32_e32 v24, 1, v22
	v_and_b32_e32 v26, 28, v5
	v_writelane_b32 v191, s0, 28
	v_add3_u32 v86, 0, v4, v24
	v_mul_u32_u24_e32 v4, 0x90, v87
	v_lshlrev_b32_e32 v5, 2, v26
	v_writelane_b32 v191, s1, 29
	s_mov_b64 s[6:7], s[18:19]
	s_mov_b32 s5, s17
	v_add3_u32 v88, 0, v4, v5
	v_lshrrev_b32_e32 v5, 2, v22
	v_writelane_b32 v191, s4, 30
	v_and_b32_e32 v2, 0x7f0, v82
	s_movk_i32 s2, 0x90
	v_and_b32_e32 v4, 16, v81
	v_and_b32_e32 v7, 60, v5
	v_writelane_b32 v191, s5, 31
	v_mad_u32_u24 v85, v2, s2, v33
	v_mul_u32_u24_e32 v89, 0x90, v4
	v_add_u32_e32 v90, v4, v7
	v_or_b32_e32 v2, v2, v3
	v_add_u16_e32 v4, v4, v7
	v_writelane_b32 v191, s6, 32
	v_mad_u32_u24 v2, v2, s2, 0
	v_lshrrev_b16_e32 v4, 1, v4
	v_writelane_b32 v191, s7, 33
	v_lshl_add_u32 v91, v4, 2, v2
	v_and_b32_e32 v4, 8, v82
	v_mul_u32_u24_e32 v8, 0x48, v7
	s_movk_i32 s7, 0x120
	v_cmp_nle_f32_e64 s[0:1], s17, 0
	v_or_b32_e32 v8, v8, v3
	v_mul_u32_u24_e32 v9, 0x90, v7
	v_or_b32_e32 v5, 3, v5
	v_mul_u32_u24_e32 v10, 0x120, v4
	v_mad_u32_u24 v11, v4, s7, 0
	v_lshlrev_b32_e32 v12, 1, v3
	v_writelane_b32 v191, s0, 34
	s_cmp_lg_u64 s[66:67], 0
	v_mul_u32_u24_e32 v5, 0x90, v5
	v_lshlrev_b32_e32 v8, 1, v8
	v_add3_u32 v95, v11, v9, v12
	v_add3_u32 v9, 0, 32, v10
	v_writelane_b32 v191, s1, 35
	s_cselect_b64 s[0:1], -1, 0
	v_add_u32_e32 v94, v11, v8
	v_add3_u32 v96, v11, v5, v12
	v_add_u32_e32 v97, v9, v8
	v_mad_u32_u24 v11, v7, s2, v9
	v_add3_u32 v99, v9, v5, v12
	v_add3_u32 v9, 0, 64, v10
	s_add_i32 s8, 0, 0x60
	v_add_u32_e32 v100, v9, v8
	v_mad_u32_u24 v10, v7, s2, v9
	v_add3_u32 v102, v9, v5, v12
	v_mov_b32_e32 v9, s8
	v_lshrrev_b32_e32 v1, 5, v22
	v_mad_u32_u24 v4, v4, s7, v9
	v_writelane_b32 v191, s0, 36
	s_movk_i32 s6, 0x1200
	v_mad_u32_u24 v7, v7, s2, v4
	s_lshl_b32 s2, s52, 5
	v_add_u32_e32 v106, v1, v80
	v_writelane_b32 v191, s1, 37
	v_lshl_add_u32 v27, v80, 1, v1
	v_add3_u32 v98, v11, v12, s6
	v_add3_u32 v101, v10, v12, s6
	v_add_u32_e32 v103, v4, v8
	v_add3_u32 v104, v7, v12, s6
	v_add3_u32 v105, v4, v5, v12
	s_lshl_b64 s[6:7], s[2:3], 3
	v_or_b32_e32 v3, v81, v3
	v_lshlrev_b32_e32 v1, 1, v106
	v_and_b32_e32 v4, 15, v106
	s_movk_i32 s2, 0x3e0
	v_add_u32_e32 v107, 4, v106
	s_ashr_i32 s89, s88, 31
	s_ashr_i32 s75, s74, 31
	;; [unrolled: 1-line block ×3, first 2 shown]
	v_writelane_b32 v191, s52, 38
	v_mad_u32_u24 v3, v3, 36, v6
	v_and_or_b32 v1, v1, s2, v4
	v_lshlrev_b32_e32 v5, 1, v107
	v_and_b32_e32 v6, 15, v107
	s_movk_i32 s2, 0x7e0
	v_add_u32_e32 v108, 8, v106
	s_add_u32 s16, s70, s6
	v_and_or_b32 v6, v5, s2, v6
	v_lshlrev_b32_e32 v5, 1, v108
	v_and_b32_e32 v7, 15, v108
	v_add_u32_e32 v109, 12, v106
	v_readlane_b32 s22, v191, 6
	s_addc_u32 s17, s71, s7
	v_and_or_b32 v7, v5, s2, v7
	v_lshlrev_b32_e32 v5, 1, v109
	v_and_b32_e32 v8, 15, v109
	v_add_u32_e32 v110, 16, v106
	s_abs_i32 s25, s22
	v_and_or_b32 v8, v5, s2, v8
	v_lshlrev_b32_e32 v5, 1, v110
	v_add_u32_e32 v111, 20, v106
	v_cvt_f32_u32_e32 v12, s25
	v_and_or_b32 v9, v5, s2, v4
	v_lshlrev_b32_e32 v4, 1, v111
	v_and_b32_e32 v5, 15, v111
	v_add_u32_e32 v112, 24, v106
	v_and_or_b32 v10, v4, s2, v5
	v_lshlrev_b32_e32 v4, 1, v112
	v_and_b32_e32 v5, 15, v112
	v_add_u32_e32 v113, 28, v106
	v_and_or_b32 v11, v4, s2, v5
	v_lshlrev_b32_e32 v4, 1, v113
	v_and_b32_e32 v13, 15, v113
	v_and_or_b32 v13, v4, s2, v13
	v_rcp_iflag_f32_e32 v4, v12
	v_readlane_b32 s21, v191, 3
	v_add_u32_e32 v92, 32, v90
	v_add_u32_e32 v114, 34, v90
	v_mul_f32_e32 v4, 0x4f7ffffe, v4
	v_cvt_u32_f32_e32 v4, v4
	s_abs_i32 s26, s21
	s_abs_i32 s20, s14
	v_lshl_add_u32 v93, v92, 1, v2
	v_lshl_add_u32 v115, v114, 1, v2
	v_readfirstlane_b32 s18, v4
	v_cvt_f32_u32_e32 v2, s26
	v_cvt_f32_u32_e32 v4, s20
	v_readlane_b32 s23, v191, 7
	s_abs_i32 s24, s23
	v_rcp_iflag_f32_e32 v2, v2
	v_rcp_iflag_f32_e32 v4, v4
	v_cvt_f32_u32_e32 v5, s24
	s_mov_b32 s8, s14
	v_mul_f32_e32 v2, 0x4f7ffffe, v2
	v_mul_f32_e32 v4, 0x4f7ffffe, v4
	v_rcp_iflag_f32_e32 v5, v5
	v_cvt_u32_f32_e32 v2, v2
	v_cvt_u32_f32_e32 v4, v4
	v_writelane_b32 v191, s8, 39
	v_mul_f32_e32 v5, 0x4f7ffffe, v5
	v_readfirstlane_b32 s19, v2
	v_writelane_b32 v191, s9, 40
	v_writelane_b32 v191, s20, 41
	s_sub_i32 s20, 0, s20
	v_mul_lo_u32 v2, s20, v4
	v_cvt_u32_f32_e32 v5, v5
	v_mul_hi_u32 v2, v4, v2
	v_add_u32_e32 v116, v4, v2
	v_and_b32_e32 v32, 31, v22
	v_add_u32_e32 v2, v81, v22
	v_add_u32_e32 v4, v81, v32
	v_mul_u32_u24_e32 v117, 0x90, v2
	v_or_b32_e32 v2, v82, v22
	v_mul_u32_u24_e32 v118, 0x90, v4
	v_lshlrev_b32_e32 v4, 3, v2
	v_mov_b32_e32 v2, 0
	v_readfirstlane_b32 s2, v5
	v_mov_b32_e32 v5, v2
	v_lshl_add_u64 v[38:39], s[16:17], 0, v[4:5]
	s_lshl_b32 s16, s73, 5
	v_writelane_b32 v191, s16, 42
	s_ashr_i32 s16, s23, 31
	v_writelane_b32 v191, s16, 43
	s_sub_i32 s16, 0, s24
	s_mul_i32 s16, s16, s2
	s_mul_hi_u32 s16, s2, s16
	v_writelane_b32 v191, s24, 44
	s_add_i32 s2, s2, s16
	v_writelane_b32 v191, s2, 45
	s_ashr_i32 s2, s22, 31
	v_writelane_b32 v191, s2, 46
	s_sub_i32 s2, 0, s25
	s_mul_i32 s2, s2, s18
	s_mul_hi_u32 s2, s18, s2
	v_writelane_b32 v191, s25, 47
	s_add_i32 s2, s18, s2
	;; [unrolled: 8-line block ×3, first 2 shown]
	v_writelane_b32 v191, s2, 51
	v_cmp_eq_u32_e64 s[24:25], 0, v83
	v_mul_u32_u24_e32 v121, 0x90, v1
	v_mad_u32_u24 v1, v1, 36, v32
	v_writelane_b32 v191, s24, 52
	v_lshl_add_u32 v122, v1, 2, 0
	v_mad_u32_u24 v1, v6, 36, v32
	v_writelane_b32 v191, s25, 53
	v_cmp_eq_u32_e64 s[24:25], 1, v83
	v_lshl_add_u32 v124, v1, 2, 0
	v_mad_u32_u24 v1, v7, 36, v32
	v_writelane_b32 v191, s24, 54
	v_lshl_add_u32 v126, v1, 2, 0
	v_mad_u32_u24 v1, v8, 36, v32
	v_writelane_b32 v191, s25, 55
	v_cmp_gt_u32_e64 s[24:25], 16, v22
	v_lshl_add_u32 v128, v1, 2, 0
	v_mad_u32_u24 v1, v9, 36, v32
	v_writelane_b32 v191, s24, 56
	v_lshl_add_u32 v130, v1, 2, 0
	v_mad_u32_u24 v1, v10, 36, v32
	v_writelane_b32 v191, s25, 57
	v_cmp_gt_u32_e64 s[24:25], 32, v22
	v_mul_lo_u32 v28, s74, v87
	v_mul_lo_u32 v34, s54, v87
	v_lshl_add_u32 v132, v1, 2, 0
	v_mad_u32_u24 v1, v11, 36, v32
	v_writelane_b32 v191, s24, 58
	v_lshl_add_u32 v30, s74, 5, v28
	v_lshl_add_u32 v36, s54, 5, v34
	;; [unrolled: 1-line block ×3, first 2 shown]
	v_mad_u32_u24 v1, v13, 36, v32
	v_writelane_b32 v191, s25, 59
	s_lshl_b64 s[24:25], s[88:89], 1
	s_mov_b64 s[90:91], src_private_base
	v_ashrrev_i32_e32 v29, 31, v28
	v_ashrrev_i32_e32 v31, 31, v30
	;; [unrolled: 1-line block ×4, first 2 shown]
	v_lshl_add_u32 v119, v3, 2, 0
	v_mad_u32_u24 v3, v27, 36, v32
	v_lshl_add_u32 v136, v1, 2, 0
	v_and_b32_e32 v1, 7, v22
	v_writelane_b32 v191, s24, 60
	v_cmp_lt_u32_e64 s[0:1], 63, v22
	s_mov_b32 s90, 0
	v_cmp_gt_u32_e64 s[50:51], 64, v87
	v_cmp_gt_u32_e64 s[4:5], 32, v87
	;; [unrolled: 1-line block ×7, first 2 shown]
	v_lshl_add_u32 v120, v3, 2, 0
	v_mul_u32_u24_e32 v123, 0x90, v6
	v_mul_u32_u24_e32 v125, 0x90, v7
	;; [unrolled: 1-line block ×7, first 2 shown]
	v_lshlrev_b32_e32 v40, 4, v1
	v_mov_b32_e32 v41, v2
	v_mov_b32_e32 v25, v2
	s_mov_b32 s73, 0x42b17218
	s_mov_b32 s93, 0x3fb8aa3b
	;; [unrolled: 1-line block ×5, first 2 shown]
	v_add_u32_e32 v137, 4, v80
	v_add_u32_e32 v138, 0x240, v86
	;; [unrolled: 1-line block ×23, first 2 shown]
	v_or_b32_e32 v160, 1, v90
	v_or_b32_e32 v161, 2, v90
	v_or_b32_e32 v162, 3, v90
	v_add_u32_e32 v163, 33, v90
	v_add_u32_e32 v164, 35, v90
	;; [unrolled: 1-line block ×5, first 2 shown]
	v_mov_b32_e32 v168, 0x3e91f4c4
	v_mov_b32_e32 v169, 0x37000000
	;; [unrolled: 1-line block ×4, first 2 shown]
	v_mbcnt_hi_u32_b32 v172, -1, v84
	v_lshl_add_u64 v[42:43], v[34:35], 2, s[60:61]
	v_lshl_add_u64 v[44:45], v[36:37], 2, s[60:61]
	;; [unrolled: 1-line block ×4, first 2 shown]
	v_cmp_gt_u32_e64 s[16:17], 31, v90
	v_cmp_gt_u32_e64 s[18:19], 30, v90
	;; [unrolled: 1-line block ×3, first 2 shown]
	s_lshl_b64 s[80:81], s[54:55], 8
	s_lshl_b64 s[82:83], s[74:75], 8
	v_writelane_b32 v191, s25, 61
	s_mov_b64 s[84:85], 0x80
                                        ; implicit-def: $vgpr1
	v_writelane_b32 v191, s41, 62
	s_branch .LBB0_14
.LBB0_12:                               ;   in Loop: Header=BB0_14 Depth=1
	s_or_b64 exec, exec, s[26:27]
	s_barrier
.LBB0_13:                               ;   in Loop: Header=BB0_14 Depth=1
	v_readlane_b32 s27, v191, 1
	s_add_i32 s2, s96, s27
	s_abs_i32 s25, s2
	v_readlane_b32 s41, v191, 62
	s_mul_hi_u32 s26, s25, s41
	s_mul_i32 s26, s26, s97
	s_sub_i32 s25, s25, s26
	s_ashr_i32 s24, s2, 31
	s_sub_i32 s26, s25, s97
	s_cmp_ge_u32 s25, s97
	s_cselect_b32 s25, s26, s25
	s_sub_i32 s26, s25, s97
	s_cmp_ge_u32 s25, s97
	s_cselect_b32 s25, s26, s25
	s_xor_b32 s25, s25, s24
	s_sub_i32 s24, s24, s25
	s_add_i32 s96, s2, s24
	v_readlane_b32 s24, v191, 10
	s_sub_i32 s2, s24, s96
	s_min_i32 s92, s27, s2
	v_readlane_b32 s25, v191, 11
	s_cmp_gt_i32 s24, s96
	s_cselect_b64 s[24:25], -1, 0
	s_cmp_le_i32 s27, s2
	s_cselect_b64 s[26:27], -1, 0
	s_and_b64 s[26:27], s[26:27], s[24:25]
	s_mov_b32 s40, 0
	s_and_b64 vcc, exec, s[26:27]
	s_cbranch_vccz .LBB0_203
.LBB0_14:                               ; =>This Loop Header: Depth=1
                                        ;     Child Loop BB0_138 Depth 2
                                        ;     Child Loop BB0_40 Depth 2
	s_ashr_i32 s2, s96, 31
	v_readlane_b32 s24, v191, 43
	s_xor_b32 s2, s2, s24
	s_abs_i32 s24, s96
	v_readlane_b32 s25, v191, 45
	s_mul_hi_u32 s25, s24, s25
	v_readlane_b32 s28, v191, 44
	s_mul_i32 s26, s25, s28
	s_sub_i32 s24, s24, s26
	s_add_i32 s26, s25, 1
	s_sub_i32 s27, s24, s28
	s_cmp_ge_u32 s24, s28
	s_cselect_b32 s25, s26, s25
	s_cselect_b32 s24, s27, s24
	s_add_i32 s26, s25, 1
	s_cmp_ge_u32 s24, s28
	s_cselect_b32 s24, s26, s25
	s_xor_b32 s24, s24, s2
	s_sub_i32 s28, s24, s2
	v_readlane_b32 s24, v191, 25
	v_readlane_b32 s25, v191, 26
	s_andn2_b64 vcc, exec, s[24:25]
	s_ashr_i32 s25, s28, 31
	s_cbranch_vccnz .LBB0_16
; %bb.15:                               ;   in Loop: Header=BB0_14 Depth=1
	s_abs_i32 s2, s28
	v_mul_hi_u32 v1, s2, v116
	v_readlane_b32 s24, v191, 41
	v_readlane_b32 s26, v191, 15
	;; [unrolled: 1-line block ×3, first 2 shown]
	v_mul_lo_u32 v1, v1, s24
	v_sub_u32_e32 v1, s2, v1
	v_subrev_u32_e32 v3, s24, v1
	v_cmp_le_u32_e32 vcc, s24, v1
	s_nop 1
	v_cndmask_b32_e32 v1, v1, v3, vcc
	v_subrev_u32_e32 v3, s24, v1
	v_cmp_le_u32_e32 vcc, s24, v1
	s_nop 1
	v_cndmask_b32_e32 v1, v1, v3, vcc
	v_xor_b32_e32 v1, s25, v1
	v_subrev_u32_e32 v1, s25, v1
	v_ashrrev_i32_e32 v3, 31, v1
	v_mul_lo_u32 v4, v1, s27
	v_mul_hi_u32 v5, v1, s26
	v_add_u32_e32 v4, v5, v4
	v_mul_lo_u32 v3, v3, s26
	v_add_u32_e32 v5, v4, v3
	v_mul_lo_u32 v4, v1, s26
	v_lshl_add_u64 v[52:53], s[62:63], 0, v[4:5]
	s_branch .LBB0_17
.LBB0_16:                               ;   in Loop: Header=BB0_14 Depth=1
	v_mov_b64_e32 v[52:53], 0
.LBB0_17:                               ;   in Loop: Header=BB0_14 Depth=1
	v_readlane_b32 s2, v191, 7
	s_mul_i32 s2, s28, s2
	s_sub_i32 s2, s96, s2
	s_ashr_i32 s24, s2, 31
	v_readlane_b32 s26, v191, 46
	s_xor_b32 s24, s24, s26
	s_abs_i32 s26, s2
	v_readlane_b32 s27, v191, 48
	s_mul_hi_u32 s27, s26, s27
	v_readlane_b32 s31, v191, 47
	s_mul_i32 s29, s27, s31
	s_sub_i32 s26, s26, s29
	s_add_i32 s29, s27, 1
	s_sub_i32 s30, s26, s31
	s_cmp_ge_u32 s26, s31
	s_cselect_b32 s27, s29, s27
	s_cselect_b32 s26, s30, s26
	s_add_i32 s29, s27, 1
	s_cmp_ge_u32 s26, s31
	s_cselect_b32 s26, s29, s27
	s_xor_b32 s26, s26, s24
	s_sub_i32 s33, s26, s24
	v_readlane_b32 s24, v191, 6
	s_mul_i32 s24, s33, s24
	s_sub_i32 s2, s2, s24
	s_ashr_i32 s24, s2, 31
	v_readlane_b32 s26, v191, 49
	s_xor_b32 s24, s24, s26
	s_abs_i32 s26, s2
	v_readlane_b32 s27, v191, 51
	s_mul_hi_u32 s27, s26, s27
	v_readlane_b32 s31, v191, 50
	s_mul_i32 s29, s27, s31
	s_sub_i32 s26, s26, s29
	s_add_i32 s29, s27, 1
	s_sub_i32 s30, s26, s31
	s_cmp_ge_u32 s26, s31
	s_cselect_b32 s27, s29, s27
	s_cselect_b32 s26, s30, s26
	s_add_i32 s29, s27, 1
	s_cmp_ge_u32 s26, s31
	s_cselect_b32 s26, s29, s27
	s_xor_b32 s26, s26, s24
	s_sub_i32 s24, s26, s24
	v_readlane_b32 s26, v191, 2
	v_readlane_b32 s30, v191, 34
	s_mul_i32 s26, s33, s26
	v_readlane_b32 s31, v191, 35
	s_add_i32 s26, s26, s24
	s_andn2_b64 vcc, exec, s[30:31]
	v_mov_b32_e32 v50, 1.0
	s_cbranch_vccnz .LBB0_19
; %bb.18:                               ;   in Loop: Header=BB0_14 Depth=1
	v_readlane_b32 s30, v191, 12
	s_sub_i32 s29, s26, s30
	s_lshl_b32 s29, s29, 1
	s_add_i32 s27, s26, 1
	s_or_b32 s29, s29, 1
	s_cmp_lt_u32 s26, s30
	v_readlane_b32 s36, v191, 30
	s_cselect_b64 vcc, -1, 0
	v_readlane_b32 s38, v191, 32
	v_readlane_b32 s39, v191, 33
	s_and_b64 s[30:31], vcc, exec
	v_mov_b32_e32 v3, s38
	v_mov_b32_e32 v1, s39
	s_cselect_b32 s27, s27, s29
	v_cndmask_b32_e32 v3, v1, v3, vcc
	v_cvt_f32_i32_e32 v1, s27
	v_cmp_neq_f32_e32 vcc, 1.0, v3
	s_mov_b32 s27, 0x3f2aaaab
	s_mov_b32 s29, 0x7f800000
	v_cndmask_b32_e32 v20, 1.0, v1, vcc
	v_cmp_eq_f32_e32 vcc, 0, v20
	v_readlane_b32 s37, v191, 31
	v_cmp_gt_f32_e64 s[36:37], 0, v20
	v_cndmask_b32_e64 v21, |v3|, 1.0, vcc
	v_frexp_mant_f32_e32 v1, v21
	v_cmp_gt_f32_e64 s[30:31], s27, v1
	s_mov_b32 s27, 0x3f317218
	v_cndmask_b32_e64 v3, v3, 1.0, vcc
	v_cndmask_b32_e64 v4, 1.0, 2.0, s[30:31]
	v_mul_f32_e32 v1, v1, v4
	v_add_f32_e32 v4, 1.0, v1
	v_rcp_f32_e32 v12, v4
	v_add_f32_e32 v5, -1.0, v4
	v_sub_f32_e32 v7, v1, v5
	v_add_f32_e32 v5, -1.0, v1
	v_mul_f32_e32 v1, v5, v12
	v_mul_f32_e32 v6, v4, v1
	v_fma_f32 v8, v1, v4, -v6
	v_fmac_f32_e32 v8, v1, v7
	v_add_f32_e32 v4, v6, v8
	v_sub_f32_e32 v7, v5, v4
	v_pk_add_f32 v[10:11], v[4:5], v[6:7] neg_lo:[0,1] neg_hi:[0,1]
	v_mov_b32_e32 v9, v4
	v_pk_add_f32 v[4:5], v[10:11], v[8:9] neg_lo:[0,1] neg_hi:[0,1]
	v_cmp_eq_f32_e64 s[34:35], 0, v3
	v_add_f32_e32 v4, v4, v5
	v_add_f32_e32 v4, v7, v4
	v_mul_f32_e32 v5, v12, v4
	v_add_f32_e32 v4, v1, v5
	v_sub_f32_e32 v1, v4, v1
	v_sub_f32_e32 v1, v5, v1
	v_mul_f32_e32 v5, v4, v4
	v_fma_f32 v7, v4, v4, -v5
	v_add_f32_e32 v6, v1, v1
	v_fmac_f32_e32 v7, v4, v6
	v_add_f32_e32 v6, v5, v7
	v_fmamk_f32 v8, v6, 0x3e76c4e1, v168
	v_fmaak_f32 v8, v6, v8, 0x3ecccdef
	v_sub_f32_e32 v5, v6, v5
	v_sub_f32_e32 v14, v7, v5
	v_mul_f32_e32 v5, v6, v8
	v_fma_f32 v7, v6, v8, -v5
	v_fmac_f32_e32 v7, v14, v8
	v_add_f32_e32 v8, v5, v7
	v_add_f32_e32 v9, 0x3f2aaaaa, v8
	v_sub_f32_e32 v5, v8, v5
	v_sub_f32_e32 v5, v7, v5
	v_add_f32_e32 v7, 0xbf2aaaaa, v9
	v_add_f32_e32 v5, 0x31739010, v5
	v_sub_f32_e32 v7, v8, v7
	v_pk_mul_f32 v[10:11], v[4:5], v[6:7]
	v_pk_add_f32 v[12:13], v[4:5], v[6:7]
	v_fma_f32 v8, v6, v4, -v10
	v_fmac_f32_e32 v8, v6, v1
	v_mov_b32_e32 v11, v13
	v_fmac_f32_e32 v8, v14, v4
	v_pk_add_f32 v[6:7], v[10:11], v[8:9]
	v_ldexp_f32 v1, v1, 1
	v_sub_f32_e32 v5, v6, v10
	v_sub_f32_e32 v5, v8, v5
	;; [unrolled: 1-line block ×3, first 2 shown]
	v_add_f32_e32 v12, v13, v8
	v_mov_b32_e32 v8, v7
	v_pk_mul_f32 v[8:9], v[6:7], v[8:9]
	v_cvt_f64_f32_e32 v[10:11], v21
	v_frexp_exp_i32_f64_e32 v9, v[10:11]
	v_subbrev_co_u32_e64 v9, s[30:31], 0, v9, s[30:31]
	v_cvt_f32_i32_e32 v9, v9
	v_fma_f32 v10, v6, v7, -v8
	v_fmac_f32_e32 v10, v6, v12
	v_fmac_f32_e32 v10, v5, v7
	v_mul_f32_e32 v6, 0x3f317218, v9
	v_fma_f32 v12, v9, s27, -v6
	v_fmac_f32_e32 v12, 0xb102e308, v9
	v_ldexp_f32 v13, v4, 1
	v_add_f32_e32 v7, v8, v10
	v_pk_add_f32 v[4:5], v[6:7], v[12:13]
	v_mov_b32_e32 v14, v7
	v_mov_b32_e32 v15, v5
	;; [unrolled: 1-line block ×3, first 2 shown]
	v_pk_add_f32 v[8:9], v[14:15], v[8:9] neg_lo:[0,1] neg_hi:[0,1]
	v_mov_b32_e32 v11, v7
	v_pk_add_f32 v[8:9], v[10:11], v[8:9] neg_lo:[0,1] neg_hi:[0,1]
	v_mov_b32_e32 v13, v4
	v_add_f32_e32 v1, v1, v8
	v_add_f32_e32 v7, v1, v9
	v_pk_add_f32 v[8:9], v[4:5], v[6:7] neg_lo:[0,1] neg_hi:[0,1]
	v_pk_add_f32 v[10:11], v[4:5], v[6:7]
	v_mov_b32_e32 v14, v8
	v_mov_b32_e32 v15, v11
	v_pk_add_f32 v[14:15], v[12:13], v[14:15]
	v_pk_add_f32 v[8:9], v[12:13], v[8:9] neg_lo:[0,1] neg_hi:[0,1]
	v_mov_b32_e32 v6, v15
	v_pk_add_f32 v[16:17], v[6:7], v[4:5] neg_lo:[0,1] neg_hi:[0,1]
	v_mov_b32_e32 v14, v11
	v_mov_b32_e32 v1, v16
	v_mov_b32_e32 v4, v5
	v_mov_b32_e32 v5, v16
	v_pk_add_f32 v[18:19], v[10:11], v[0:1] neg_lo:[0,1] neg_hi:[0,1]
	v_pk_add_f32 v[4:5], v[14:15], v[4:5] neg_lo:[0,1] neg_hi:[0,1]
	v_mov_b32_e32 v12, v7
	v_pk_add_f32 v[4:5], v[12:13], v[4:5] neg_lo:[0,1] neg_hi:[0,1]
	v_mov_b32_e32 v18, v8
	v_pk_add_f32 v[10:11], v[18:19], v[4:5]
	v_mov_b32_e32 v9, v15
	v_mov_b32_e32 v12, v11
	v_pk_add_f32 v[12:13], v[10:11], v[12:13]
	s_movk_i32 s27, 0x204
	v_pk_add_f32 v[6:7], v[6:7], v[12:13]
	v_mov_b32_e32 v5, v12
	v_mov_b32_e32 v11, v6
	v_pk_add_f32 v[14:15], v[10:11], v[8:9] neg_lo:[0,1] neg_hi:[0,1]
	s_xor_b64 s[36:37], s[36:37], s[34:35]
	v_sub_f32_e32 v1, v10, v14
	v_pk_add_f32 v[4:5], v[4:5], v[14:15] neg_lo:[0,1] neg_hi:[0,1]
	v_sub_f32_e32 v1, v8, v1
	v_add_f32_e32 v1, v4, v1
	v_add_f32_e32 v1, v1, v5
	;; [unrolled: 1-line block ×3, first 2 shown]
	v_sub_f32_e32 v5, v4, v6
	v_sub_f32_e32 v1, v1, v5
	v_mul_f32_e32 v5, v20, v4
	v_fma_f32 v4, v20, v4, -v5
	v_fmac_f32_e32 v4, v20, v1
	v_add_f32_e32 v1, v5, v4
	v_cmp_class_f32_e64 s[30:31], v5, s27
	v_sub_f32_e32 v6, v1, v5
	v_sub_f32_e32 v4, v4, v6
	v_cndmask_b32_e64 v1, v1, v5, s[30:31]
	v_cmp_eq_f32_e64 s[30:31], s73, v1
	s_nop 1
	v_cndmask_b32_e64 v5, 0, v169, s[30:31]
	v_sub_f32_e32 v6, v1, v5
	v_mul_f32_e32 v7, 0x3fb8aa3b, v6
	v_fma_f32 v8, v6, s93, -v7
	v_rndne_f32_e32 v9, v7
	v_fmac_f32_e32 v8, 0x32a5705f, v6
	v_sub_f32_e32 v7, v7, v9
	v_add_f32_e32 v7, v7, v8
	v_exp_f32_e32 v7, v7
	v_cvt_i32_f32_e32 v8, v9
	v_cmp_neq_f32_e64 s[30:31], |v1|, s29
	s_nop 1
	v_cndmask_b32_e64 v1, 0, v4, s[30:31]
	v_ldexp_f32 v4, v7, v8
	v_cmp_ngt_f32_e64 s[30:31], s22, v6
	v_add_f32_e32 v1, v5, v1
	s_nop 0
	v_cndmask_b32_e64 v4, 0, v4, s[30:31]
	v_cmp_nlt_f32_e64 s[30:31], s73, v6
	s_nop 1
	v_cndmask_b32_e64 v4, v170, v4, s[30:31]
	v_fma_f32 v1, v4, v1, v4
	v_cmp_class_f32_e64 s[30:31], v4, s27
	s_brev_b32 s27, -2
	s_nop 0
	v_cndmask_b32_e64 v1, v1, v4, s[30:31]
	v_trunc_f32_e32 v4, v20
	v_cmp_eq_f32_e32 vcc, v4, v20
	v_mul_f32_e32 v4, 0.5, v20
	v_trunc_f32_e32 v5, v4
	v_cmp_neq_f32_e64 s[30:31], v5, v4
	s_and_b64 s[30:31], vcc, s[30:31]
	s_nop 0
	v_cndmask_b32_e64 v4, 1.0, v3, s[30:31]
	v_bfi_b32 v1, s27, v1, v4
	v_cndmask_b32_e32 v4, v171, v1, vcc
	v_cmp_gt_f32_e32 vcc, 0, v3
	v_cndmask_b32_e64 v5, 0, v3, s[30:31]
	s_nop 0
	v_cndmask_b32_e32 v1, v1, v4, vcc
	v_cmp_eq_f32_e32 vcc, s29, v21
	v_cndmask_b32_e64 v4, v170, 0, s[36:37]
	v_bfi_b32 v4, s27, v4, v5
	s_or_b64 vcc, vcc, s[34:35]
	v_cndmask_b32_e32 v1, v1, v4, vcc
	v_cmp_o_f32_e32 vcc, v3, v3
	s_nop 1
	v_cndmask_b32_e32 v50, v171, v1, vcc
.LBB0_19:                               ;   in Loop: Header=BB0_14 Depth=1
	v_readlane_b32 s27, v191, 3
	s_mul_i32 s24, s24, s27
	s_sub_i32 s2, s2, s24
	s_ashr_i32 s24, s2, 31
	v_readlane_b32 s27, v191, 23
	s_abs_i32 s2, s2
	s_xor_b32 s24, s24, s27
	s_mul_hi_u32 s27, s2, s41
	s_mul_i32 s29, s27, s97
	s_sub_i32 s2, s2, s29
	s_add_i32 s29, s27, 1
	s_sub_i32 s30, s2, s97
	s_cmp_ge_u32 s2, s97
	s_cselect_b32 s27, s29, s27
	s_cselect_b32 s2, s30, s2
	s_add_i32 s29, s27, 1
	s_cmp_ge_u32 s2, s97
	s_cselect_b32 s2, s29, s27
	v_readlane_b32 s30, v191, 36
	s_xor_b32 s2, s2, s24
	v_readlane_b32 s31, v191, 37
	s_andn2_b64 vcc, exec, s[30:31]
	s_sub_i32 s29, s2, s24
	s_cbranch_vccnz .LBB0_21
; %bb.20:                               ;   in Loop: Header=BB0_14 Depth=1
	v_readlane_b32 s2, v191, 0
	s_mul_i32 s2, s28, s2
	s_add_i32 s30, s29, s2
	s_ashr_i32 s31, s30, 31
	s_lshl_b64 s[30:31], s[30:31], 2
	s_add_u32 s30, s66, s30
	s_addc_u32 s31, s67, s31
	global_load_dword v1, v2, s[30:31]
	s_waitcnt vmcnt(0)
	v_readfirstlane_b32 s2, v1
	s_ashr_i32 s24, s2, 31
	s_lshr_b32 s24, s24, 26
	s_add_i32 s2, s2, s24
	s_ashr_i32 s2, s2, 6
	s_min_i32 s92, s92, s2
.LBB0_21:                               ;   in Loop: Header=BB0_14 Depth=1
	v_readlane_b32 s2, v191, 27
	s_mul_i32 s2, s2, s28
	s_add_i32 s2, s26, s2
	s_lshl_b32 s2, s2, 5
	s_lshl_b64 s[30:31], s[2:3], 3
	s_add_u32 s30, s68, s30
	s_addc_u32 s31, s69, s31
                                        ; implicit-def: $vgpr190 : SGPR spill to VGPR lane
	v_writelane_b32 v191, s30, 63
	s_nop 0
	v_readlane_b32 s36, v191, 19
	v_writelane_b32 v190, s31, 0
	v_readlane_b32 s30, v191, 13
	v_readlane_b32 s31, v191, 14
	s_mul_i32 s2, s28, s31
	s_mul_hi_u32 s24, s28, s30
	s_add_i32 s2, s24, s2
	s_mul_i32 s24, s25, s30
	s_add_i32 s2, s2, s24
	s_mul_i32 s24, s28, s30
	v_readlane_b32 s39, v191, 22
	s_add_u32 s27, s60, s24
	s_mul_i32 s31, s33, s39
	v_writelane_b32 v190, s24, 1
	s_addc_u32 s30, s61, s2
	s_ashr_i32 s24, s31, 31
	s_add_u32 s79, s27, s31
	s_addc_u32 s89, s30, s24
	s_ashr_i32 s27, s26, 31
	v_writelane_b32 v190, s31, 2
	s_lshl_b64 s[30:31], s[26:27], 2
	s_add_u32 s27, s64, s30
	s_addc_u32 s34, s65, s31
	v_readlane_b32 s30, v191, 28
	v_readlane_b32 s31, v191, 29
	s_and_b64 s[30:31], s[30:31], exec
	s_cselect_b32 s99, 0, s34
	v_readlane_b32 s34, v191, 8
	v_readlane_b32 s35, v191, 9
	s_cselect_b32 s98, 0, s27
	s_mul_i32 s27, s28, s35
	s_ashr_i32 s30, s27, 31
	s_add_u32 s27, s56, s27
	s_mul_i32 s26, s26, s34
	s_addc_u32 s30, s57, s30
	s_ashr_i32 s31, s26, 31
	v_readlane_b32 s37, v191, 20
	s_add_u32 s26, s27, s26
	s_addc_u32 s27, s30, s31
	s_mul_i32 s30, s28, s37
	s_mul_hi_u32 s31, s28, s36
	s_add_i32 s30, s31, s30
	s_mul_i32 s25, s25, s36
	v_readlane_b32 s34, v191, 17
	s_add_i32 s25, s30, s25
	s_mul_i32 s28, s28, s36
	v_readlane_b32 s35, v191, 18
	s_add_u32 s30, s58, s28
	s_mul_i32 s33, s33, s35
	v_writelane_b32 v190, s28, 3
	s_addc_u32 s31, s59, s25
	s_ashr_i32 s28, s33, 31
	s_add_u32 s77, s30, s33
	v_writelane_b32 v190, s33, 4
	s_addc_u32 s33, s31, s28
	s_cmp_lg_u32 s40, 0
	v_readlane_b32 s38, v191, 21
	s_cbranch_scc0 .LBB0_50
; %bb.22:                               ;   in Loop: Header=BB0_14 Depth=1
	s_lshl_b32 s78, s29, 5
	v_add_u32_e32 v1, s78, v27
	v_cmp_le_i32_e32 vcc, s72, v1
	s_and_saveexec_b64 s[30:31], vcc
	s_xor_b64 s[30:31], exec, s[30:31]
	s_cbranch_execz .LBB0_24
; %bb.23:                               ;   in Loop: Header=BB0_14 Depth=1
	ds_write_b32 v120, v2
                                        ; implicit-def: $vgpr1
.LBB0_24:                               ;   in Loop: Header=BB0_14 Depth=1
	s_andn2_saveexec_b64 s[30:31], s[30:31]
	s_cbranch_execz .LBB0_26
; %bb.25:                               ;   in Loop: Header=BB0_14 Depth=1
	v_mad_u64_u32 v[4:5], s[34:35], v1, s95, v[32:33]
	v_ashrrev_i32_e32 v5, 31, v4
	v_lshl_add_u64 v[4:5], v[4:5], 3, s[26:27]
	global_load_dwordx2 v[4:5], v[4:5], off
	s_waitcnt vmcnt(0)
	v_cvt_f16_f32_e32 v1, v4
	v_cvt_f16_f32_e32 v3, v5
	v_pack_b32_f16 v1, v1, v3
	v_pk_mul_f16 v1, v23, v1
	ds_write_b32 v120, v1
.LBB0_26:                               ;   in Loop: Header=BB0_14 Depth=1
	s_or_b64 exec, exec, s[30:31]
	v_add_u32_e32 v1, s78, v165
	v_cmp_le_i32_e32 vcc, s72, v1
	s_and_saveexec_b64 s[30:31], vcc
	s_xor_b64 s[30:31], exec, s[30:31]
	s_cbranch_execz .LBB0_28
; %bb.27:                               ;   in Loop: Header=BB0_14 Depth=1
	ds_write_b32 v120, v2 offset:1152
                                        ; implicit-def: $vgpr1
.LBB0_28:                               ;   in Loop: Header=BB0_14 Depth=1
	s_andn2_saveexec_b64 s[30:31], s[30:31]
	s_cbranch_execz .LBB0_30
; %bb.29:                               ;   in Loop: Header=BB0_14 Depth=1
	v_mad_u64_u32 v[4:5], s[34:35], v1, s95, v[32:33]
	v_ashrrev_i32_e32 v5, 31, v4
	v_lshl_add_u64 v[4:5], v[4:5], 3, s[26:27]
	global_load_dwordx2 v[4:5], v[4:5], off
	s_waitcnt vmcnt(0)
	v_cvt_f16_f32_e32 v1, v4
	v_cvt_f16_f32_e32 v3, v5
	v_pack_b32_f16 v1, v1, v3
	v_pk_mul_f16 v1, v23, v1
	ds_write_b32 v120, v1 offset:1152
.LBB0_30:                               ;   in Loop: Header=BB0_14 Depth=1
	s_or_b64 exec, exec, s[30:31]
	v_add_u32_e32 v1, s78, v166
	v_cmp_le_i32_e32 vcc, s72, v1
	s_and_saveexec_b64 s[30:31], vcc
	s_xor_b64 s[30:31], exec, s[30:31]
	s_cbranch_execz .LBB0_32
; %bb.31:                               ;   in Loop: Header=BB0_14 Depth=1
	ds_write_b32 v120, v2 offset:2304
                                        ; implicit-def: $vgpr1
.LBB0_32:                               ;   in Loop: Header=BB0_14 Depth=1
	s_andn2_saveexec_b64 s[30:31], s[30:31]
	s_cbranch_execz .LBB0_34
; %bb.33:                               ;   in Loop: Header=BB0_14 Depth=1
	v_mad_u64_u32 v[4:5], s[34:35], v1, s95, v[32:33]
	v_ashrrev_i32_e32 v5, 31, v4
	v_lshl_add_u64 v[4:5], v[4:5], 3, s[26:27]
	global_load_dwordx2 v[4:5], v[4:5], off
	s_waitcnt vmcnt(0)
	v_cvt_f16_f32_e32 v1, v4
	v_cvt_f16_f32_e32 v3, v5
	v_pack_b32_f16 v1, v1, v3
	v_pk_mul_f16 v1, v23, v1
	ds_write_b32 v120, v1 offset:2304
.LBB0_34:                               ;   in Loop: Header=BB0_14 Depth=1
	;; [unrolled: 24-line block ×3, first 2 shown]
	s_or_b64 exec, exec, s[30:31]
	s_waitcnt lgkmcnt(0)
	s_barrier
	ds_read2_b64 v[10:13], v85 offset1:4
	ds_read2_b64 v[6:9], v85 offset0:8 offset1:12
	s_add_i32 s41, s92, -1
	s_cmp_le_i32 s41, s40
	v_mov_b32_e32 v177, 0
	s_waitcnt lgkmcnt(0)
	s_barrier
	s_cbranch_scc1 .LBB0_51
; %bb.39:                               ;   in Loop: Header=BB0_14 Depth=1
	v_add_u32_e32 v1, s78, v80
	v_mul_hi_u32 v3, s86, v1
	v_add_u32_e32 v3, v1, v3
	v_lshrrev_b32_e32 v3, s87, v3
	v_mul_lo_u32 v3, v3, s72
	v_sub_u32_e32 v1, v1, v3
	v_mad_i64_i32 v[56:57], s[34:35], v1, s88, 0
	v_add_u32_e32 v1, s78, v137
	v_mul_hi_u32 v3, s86, v1
	v_add_u32_e32 v3, v1, v3
	v_lshrrev_b32_e32 v3, s87, v3
	v_mul_lo_u32 v3, v3, s72
	v_sub_u32_e32 v1, v1, v3
	v_mad_i64_i32 v[58:59], s[34:35], v1, s88, 0
	v_add_u32_e32 v1, s78, v139
	v_mul_hi_u32 v3, s86, v1
	v_add_u32_e32 v3, v1, v3
	v_lshrrev_b32_e32 v3, s87, v3
	v_mul_lo_u32 v3, v3, s72
	v_sub_u32_e32 v1, v1, v3
	v_mad_i64_i32 v[60:61], s[34:35], v1, s88, 0
	v_add_u32_e32 v1, s78, v141
	v_mul_hi_u32 v3, s86, v1
	v_add_u32_e32 v3, v1, v3
	v_lshrrev_b32_e32 v3, s87, v3
	v_mul_lo_u32 v3, v3, s72
	v_sub_u32_e32 v1, v1, v3
	v_mad_i64_i32 v[62:63], s[34:35], v1, s88, 0
	v_add_u32_e32 v1, s78, v143
	v_mul_hi_u32 v3, s86, v1
	v_add_u32_e32 v3, v1, v3
	v_lshrrev_b32_e32 v3, s87, v3
	v_mul_lo_u32 v3, v3, s72
	v_sub_u32_e32 v1, v1, v3
	v_mad_i64_i32 v[64:65], s[34:35], v1, s88, 0
	v_add_u32_e32 v1, s78, v145
	v_mul_hi_u32 v3, s86, v1
	v_add_u32_e32 v3, v1, v3
	v_lshrrev_b32_e32 v3, s87, v3
	v_mul_lo_u32 v3, v3, s72
	v_sub_u32_e32 v1, v1, v3
	v_mad_i64_i32 v[66:67], s[34:35], v1, s88, 0
	v_add_u32_e32 v1, s78, v147
	v_mul_hi_u32 v3, s86, v1
	v_add_u32_e32 v3, v1, v3
	v_lshrrev_b32_e32 v3, s87, v3
	v_mul_lo_u32 v3, v3, s72
	v_sub_u32_e32 v1, v1, v3
	v_mad_i64_i32 v[68:69], s[34:35], v1, s88, 0
	v_add_u32_e32 v1, s78, v149
	v_mul_hi_u32 v3, s86, v1
	v_add_u32_e32 v3, v1, v3
	v_lshrrev_b32_e32 v3, s87, v3
	v_mul_lo_u32 v3, v3, s72
	v_sub_u32_e32 v1, v1, v3
	v_mad_i64_i32 v[70:71], s[34:35], v1, s88, 0
	v_and_b32_e32 v1, 64, v172
	v_add_u32_e32 v1, 64, v1
	v_xor_b32_e32 v3, 32, v172
	v_cmp_lt_i32_e32 vcc, v3, v1
	v_lshlrev_b32_e32 v4, 1, v22
	v_mov_b32_e32 v5, v2
	v_cndmask_b32_e32 v3, v172, v3, vcc
	v_lshlrev_b32_e32 v76, 2, v3
	v_xor_b32_e32 v3, 16, v172
	v_cmp_lt_i32_e32 vcc, v3, v1
	v_cmp_ne_u64_e64 s[30:31], 0, v[52:53]
	v_lshl_add_u64 v[54:55], v[52:53], 0, v[4:5]
	v_cndmask_b32_e32 v1, v172, v3, vcc
	v_mov_b32_e32 v78, 0
	v_lshlrev_b32_e32 v77, 2, v1
	v_mov_b32_e32 v72, v50
	v_mov_b32_e32 v73, v50
	s_lshl_b32 s36, s40, 6
	v_mov_b32_e32 v179, 0
	v_mov_b32_e32 v180, 0xfeffffff
	v_mov_b32_e32 v79, 0
	v_mov_b32_e32 v174, 0
	v_mov_b32_e32 v173, 0
	v_mov_b32_e32 v176, 0
	v_mov_b32_e32 v175, 0
	v_mov_b32_e32 v178, 0
	v_mov_b32_e32 v177, 0
.LBB0_40:                               ;   Parent Loop BB0_14 Depth=1
                                        ; =>  This Inner Loop Header: Depth=2
	v_cndmask_b32_e64 v1, 0, 1, s[30:31]
	v_cmp_ne_u32_e64 s[34:35], 1, v1
	s_andn2_b64 vcc, exec, s[30:31]
	s_ashr_i32 s37, s36, 31
	s_cbranch_vccnz .LBB0_46
; %bb.41:                               ;   in Loop: Header=BB0_40 Depth=2
                                        ; implicit-def: $sgpr42
	s_and_saveexec_b64 s[38:39], s[0:1]
	s_xor_b64 s[38:39], exec, s[38:39]
	s_cbranch_execz .LBB0_43
; %bb.42:                               ;   in Loop: Header=BB0_40 Depth=2
	ds_write_b16 v86, v2 offset:9216
	ds_write_b16 v138, v2 offset:9216
	;; [unrolled: 1-line block ×4, first 2 shown]
	s_mov_b32 s42, 0
.LBB0_43:                               ;   in Loop: Header=BB0_40 Depth=2
	s_or_saveexec_b64 s[38:39], s[38:39]
	v_mov_b32_e32 v1, s42
	v_mov_b32_e32 v3, s42
	;; [unrolled: 1-line block ×4, first 2 shown]
	s_xor_b64 exec, exec, s[38:39]
	s_cbranch_execz .LBB0_45
; %bb.44:                               ;   in Loop: Header=BB0_40 Depth=2
	v_lshl_add_u64 v[14:15], s[36:37], 1, v[54:55]
	v_lshl_add_u64 v[4:5], v[56:57], 1, v[14:15]
	flat_load_ushort v1, v[4:5]
	v_lshl_add_u64 v[4:5], v[58:59], 1, v[14:15]
	flat_load_ushort v3, v[4:5]
	;; [unrolled: 2-line block ×4, first 2 shown]
	s_waitcnt vmcnt(0) lgkmcnt(0)
	ds_write_b16 v86, v1 offset:9216
	ds_write_b16 v138, v3 offset:9216
	;; [unrolled: 1-line block ×4, first 2 shown]
	v_lshl_add_u64 v[4:5], v[64:65], 1, v[14:15]
	flat_load_ushort v1, v[4:5]
	v_lshl_add_u64 v[4:5], v[66:67], 1, v[14:15]
	flat_load_ushort v3, v[4:5]
	v_lshl_add_u64 v[4:5], v[68:69], 1, v[14:15]
	v_lshl_add_u64 v[14:15], v[70:71], 1, v[14:15]
	flat_load_ushort v4, v[4:5]
	s_nop 0
	flat_load_ushort v5, v[14:15]
.LBB0_45:                               ;   in Loop: Header=BB0_40 Depth=2
	s_or_b64 exec, exec, s[38:39]
	s_waitcnt vmcnt(0) lgkmcnt(0)
	ds_write_b16 v144, v1 offset:9216
	ds_write_b16 v146, v3 offset:9216
	;; [unrolled: 1-line block ×4, first 2 shown]
.LBB0_46:                               ;   in Loop: Header=BB0_40 Depth=2
	s_mul_hi_i32 s39, s36, s74
	s_mul_i32 s38, s36, s74
	s_lshl_b64 s[38:39], s[38:39], 2
	s_add_u32 s38, s77, s38
	s_addc_u32 s39, s33, s39
	v_lshl_add_u64 v[14:15], v[28:29], 2, s[38:39]
	v_lshlrev_b32_e32 v74, 2, v26
	v_mov_b32_e32 v75, v2
	v_mov_b32_e32 v3, v2
	;; [unrolled: 1-line block ×4, first 2 shown]
	v_lshl_add_u64 v[14:15], v[14:15], 0, v[74:75]
	v_mov_b32_e32 v1, s91
	v_mov_b32_e32 v18, s90
	scratch_store_dwordx4 off, v[2:5], off
	v_cndmask_b32_e64 v15, v1, v15, s[50:51]
	v_cndmask_b32_e64 v14, v18, v14, s[50:51]
	flat_load_dwordx4 v[14:17], v[14:15]
	s_and_b64 vcc, exec, s[34:35]
	s_waitcnt vmcnt(0) lgkmcnt(0)
	ds_write_b128 v88, v[14:17]
	v_lshl_add_u64 v[14:15], v[30:31], 2, s[38:39]
	v_lshl_add_u64 v[14:15], v[14:15], 0, v[74:75]
	v_cndmask_b32_e64 v15, v1, v15, s[4:5]
	v_cndmask_b32_e64 v14, v18, v14, s[4:5]
	flat_load_dwordx4 v[14:17], v[14:15]
	v_add_u32_e32 v1, v33, v89
	s_waitcnt vmcnt(0) lgkmcnt(0)
	ds_write_b128 v152, v[14:17]
	s_waitcnt lgkmcnt(0)
	s_barrier
	ds_read2_b64 v[14:17], v1 offset1:4
	s_waitcnt lgkmcnt(0)
	v_mfma_f32_16x16x16_f16 v[18:21], v[14:15], v[10:11], 0
	v_mfma_f32_16x16x16_f16 v[14:17], v[16:17], v[12:13], v[18:21]
	s_nop 5
	ds_read2_b64 v[18:21], v1 offset0:8 offset1:12
	s_waitcnt lgkmcnt(0)
	v_mfma_f32_16x16x16_f16 v[14:17], v[18:19], v[6:7], v[14:17]
	v_add_u32_e32 v1, 0x1000, v1
	v_mfma_f32_16x16x16_f16 v[18:21], v[20:21], v[8:9], v[14:17]
	s_nop 4
	ds_read2_b64 v[14:17], v1 offset0:64 offset1:68
	s_waitcnt lgkmcnt(0)
	v_mfma_f32_16x16x16_f16 v[182:185], v[14:15], v[10:11], 0
	v_mfma_f32_16x16x16_f16 v[14:17], v[16:17], v[12:13], v[182:185]
	s_nop 5
	ds_read2_b64 v[182:185], v1 offset0:72 offset1:76
	s_waitcnt lgkmcnt(0)
	v_mfma_f32_16x16x16_f16 v[14:17], v[182:183], v[6:7], v[14:17]
	s_barrier
	v_mfma_f32_16x16x16_f16 v[14:17], v[184:185], v[8:9], v[14:17]
	s_cbranch_vccnz .LBB0_48
; %bb.47:                               ;   in Loop: Header=BB0_40 Depth=2
	v_add_u32_e32 v1, 0x2400, v91
	ds_read2_b32 v[182:183], v1 offset1:1
	ds_read_b32 v1, v93 offset:9216
	v_mov_b32_e32 v51, v50
	s_waitcnt lgkmcnt(1)
	v_cvt_f32_f16_e32 v184, v182
	v_cvt_f32_f16_sdwa v185, v182 dst_sel:DWORD dst_unused:UNUSED_PAD src0_sel:WORD_1
	v_cvt_f32_f16_e32 v182, v183
	v_cvt_f32_f16_sdwa v183, v183 dst_sel:DWORD dst_unused:UNUSED_PAD src0_sel:WORD_1
	v_pk_fma_f32 v[18:19], v[72:73], v[184:185], v[18:19]
	v_pk_fma_f32 v[20:21], v[50:51], v[182:183], v[20:21]
	s_waitcnt lgkmcnt(0)
	v_cvt_f32_f16_sdwa v183, v1 dst_sel:DWORD dst_unused:UNUSED_PAD src0_sel:WORD_1
	v_cvt_f32_f16_e32 v182, v1
	ds_read_b32 v1, v115 offset:9216
	v_pk_fma_f32 v[14:15], v[72:73], v[182:183], v[14:15]
	s_waitcnt lgkmcnt(0)
	v_cvt_f32_f16_sdwa v185, v1 dst_sel:DWORD dst_unused:UNUSED_PAD src0_sel:WORD_1
	v_cvt_f32_f16_e32 v184, v1
	v_pk_fma_f32 v[16:17], v[50:51], v[184:185], v[16:17]
.LBB0_48:                               ;   in Loop: Header=BB0_40 Depth=2
	v_add_f32_e32 v1, 0x40051340, v18
	v_max_f32_e32 v51, v180, v180
	v_max_f32_e32 v1, v51, v1
	v_cndmask_b32_e64 v1, v180, v1, s[6:7]
	v_add_f32_e32 v51, 0x40051340, v19
	v_max_f32_e32 v181, v1, v1
	v_max_f32_e32 v51, v181, v51
	v_cndmask_b32_e64 v1, v1, v51, s[8:9]
	;; [unrolled: 4-line block ×8, first 2 shown]
	ds_bpermute_b32 v51, v76, v1
	v_max_f32_e32 v1, v1, v1
	v_cndmask_b32_e64 v20, v20, v20, s[8:9]
	v_cndmask_b32_e64 v21, v21, v21, s[8:9]
	;; [unrolled: 1-line block ×3, first 2 shown]
	s_waitcnt lgkmcnt(0)
	v_max_f32_e32 v51, v51, v51
	v_max_f32_e32 v1, v1, v51
	ds_bpermute_b32 v51, v77, v1
	v_cndmask_b32_e64 v16, v16, v16, s[14:15]
	v_cndmask_b32_e64 v17, v17, v17, s[14:15]
	s_mul_hi_i32 s35, s36, s54
	s_mul_i32 s34, s36, s54
	s_waitcnt lgkmcnt(0)
	v_max_f32_e32 v51, v51, v51
	v_max_f32_e32 v1, v1, v51
	v_sub_f32_e32 v18, v18, v1
	v_mul_f32_e32 v51, 0x3fb8aa3b, v18
	v_fma_f32 v181, v18, s93, -v51
	v_rndne_f32_e32 v182, v51
	v_fmac_f32_e32 v181, 0x32a5705f, v18
	v_sub_f32_e32 v51, v51, v182
	v_add_f32_e32 v51, v51, v181
	v_exp_f32_e32 v51, v51
	v_cvt_i32_f32_e32 v181, v182
	v_cmp_ngt_f32_e32 vcc, s22, v18
	v_sub_f32_e32 v19, v19, v1
	v_sub_f32_e32 v20, v20, v1
	v_ldexp_f32 v51, v51, v181
	v_cndmask_b32_e32 v51, 0, v51, vcc
	v_cmp_nlt_f32_e32 vcc, s73, v18
	v_sub_f32_e32 v14, v14, v1
	v_sub_f32_e32 v15, v15, v1
	v_cndmask_b32_e32 v18, v170, v51, vcc
	v_mul_f32_e32 v51, 0x3fb8aa3b, v19
	v_fma_f32 v181, v19, s93, -v51
	v_rndne_f32_e32 v182, v51
	v_fmac_f32_e32 v181, 0x32a5705f, v19
	v_sub_f32_e32 v51, v51, v182
	v_add_f32_e32 v51, v51, v181
	v_exp_f32_e32 v51, v51
	v_cvt_i32_f32_e32 v181, v182
	v_cmp_ngt_f32_e32 vcc, s22, v19
	v_cndmask_b32_e64 v18, 0, v18, s[6:7]
	s_lshl_b64 s[34:35], s[34:35], 2
	v_ldexp_f32 v51, v51, v181
	v_cndmask_b32_e32 v51, 0, v51, vcc
	v_cmp_nlt_f32_e32 vcc, s73, v19
	v_mov_b32_e32 v19, s3
	s_add_u32 s34, s79, s34
	v_cndmask_b32_e32 v51, v170, v51, vcc
	v_add_f32_e32 v181, v51, v18
	v_cndmask_b32_e64 v182, v19, v51, s[8:9]
	v_mul_f32_e32 v51, 0x3fb8aa3b, v20
	v_cndmask_b32_e64 v19, v18, v181, s[8:9]
	v_fma_f32 v181, v20, s93, -v51
	v_rndne_f32_e32 v183, v51
	v_fmac_f32_e32 v181, 0x32a5705f, v20
	v_sub_f32_e32 v51, v51, v183
	v_add_f32_e32 v51, v51, v181
	v_exp_f32_e32 v51, v51
	v_cvt_i32_f32_e32 v181, v183
	v_cmp_ngt_f32_e32 vcc, s22, v20
	s_addc_u32 s35, s89, s35
	scratch_store_dwordx4 off, v[2:5], off
	v_ldexp_f32 v51, v51, v181
	v_cndmask_b32_e32 v51, 0, v51, vcc
	v_cmp_nlt_f32_e32 vcc, s73, v20
	v_mov_b32_e32 v20, s3
	s_add_i32 s40, s40, 1
	v_cndmask_b32_e32 v51, v170, v51, vcc
	v_add_f32_e32 v181, v19, v51
	v_cndmask_b32_e64 v183, v20, v51, s[10:11]
	v_cndmask_b32_e64 v20, v19, v181, s[10:11]
	v_sub_f32_e32 v19, v21, v1
	v_mul_f32_e32 v21, 0x3fb8aa3b, v19
	v_fma_f32 v51, v19, s93, -v21
	v_rndne_f32_e32 v181, v21
	v_fmac_f32_e32 v51, 0x32a5705f, v19
	v_sub_f32_e32 v21, v21, v181
	v_add_f32_e32 v21, v21, v51
	v_exp_f32_e32 v21, v21
	v_cvt_i32_f32_e32 v51, v181
	v_cmp_ngt_f32_e32 vcc, s22, v19
	s_add_i32 s36, s36, 64
	s_cmp_lt_i32 s40, s41
	v_ldexp_f32 v21, v21, v51
	v_cndmask_b32_e32 v21, 0, v21, vcc
	v_cmp_nlt_f32_e32 vcc, s73, v19
	v_mov_b32_e32 v19, s3
	s_nop 0
	v_cndmask_b32_e32 v21, v170, v21, vcc
	v_add_f32_e32 v51, v20, v21
	v_cndmask_b32_e64 v19, v19, v21, s[12:13]
	v_mul_f32_e32 v21, 0x3fb8aa3b, v14
	v_cndmask_b32_e64 v20, v20, v51, s[12:13]
	v_fma_f32 v51, v14, s93, -v21
	v_rndne_f32_e32 v181, v21
	v_fmac_f32_e32 v51, 0x32a5705f, v14
	v_sub_f32_e32 v21, v21, v181
	v_add_f32_e32 v21, v21, v51
	v_exp_f32_e32 v21, v21
	v_cvt_i32_f32_e32 v51, v181
	v_cmp_ngt_f32_e32 vcc, s22, v14
	v_ldexp_f32 v21, v21, v51
	s_nop 0
	v_cndmask_b32_e32 v21, 0, v21, vcc
	v_cmp_nlt_f32_e32 vcc, s73, v14
	v_mov_b32_e32 v14, s3
	s_nop 0
	v_cndmask_b32_e32 v21, v170, v21, vcc
	v_add_f32_e32 v51, v21, v20
	v_cndmask_b32_e64 v181, v14, v21, s[14:15]
	v_cndmask_b32_e64 v14, v20, v51, s[14:15]
	v_mul_f32_e32 v20, 0x3fb8aa3b, v15
	v_fma_f32 v21, v15, s93, -v20
	v_rndne_f32_e32 v51, v20
	v_fmac_f32_e32 v21, 0x32a5705f, v15
	v_sub_f32_e32 v20, v20, v51
	v_add_f32_e32 v20, v20, v21
	v_exp_f32_e32 v20, v20
	v_cvt_i32_f32_e32 v21, v51
	v_cmp_ngt_f32_e32 vcc, s22, v15
	v_ldexp_f32 v20, v20, v21
	s_nop 0
	v_cndmask_b32_e32 v20, 0, v20, vcc
	v_cmp_nlt_f32_e32 vcc, s73, v15
	v_mov_b32_e32 v15, s3
	s_nop 0
	v_cndmask_b32_e32 v20, v170, v20, vcc
	v_add_f32_e32 v21, v20, v14
	v_cndmask_b32_e64 v184, v15, v20, s[16:17]
	v_cndmask_b32_e64 v15, v14, v21, s[16:17]
	v_sub_f32_e32 v14, v16, v1
	v_mul_f32_e32 v16, 0x3fb8aa3b, v14
	v_fma_f32 v20, v14, s93, -v16
	v_rndne_f32_e32 v21, v16
	v_fmac_f32_e32 v20, 0x32a5705f, v14
	v_sub_f32_e32 v16, v16, v21
	v_add_f32_e32 v16, v16, v20
	v_exp_f32_e32 v16, v16
	v_cvt_i32_f32_e32 v20, v21
	v_cmp_ngt_f32_e32 vcc, s22, v14
	v_ldexp_f32 v16, v16, v20
	s_nop 0
	v_cndmask_b32_e32 v16, 0, v16, vcc
	v_cmp_nlt_f32_e32 vcc, s73, v14
	v_mov_b32_e32 v14, s3
	s_nop 0
	v_cndmask_b32_e32 v16, v170, v16, vcc
	v_add_f32_e32 v20, v16, v15
	v_cndmask_b32_e64 v185, v14, v16, s[18:19]
	v_cndmask_b32_e64 v14, v15, v20, s[18:19]
	v_sub_f32_e32 v15, v17, v1
	v_mul_f32_e32 v16, 0x3fb8aa3b, v15
	v_fma_f32 v17, v15, s93, -v16
	v_rndne_f32_e32 v20, v16
	v_fmac_f32_e32 v17, 0x32a5705f, v15
	v_sub_f32_e32 v16, v16, v20
	v_add_f32_e32 v16, v16, v17
	v_exp_f32_e32 v16, v16
	v_cvt_i32_f32_e32 v17, v20
	v_cmp_ngt_f32_e32 vcc, s22, v15
	v_ldexp_f32 v16, v16, v17
	s_nop 0
	v_cndmask_b32_e32 v16, 0, v16, vcc
	v_cmp_nlt_f32_e32 vcc, s73, v15
	v_mov_b32_e32 v15, s3
	s_nop 0
	v_cndmask_b32_e32 v16, v170, v16, vcc
	v_add_f32_e32 v17, v16, v14
	v_cndmask_b32_e64 v20, v14, v17, s[20:21]
	v_sub_f32_e32 v14, v180, v1
	v_cndmask_b32_e64 v15, v15, v16, s[20:21]
	v_mul_f32_e32 v16, 0x3fb8aa3b, v14
	v_fma_f32 v17, v14, s93, -v16
	v_rndne_f32_e32 v21, v16
	v_fmac_f32_e32 v17, 0x32a5705f, v14
	v_sub_f32_e32 v16, v16, v21
	v_add_f32_e32 v16, v16, v17
	v_exp_f32_e32 v16, v16
	v_cvt_i32_f32_e32 v17, v21
	v_cmp_ngt_f32_e32 vcc, s22, v14
	v_cvt_f16_f32_e32 v15, v15
	v_ldexp_f32 v16, v16, v17
	v_cndmask_b32_e32 v16, 0, v16, vcc
	v_cmp_nlt_f32_e32 vcc, s73, v14
	v_cvt_f16_f32_e32 v17, v19
	s_nop 0
	v_cndmask_b32_e32 v16, v170, v16, vcc
	v_cmp_le_f32_e32 vcc, s23, v14
	s_nop 1
	v_cndmask_b32_e32 v14, 0, v16, vcc
	v_fmac_f32_e32 v20, v179, v14
	v_cvt_f16_f32_e32 v14, v14
	v_cvt_f16_f32_e32 v16, v182
	v_pk_mul_f16 v179, v14, v78 op_sel_hi:[0,1]
	v_pk_mul_f16 v78, v14, v79 op_sel_hi:[0,1]
	;; [unrolled: 1-line block ×8, first 2 shown]
	v_cvt_f16_f32_e32 v14, v18
	v_cvt_f16_f32_e32 v18, v184
	v_mov_b32_e32 v79, s91
	v_mov_b32_e32 v177, s90
	v_pack_b32_f16 v16, v14, v16
	v_cvt_f16_f32_e32 v14, v183
	v_cvt_f32_f16_e32 v178, v179
	v_cvt_f32_f16_sdwa v179, v179 dst_sel:DWORD dst_unused:UNUSED_PAD src0_sel:WORD_1
	v_pack_b32_f16 v17, v14, v17
	v_cvt_f16_f32_e32 v14, v181
	v_pack_b32_f16 v14, v14, v18
	v_cvt_f16_f32_e32 v18, v185
	v_pack_b32_f16 v15, v18, v15
	v_lshl_add_u64 v[18:19], v[34:35], 2, s[34:35]
	v_lshl_add_u64 v[18:19], v[18:19], 0, v[74:75]
	v_cndmask_b32_e64 v181, v79, v19, s[50:51]
	v_cndmask_b32_e64 v180, v177, v18, s[50:51]
	flat_load_dwordx4 v[180:183], v[180:181]
	v_lshl_add_u64 v[18:19], v[36:37], 2, s[34:35]
	v_lshl_add_u64 v[18:19], v[18:19], 0, v[74:75]
	v_cndmask_b32_e64 v19, v79, v19, s[4:5]
	v_cndmask_b32_e64 v18, v177, v18, s[4:5]
	s_waitcnt vmcnt(0) lgkmcnt(0)
	ds_write_b128 v88, v[180:183]
	flat_load_dwordx4 v[180:183], v[18:19]
	s_waitcnt vmcnt(0) lgkmcnt(0)
	ds_write_b128 v152, v[180:183]
	s_waitcnt lgkmcnt(0)
	s_barrier
	ds_read_u16 v3, v95 offset:144
	ds_read_u16 v4, v95 offset:288
	ds_read_u16 v5, v96
	ds_read_u16 v18, v96 offset:32
	v_cvt_f32_f16_e32 v180, v78
	v_cvt_f32_f16_sdwa v181, v78 dst_sel:DWORD dst_unused:UNUSED_PAD src0_sel:WORD_1
	s_waitcnt lgkmcnt(1)
	v_perm_b32 v5, v5, v4, s76
	ds_read_u16 v4, v94
	ds_read_u16 v19, v94 offset:32
	ds_read_u16 v75, v94 offset:4608
	;; [unrolled: 1-line block ×5, first 2 shown]
	s_waitcnt lgkmcnt(5)
	v_perm_b32 v4, v3, v4, s76
	s_nop 1
	v_mfma_f32_16x16x16_f16 v[178:181], v[4:5], v[16:17], v[178:181]
	s_nop 6
	v_cvt_f16_f32_e32 v4, v179
	v_cvt_f16_f32_e32 v5, v180
	;; [unrolled: 1-line block ×4, first 2 shown]
	v_cvt_f32_f16_e32 v179, v4
	v_cvt_f32_f16_e32 v180, v5
	s_waitcnt lgkmcnt(0)
	v_perm_b32 v5, v177, v79, s76
	v_perm_b32 v4, v78, v75, s76
	v_cvt_f32_f16_e32 v178, v3
	v_cvt_f32_f16_e32 v181, v74
	s_nop 1
	v_mfma_f32_16x16x16_f16 v[178:181], v[4:5], v[14:15], v[178:181]
	s_nop 6
	v_cvt_f16_f32_e32 v3, v178
	v_cvt_f16_f32_e32 v4, v179
	;; [unrolled: 1-line block ×4, first 2 shown]
	v_cvt_f32_f16_e32 v178, v174
	v_pack_b32_f16 v78, v3, v4
	ds_read_u16 v3, v154 offset:144
	ds_read_u16 v4, v154 offset:288
	v_pack_b32_f16 v79, v5, v74
	v_cvt_f32_f16_sdwa v179, v174 dst_sel:DWORD dst_unused:UNUSED_PAD src0_sel:WORD_1
	v_cvt_f32_f16_e32 v180, v173
	v_cvt_f32_f16_sdwa v181, v173 dst_sel:DWORD dst_unused:UNUSED_PAD src0_sel:WORD_1
	s_waitcnt lgkmcnt(0)
	v_perm_b32 v5, v18, v4, s76
	v_perm_b32 v4, v3, v19, s76
	ds_read_u16 v19, v97 offset:4608
	ds_read_u16 v74, v98 offset:144
	;; [unrolled: 1-line block ×4, first 2 shown]
	v_mfma_f32_16x16x16_f16 v[178:181], v[4:5], v[16:17], v[178:181]
	s_nop 6
	v_cvt_f16_f32_e32 v4, v179
	v_cvt_f16_f32_e32 v5, v180
	;; [unrolled: 1-line block ×4, first 2 shown]
	v_cvt_f32_f16_e32 v179, v4
	v_cvt_f32_f16_e32 v180, v5
	s_waitcnt lgkmcnt(0)
	v_perm_b32 v5, v173, v75, s76
	v_perm_b32 v4, v74, v19, s76
	v_cvt_f32_f16_e32 v178, v3
	v_cvt_f32_f16_e32 v181, v18
	s_nop 1
	v_mfma_f32_16x16x16_f16 v[178:181], v[4:5], v[14:15], v[178:181]
	s_nop 6
	v_cvt_f16_f32_e32 v3, v178
	v_cvt_f16_f32_e32 v4, v179
	;; [unrolled: 1-line block ×4, first 2 shown]
	v_cvt_f32_f16_e32 v178, v176
	v_pack_b32_f16 v174, v3, v4
	v_cvt_f32_f16_sdwa v179, v176 dst_sel:DWORD dst_unused:UNUSED_PAD src0_sel:WORD_1
	v_pack_b32_f16 v173, v5, v18
	ds_read_u16 v3, v94 offset:64
	ds_read_u16 v4, v156 offset:144
	;; [unrolled: 1-line block ×4, first 2 shown]
	v_cvt_f32_f16_e32 v180, v175
	v_cvt_f32_f16_sdwa v181, v175 dst_sel:DWORD dst_unused:UNUSED_PAD src0_sel:WORD_1
	s_waitcnt lgkmcnt(2)
	v_perm_b32 v4, v4, v3, s76
	ds_read_u16 v19, v100 offset:4608
	ds_read_u16 v74, v101 offset:144
	ds_read_u16 v75, v157 offset:288
	ds_read_u16 v175, v102 offset:4608
	s_waitcnt lgkmcnt(4)
	v_perm_b32 v5, v18, v5, s76
	s_nop 1
	v_mfma_f32_16x16x16_f16 v[176:179], v[4:5], v[16:17], v[178:181]
	s_nop 2
	v_cvt_f32_f16_e32 v180, v21
	v_cvt_f32_f16_sdwa v181, v21 dst_sel:DWORD dst_unused:UNUSED_PAD src0_sel:WORD_1
	s_nop 1
	v_cvt_f16_f32_e32 v4, v177
	v_cvt_f16_f32_e32 v5, v178
	;; [unrolled: 1-line block ×4, first 2 shown]
	v_cvt_f32_f16_e32 v177, v4
	v_cvt_f32_f16_e32 v178, v5
	s_waitcnt lgkmcnt(0)
	v_perm_b32 v5, v175, v75, s76
	v_perm_b32 v4, v74, v19, s76
	v_cvt_f32_f16_e32 v176, v3
	v_cvt_f32_f16_e32 v179, v18
	s_nop 1
	v_mfma_f32_16x16x16_f16 v[176:179], v[4:5], v[14:15], v[176:179]
	s_nop 6
	v_cvt_f16_f32_e32 v3, v176
	v_cvt_f16_f32_e32 v4, v177
	;; [unrolled: 1-line block ×4, first 2 shown]
	v_cvt_f32_f16_e32 v178, v51
	v_pack_b32_f16 v176, v3, v4
	v_cvt_f32_f16_sdwa v179, v51 dst_sel:DWORD dst_unused:UNUSED_PAD src0_sel:WORD_1
	v_pack_b32_f16 v175, v5, v18
	ds_read_u16 v3, v94 offset:96
	ds_read_u16 v4, v158 offset:144
	;; [unrolled: 1-line block ×8, first 2 shown]
	s_waitcnt lgkmcnt(0)
	v_perm_b32 v4, v4, v3, s76
	s_barrier
	v_perm_b32 v5, v18, v5, s76
	s_nop 1
	v_mfma_f32_16x16x16_f16 v[16:19], v[4:5], v[16:17], v[178:181]
	s_nop 6
	v_cvt_f16_f32_e32 v4, v17
	v_cvt_f16_f32_e32 v5, v18
	;; [unrolled: 1-line block ×4, first 2 shown]
	v_cvt_f32_f16_e32 v17, v4
	v_cvt_f32_f16_e32 v18, v5
	v_perm_b32 v5, v75, v74, s76
	v_perm_b32 v4, v51, v21, s76
	v_cvt_f32_f16_e32 v16, v3
	v_cvt_f32_f16_e32 v19, v19
	s_nop 1
	v_mfma_f32_16x16x16_f16 v[14:17], v[4:5], v[14:15], v[16:19]
	s_nop 6
	v_cvt_f16_f32_e32 v3, v14
	v_cvt_f16_f32_e32 v4, v15
	v_cvt_f16_f32_e32 v5, v16
	v_cvt_f16_f32_e32 v14, v17
	v_pack_b32_f16 v178, v3, v4
	v_pack_b32_f16 v177, v5, v14
	s_cbranch_scc0 .LBB0_52
; %bb.49:                               ;   in Loop: Header=BB0_40 Depth=2
	v_mov_b32_e32 v179, v20
	v_mov_b32_e32 v180, v1
	s_branch .LBB0_40
.LBB0_50:                               ;   in Loop: Header=BB0_14 Depth=1
	s_cbranch_execz .LBB0_13
	s_branch .LBB0_115
.LBB0_51:                               ;   in Loop: Header=BB0_14 Depth=1
	v_mov_b32_e32 v20, 0
	v_mov_b32_e32 v1, 0xfeffffff
	;; [unrolled: 1-line block ×9, first 2 shown]
.LBB0_52:                               ;   in Loop: Header=BB0_14 Depth=1
	s_lshl_b32 s94, s40, 6
	v_readlane_b32 s30, v191, 4
	v_cmp_eq_u64_e32 vcc, 0, v[52:53]
	s_mov_b32 s41, s95
	s_sub_i32 s52, s30, s94
	v_cmp_ne_u64_e64 s[36:37], 0, v[52:53]
	s_ashr_i32 s95, s94, 31
	v_readlane_b32 s31, v191, 5
	s_cbranch_vccnz .LBB0_62
; %bb.53:                               ;   in Loop: Header=BB0_14 Depth=1
	v_cmp_le_i32_e32 vcc, s52, v22
                                        ; implicit-def: $sgpr34
	s_and_saveexec_b64 s[30:31], vcc
	s_xor_b64 s[30:31], exec, s[30:31]
	s_cbranch_execz .LBB0_55
; %bb.54:                               ;   in Loop: Header=BB0_14 Depth=1
	ds_write_b16 v86, v2 offset:9216
	ds_write_b16 v138, v2 offset:9216
	s_mov_b32 s34, 0
.LBB0_55:                               ;   in Loop: Header=BB0_14 Depth=1
	s_or_saveexec_b64 s[30:31], s[30:31]
	s_lshl_b64 s[38:39], s[94:95], 1
	v_lshl_add_u64 v[4:5], v[52:53], 0, s[38:39]
	v_lshlrev_b32_e32 v14, 1, v22
	v_mov_b32_e32 v15, v2
	v_lshl_add_u64 v[4:5], v[4:5], 0, v[14:15]
	v_mov_b32_e32 v3, s34
	v_mov_b32_e32 v14, s34
	s_xor_b64 exec, exec, s[30:31]
	s_cbranch_execz .LBB0_57
; %bb.56:                               ;   in Loop: Header=BB0_14 Depth=1
	v_add_u32_e32 v3, s78, v80
	v_mul_hi_u32 v14, s86, v3
	v_add_u32_e32 v14, v3, v14
	v_lshrrev_b32_e32 v14, s87, v14
	v_mul_lo_u32 v14, v14, s72
	v_sub_u32_e32 v3, v3, v14
	v_mad_i64_i32 v[14:15], s[34:35], v3, s88, 0
	v_lshl_add_u64 v[14:15], v[14:15], 1, v[4:5]
	flat_load_ushort v3, v[14:15]
	v_add_u32_e32 v14, s78, v137
	v_mul_hi_u32 v15, s86, v14
	v_add_u32_e32 v15, v14, v15
	v_lshrrev_b32_e32 v15, s87, v15
	v_mul_lo_u32 v15, v15, s72
	v_sub_u32_e32 v14, v14, v15
	v_mad_i64_i32 v[14:15], s[34:35], v14, s88, 0
	v_lshl_add_u64 v[14:15], v[14:15], 1, v[4:5]
	flat_load_ushort v14, v[14:15]
	s_waitcnt vmcnt(0) lgkmcnt(0)
	ds_write_b16 v86, v3 offset:9216
	ds_write_b16 v138, v14 offset:9216
	v_add_u32_e32 v3, s78, v139
	v_mul_hi_u32 v14, s86, v3
	v_add_u32_e32 v14, v3, v14
	v_lshrrev_b32_e32 v14, s87, v14
	v_mul_lo_u32 v14, v14, s72
	v_sub_u32_e32 v3, v3, v14
	v_mad_i64_i32 v[14:15], s[34:35], v3, s88, 0
	v_lshl_add_u64 v[14:15], v[14:15], 1, v[4:5]
	flat_load_ushort v3, v[14:15]
	v_add_u32_e32 v14, s78, v141
	v_mul_hi_u32 v15, s86, v14
	v_add_u32_e32 v15, v14, v15
	v_lshrrev_b32_e32 v15, s87, v15
	v_mul_lo_u32 v15, v15, s72
	v_sub_u32_e32 v14, v14, v15
	v_mad_i64_i32 v[14:15], s[34:35], v14, s88, 0
	v_lshl_add_u64 v[14:15], v[14:15], 1, v[4:5]
	flat_load_ushort v14, v[14:15]
.LBB0_57:                               ;   in Loop: Header=BB0_14 Depth=1
	s_or_b64 exec, exec, s[30:31]
	s_waitcnt vmcnt(0) lgkmcnt(0)
	ds_write_b16 v140, v3 offset:9216
	ds_write_b16 v142, v14 offset:9216
                                        ; implicit-def: $sgpr34
	s_and_saveexec_b64 s[30:31], vcc
	s_xor_b64 s[30:31], exec, s[30:31]
	s_cbranch_execz .LBB0_59
; %bb.58:                               ;   in Loop: Header=BB0_14 Depth=1
	ds_write_b16 v144, v2 offset:9216
	ds_write_b16 v146, v2 offset:9216
	s_mov_b32 s34, 0
                                        ; implicit-def: $vgpr4_vgpr5
.LBB0_59:                               ;   in Loop: Header=BB0_14 Depth=1
	s_or_saveexec_b64 s[30:31], s[30:31]
	v_mov_b32_e32 v3, s34
	v_mov_b32_e32 v14, s34
	s_xor_b64 exec, exec, s[30:31]
	s_cbranch_execz .LBB0_61
; %bb.60:                               ;   in Loop: Header=BB0_14 Depth=1
	v_add_u32_e32 v3, s78, v143
	v_mul_hi_u32 v14, s86, v3
	v_add_u32_e32 v14, v3, v14
	v_lshrrev_b32_e32 v14, s87, v14
	v_mul_lo_u32 v14, v14, s72
	v_sub_u32_e32 v3, v3, v14
	v_mad_i64_i32 v[14:15], s[34:35], v3, s88, 0
	v_lshl_add_u64 v[14:15], v[14:15], 1, v[4:5]
	flat_load_ushort v3, v[14:15]
	v_add_u32_e32 v14, s78, v145
	v_mul_hi_u32 v15, s86, v14
	v_add_u32_e32 v15, v14, v15
	v_lshrrev_b32_e32 v15, s87, v15
	v_mul_lo_u32 v15, v15, s72
	v_sub_u32_e32 v14, v14, v15
	v_mad_i64_i32 v[14:15], s[34:35], v14, s88, 0
	v_lshl_add_u64 v[14:15], v[14:15], 1, v[4:5]
	flat_load_ushort v14, v[14:15]
	s_waitcnt vmcnt(0) lgkmcnt(0)
	ds_write_b16 v144, v3 offset:9216
	ds_write_b16 v146, v14 offset:9216
	v_add_u32_e32 v3, s78, v147
	v_mul_hi_u32 v14, s86, v3
	v_add_u32_e32 v14, v3, v14
	v_lshrrev_b32_e32 v14, s87, v14
	v_mul_lo_u32 v14, v14, s72
	v_sub_u32_e32 v3, v3, v14
	v_mad_i64_i32 v[14:15], s[34:35], v3, s88, 0
	v_lshl_add_u64 v[14:15], v[14:15], 1, v[4:5]
	flat_load_ushort v3, v[14:15]
	v_add_u32_e32 v14, s78, v149
	v_mul_hi_u32 v15, s86, v14
	v_add_u32_e32 v15, v14, v15
	v_lshrrev_b32_e32 v15, s87, v15
	v_mul_lo_u32 v15, v15, s72
	v_sub_u32_e32 v14, v14, v15
	v_mad_i64_i32 v[14:15], s[34:35], v14, s88, 0
	v_lshl_add_u64 v[4:5], v[14:15], 1, v[4:5]
	flat_load_ushort v14, v[4:5]
.LBB0_61:                               ;   in Loop: Header=BB0_14 Depth=1
	s_or_b64 exec, exec, s[30:31]
	s_waitcnt vmcnt(0) lgkmcnt(0)
	ds_write_b16 v148, v3 offset:9216
	ds_write_b16 v150, v14 offset:9216
.LBB0_62:                               ;   in Loop: Header=BB0_14 Depth=1
	s_mul_hi_i32 s31, s94, s74
	s_mul_i32 s30, s94, s74
	s_lshl_b64 s[30:31], s[30:31], 2
	s_add_u32 s34, s77, s30
	s_addc_u32 s35, s33, s31
	v_lshl_add_u64 v[14:15], v[28:29], 2, s[34:35]
	v_lshlrev_b32_e32 v16, 2, v26
	v_mov_b32_e32 v17, v2
	v_mov_b32_e32 v3, v2
	;; [unrolled: 1-line block ×4, first 2 shown]
	v_lshl_add_u64 v[14:15], v[14:15], 0, v[16:17]
	v_mov_b32_e32 v18, s91
	v_cmp_gt_i32_e64 s[30:31], s52, v87
	v_mov_b32_e32 v19, s90
	scratch_store_dwordx4 off, v[2:5], off
	v_cndmask_b32_e64 v15, v18, v15, s[30:31]
	v_cndmask_b32_e64 v14, v19, v14, s[30:31]
	flat_load_dwordx4 v[54:57], v[14:15]
	v_lshl_add_u64 v[14:15], v[30:31], 2, s[34:35]
	v_lshl_add_u64 v[14:15], v[14:15], 0, v[16:17]
	v_cmp_gt_i32_e64 s[34:35], s52, v151
	s_andn2_b64 vcc, exec, s[36:37]
	s_waitcnt vmcnt(0) lgkmcnt(0)
	ds_write_b128 v88, v[54:57]
	v_cndmask_b32_e64 v15, v18, v15, s[34:35]
	v_cndmask_b32_e64 v14, v19, v14, s[34:35]
	flat_load_dwordx4 v[54:57], v[14:15]
	v_add_u32_e32 v14, v33, v89
	v_add_u32_e32 v15, 0x1000, v14
	s_waitcnt vmcnt(0) lgkmcnt(0)
	ds_write_b128 v152, v[54:57]
	s_waitcnt lgkmcnt(0)
	s_barrier
	ds_read2_b64 v[54:57], v14 offset1:4
	ds_read2_b64 v[62:65], v15 offset0:64 offset1:68
	s_waitcnt lgkmcnt(1)
	v_mfma_f32_16x16x16_f16 v[58:61], v[54:55], v[10:11], 0
	s_waitcnt lgkmcnt(0)
	v_mfma_f32_16x16x16_f16 v[66:69], v[62:63], v[10:11], 0
	v_mfma_f32_16x16x16_f16 v[54:57], v[56:57], v[12:13], v[58:61]
	;; [unrolled: 1-line block ×3, first 2 shown]
	s_nop 2
	ds_read2_b64 v[58:61], v14 offset0:8 offset1:12
	ds_read2_b64 v[62:65], v15 offset0:72 offset1:76
	s_waitcnt lgkmcnt(0)
	v_mfma_f32_16x16x16_f16 v[54:57], v[58:59], v[6:7], v[54:57]
	s_barrier
	v_mfma_f32_16x16x16_f16 v[66:69], v[62:63], v[6:7], v[10:13]
	v_mfma_f32_16x16x16_f16 v[10:13], v[60:61], v[8:9], v[54:57]
	;; [unrolled: 1-line block ×3, first 2 shown]
	s_cbranch_vccnz .LBB0_64
; %bb.63:                               ;   in Loop: Header=BB0_14 Depth=1
	v_add_u32_e32 v14, 0x2400, v91
	ds_read2_b32 v[14:15], v14 offset1:1
	s_waitcnt lgkmcnt(0)
	v_cvt_f32_f16_e32 v18, v14
	v_cvt_f32_f16_sdwa v19, v14 dst_sel:DWORD dst_unused:UNUSED_PAD src0_sel:WORD_1
	v_cvt_f32_f16_e32 v14, v15
	v_cvt_f32_f16_sdwa v15, v15 dst_sel:DWORD dst_unused:UNUSED_PAD src0_sel:WORD_1
	v_pk_fma_f32 v[10:11], v[50:51], v[18:19], v[10:11] op_sel_hi:[0,1,1]
	ds_read_b32 v18, v115 offset:9216
	v_pk_fma_f32 v[12:13], v[50:51], v[14:15], v[12:13] op_sel_hi:[0,1,1]
	ds_read_b32 v14, v93 offset:9216
	s_waitcnt lgkmcnt(1)
	v_cvt_f32_f16_sdwa v19, v18 dst_sel:DWORD dst_unused:UNUSED_PAD src0_sel:WORD_1
	v_cvt_f32_f16_e32 v18, v18
	s_waitcnt lgkmcnt(0)
	v_cvt_f32_f16_sdwa v15, v14 dst_sel:DWORD dst_unused:UNUSED_PAD src0_sel:WORD_1
	v_cvt_f32_f16_e32 v14, v14
	v_pk_fma_f32 v[8:9], v[50:51], v[18:19], v[8:9] op_sel_hi:[0,1,1]
	v_pk_fma_f32 v[6:7], v[50:51], v[14:15], v[6:7] op_sel_hi:[0,1,1]
.LBB0_64:                               ;   in Loop: Header=BB0_14 Depth=1
	s_nop 4
	v_add_f32_e32 v14, 0x40051340, v10
	v_max_f32_e32 v15, v1, v1
	v_cmp_gt_u32_e64 s[48:49], s52, v90
	v_max_f32_e32 v14, v15, v14
	v_add_f32_e32 v15, 0x40051340, v11
	v_cndmask_b32_e64 v14, v1, v14, s[48:49]
	v_max_f32_e32 v18, v14, v14
	v_cmp_gt_u32_e64 s[46:47], s52, v160
	v_max_f32_e32 v15, v18, v15
	v_cmp_gt_u32_e64 s[44:45], s52, v161
	v_cndmask_b32_e64 v14, v14, v15, s[46:47]
	v_add_f32_e32 v15, 0x40051340, v12
	v_max_f32_e32 v18, v14, v14
	v_max_f32_e32 v15, v18, v15
	v_cndmask_b32_e64 v14, v14, v15, s[44:45]
	v_add_f32_e32 v15, 0x40051340, v13
	v_max_f32_e32 v18, v14, v14
	v_cmp_gt_u32_e64 s[42:43], s52, v162
	v_max_f32_e32 v15, v18, v15
	s_mov_b32 s95, s41
	v_cndmask_b32_e64 v14, v14, v15, s[42:43]
	v_add_f32_e32 v15, 0x40051340, v6
	v_max_f32_e32 v18, v14, v14
	v_cmp_gt_u32_e64 s[40:41], s52, v92
	v_max_f32_e32 v15, v18, v15
	v_cmp_gt_u32_e64 s[38:39], s52, v163
	v_cndmask_b32_e64 v14, v14, v15, s[40:41]
	v_add_f32_e32 v15, 0x40051340, v7
	v_max_f32_e32 v18, v14, v14
	v_max_f32_e32 v15, v18, v15
	v_cndmask_b32_e64 v14, v14, v15, s[38:39]
	v_add_f32_e32 v15, 0x40051340, v8
	v_max_f32_e32 v18, v14, v14
	v_cmp_gt_u32_e64 s[36:37], s52, v114
	v_max_f32_e32 v15, v18, v15
	v_cmp_gt_u32_e32 vcc, s52, v164
	v_cndmask_b32_e64 v14, v14, v15, s[36:37]
	v_add_f32_e32 v15, 0x40051340, v9
	v_max_f32_e32 v18, v14, v14
	v_max_f32_e32 v15, v18, v15
	v_cndmask_b32_e32 v14, v14, v15, vcc
	v_and_b32_e32 v15, 64, v172
	v_add_u32_e32 v18, 64, v15
	v_xor_b32_e32 v15, 32, v172
	v_cmp_lt_i32_e64 s[52:53], v15, v18
	v_cndmask_b32_e64 v12, v12, v12, s[46:47]
	v_cndmask_b32_e64 v13, v13, v13, s[46:47]
	;; [unrolled: 1-line block ×3, first 2 shown]
	v_lshlrev_b32_e32 v15, 2, v15
	ds_bpermute_b32 v19, v15, v14
	v_max_f32_e32 v14, v14, v14
	v_cndmask_b32_e64 v7, v7, v7, s[40:41]
	v_cndmask_b32_e64 v9, v9, v9, s[40:41]
	;; [unrolled: 1-line block ×3, first 2 shown]
	s_waitcnt lgkmcnt(0)
	v_max_f32_e32 v19, v19, v19
	v_max_f32_e32 v14, v14, v19
	v_xor_b32_e32 v19, 16, v172
	v_cmp_lt_i32_e64 s[52:53], v19, v18
	scratch_store_dwordx4 off, v[2:5], off
	s_nop 0
	v_cndmask_b32_e64 v18, v172, v19, s[52:53]
	v_lshlrev_b32_e32 v18, 2, v18
	ds_bpermute_b32 v19, v18, v14
	s_waitcnt lgkmcnt(0)
	v_max_f32_e32 v19, v19, v19
	v_max_f32_e32 v14, v14, v19
	v_sub_f32_e32 v10, v10, v14
	v_mul_f32_e32 v19, 0x3fb8aa3b, v10
	v_fma_f32 v21, v10, s93, -v19
	v_rndne_f32_e32 v51, v19
	v_fmac_f32_e32 v21, 0x32a5705f, v10
	v_sub_f32_e32 v19, v19, v51
	v_add_f32_e32 v19, v19, v21
	v_exp_f32_e32 v19, v19
	v_cvt_i32_f32_e32 v21, v51
	v_cmp_ngt_f32_e64 s[52:53], s22, v10
	v_sub_f32_e32 v11, v11, v14
	v_sub_f32_e32 v12, v12, v14
	v_ldexp_f32 v19, v19, v21
	v_cndmask_b32_e64 v19, 0, v19, s[52:53]
	v_cmp_nlt_f32_e64 s[52:53], s73, v10
	v_sub_f32_e32 v6, v6, v14
	v_sub_f32_e32 v7, v7, v14
	v_cndmask_b32_e64 v10, v170, v19, s[52:53]
	v_mul_f32_e32 v19, 0x3fb8aa3b, v11
	v_fma_f32 v21, v11, s93, -v19
	v_rndne_f32_e32 v51, v19
	v_fmac_f32_e32 v21, 0x32a5705f, v11
	v_sub_f32_e32 v19, v19, v51
	v_add_f32_e32 v19, v19, v21
	v_exp_f32_e32 v19, v19
	v_cvt_i32_f32_e32 v21, v51
	v_cndmask_b32_e64 v10, 0, v10, s[48:49]
	v_cmp_ngt_f32_e64 s[48:49], s22, v11
	v_sub_f32_e32 v1, v1, v14
	v_ldexp_f32 v19, v19, v21
	v_cndmask_b32_e64 v19, 0, v19, s[48:49]
	v_cmp_nlt_f32_e64 s[48:49], s73, v11
	v_mov_b32_e32 v11, s3
	s_nop 0
	v_cndmask_b32_e64 v19, v170, v19, s[48:49]
	v_add_f32_e32 v21, v19, v10
	v_cndmask_b32_e64 v56, v11, v19, s[46:47]
	v_mul_f32_e32 v19, 0x3fb8aa3b, v12
	v_cndmask_b32_e64 v11, v10, v21, s[46:47]
	v_fma_f32 v21, v12, s93, -v19
	v_rndne_f32_e32 v51, v19
	v_fmac_f32_e32 v21, 0x32a5705f, v12
	v_sub_f32_e32 v19, v19, v51
	v_add_f32_e32 v19, v19, v21
	v_exp_f32_e32 v19, v19
	v_cvt_i32_f32_e32 v21, v51
	v_cmp_ngt_f32_e64 s[46:47], s22, v12
	v_ldexp_f32 v19, v19, v21
	s_nop 0
	v_cndmask_b32_e64 v19, 0, v19, s[46:47]
	v_cmp_nlt_f32_e64 s[46:47], s73, v12
	v_mov_b32_e32 v12, s3
	s_nop 0
	v_cndmask_b32_e64 v19, v170, v19, s[46:47]
	v_add_f32_e32 v21, v11, v19
	v_cndmask_b32_e64 v57, v12, v19, s[44:45]
	v_cndmask_b32_e64 v12, v11, v21, s[44:45]
	v_sub_f32_e32 v11, v13, v14
	v_mul_f32_e32 v13, 0x3fb8aa3b, v11
	v_fma_f32 v19, v11, s93, -v13
	v_rndne_f32_e32 v21, v13
	v_fmac_f32_e32 v19, 0x32a5705f, v11
	v_sub_f32_e32 v13, v13, v21
	v_add_f32_e32 v13, v13, v19
	v_exp_f32_e32 v13, v13
	v_cvt_i32_f32_e32 v19, v21
	v_cmp_ngt_f32_e64 s[44:45], s22, v11
	v_ldexp_f32 v13, v13, v19
	s_nop 0
	v_cndmask_b32_e64 v13, 0, v13, s[44:45]
	v_cmp_nlt_f32_e64 s[44:45], s73, v11
	v_mov_b32_e32 v11, s3
	s_nop 0
	v_cndmask_b32_e64 v13, v170, v13, s[44:45]
	v_add_f32_e32 v19, v12, v13
	v_cndmask_b32_e64 v11, v11, v13, s[42:43]
	v_mul_f32_e32 v13, 0x3fb8aa3b, v6
	v_cndmask_b32_e64 v12, v12, v19, s[42:43]
	v_fma_f32 v19, v6, s93, -v13
	v_rndne_f32_e32 v21, v13
	v_fmac_f32_e32 v19, 0x32a5705f, v6
	v_sub_f32_e32 v13, v13, v21
	v_add_f32_e32 v13, v13, v19
	v_exp_f32_e32 v13, v13
	v_cvt_i32_f32_e32 v19, v21
	v_cmp_ngt_f32_e64 s[42:43], s22, v6
	v_ldexp_f32 v13, v13, v19
	s_nop 0
	v_cndmask_b32_e64 v13, 0, v13, s[42:43]
	v_cmp_nlt_f32_e64 s[42:43], s73, v6
	v_mov_b32_e32 v6, s3
	s_nop 0
	v_cndmask_b32_e64 v13, v170, v13, s[42:43]
	v_add_f32_e32 v19, v13, v12
	v_cndmask_b32_e64 v58, v6, v13, s[40:41]
	v_cndmask_b32_e64 v6, v12, v19, s[40:41]
	v_mul_f32_e32 v12, 0x3fb8aa3b, v7
	v_fma_f32 v13, v7, s93, -v12
	v_rndne_f32_e32 v19, v12
	v_fmac_f32_e32 v13, 0x32a5705f, v7
	v_sub_f32_e32 v12, v12, v19
	v_add_f32_e32 v12, v12, v13
	v_exp_f32_e32 v12, v12
	v_cvt_i32_f32_e32 v13, v19
	v_cmp_ngt_f32_e64 s[40:41], s22, v7
	v_ldexp_f32 v12, v12, v13
	s_nop 0
	v_cndmask_b32_e64 v12, 0, v12, s[40:41]
	v_cmp_nlt_f32_e64 s[40:41], s73, v7
	v_mov_b32_e32 v7, s3
	s_nop 0
	v_cndmask_b32_e64 v12, v170, v12, s[40:41]
	v_add_f32_e32 v13, v12, v6
	v_cndmask_b32_e64 v59, v7, v12, s[38:39]
	v_cndmask_b32_e64 v7, v6, v13, s[38:39]
	v_sub_f32_e32 v6, v8, v14
	v_mul_f32_e32 v8, 0x3fb8aa3b, v6
	v_fma_f32 v12, v6, s93, -v8
	v_rndne_f32_e32 v13, v8
	v_fmac_f32_e32 v12, 0x32a5705f, v6
	v_sub_f32_e32 v8, v8, v13
	v_add_f32_e32 v8, v8, v12
	v_exp_f32_e32 v8, v8
	v_cvt_i32_f32_e32 v12, v13
	v_cmp_ngt_f32_e64 s[38:39], s22, v6
	v_ldexp_f32 v8, v8, v12
	s_nop 0
	v_cndmask_b32_e64 v8, 0, v8, s[38:39]
	v_cmp_nlt_f32_e64 s[38:39], s73, v6
	v_mov_b32_e32 v6, s3
	s_nop 0
	v_cndmask_b32_e64 v8, v170, v8, s[38:39]
	v_add_f32_e32 v12, v8, v7
	v_cndmask_b32_e64 v60, v6, v8, s[36:37]
	v_cndmask_b32_e64 v6, v7, v12, s[36:37]
	v_sub_f32_e32 v7, v9, v14
	v_mul_f32_e32 v8, 0x3fb8aa3b, v7
	v_fma_f32 v9, v7, s93, -v8
	v_rndne_f32_e32 v12, v8
	v_fmac_f32_e32 v9, 0x32a5705f, v7
	v_sub_f32_e32 v8, v8, v12
	v_add_f32_e32 v8, v8, v9
	v_exp_f32_e32 v8, v8
	v_cvt_i32_f32_e32 v9, v12
	v_cmp_ngt_f32_e64 s[36:37], s22, v7
	v_readlane_b32 s38, v191, 52
	v_readlane_b32 s39, v191, 53
	v_ldexp_f32 v8, v8, v9
	v_cndmask_b32_e64 v8, 0, v8, s[36:37]
	v_cmp_nlt_f32_e64 s[36:37], s73, v7
	v_mov_b32_e32 v7, s3
	s_nop 0
	v_cndmask_b32_e64 v8, v170, v8, s[36:37]
	v_add_f32_e32 v9, v8, v6
	v_cndmask_b32_e32 v13, v6, v9, vcc
	v_mul_f32_e32 v6, 0x3fb8aa3b, v1
	v_cndmask_b32_e32 v7, v7, v8, vcc
	v_fma_f32 v8, v1, s93, -v6
	v_rndne_f32_e32 v9, v6
	v_fmac_f32_e32 v8, 0x32a5705f, v1
	v_sub_f32_e32 v6, v6, v9
	v_add_f32_e32 v6, v6, v8
	v_exp_f32_e32 v6, v6
	v_cvt_i32_f32_e32 v8, v9
	v_cmp_ngt_f32_e32 vcc, s22, v1
	v_cvt_f16_f32_e32 v9, v11
	v_cvt_f16_f32_e32 v7, v7
	v_ldexp_f32 v6, v6, v8
	v_cndmask_b32_e32 v6, 0, v6, vcc
	v_cmp_nlt_f32_e32 vcc, s73, v1
	v_cvt_f16_f32_e32 v8, v56
	s_mul_hi_i32 s37, s94, s54
	v_cndmask_b32_e32 v6, v170, v6, vcc
	v_cmp_le_f32_e32 vcc, s23, v1
	s_mul_i32 s36, s94, s54
	s_lshl_b64 s[36:37], s[36:37], 2
	v_cndmask_b32_e32 v1, 0, v6, vcc
	v_cvt_f16_f32_e32 v6, v1
	v_fmac_f32_e32 v13, v20, v1
	s_add_u32 s36, s79, s36
	s_addc_u32 s37, s89, s37
	v_pk_mul_f16 v55, v6, v78 op_sel_hi:[0,1]
	v_pk_mul_f16 v1, v6, v79 op_sel_hi:[0,1]
	;; [unrolled: 1-line block ×8, first 2 shown]
	v_cvt_f16_f32_e32 v6, v10
	v_cvt_f16_f32_e32 v10, v59
	v_mov_b32_e32 v59, s90
	s_cmp_eq_u64 s[98:99], 0
	v_pack_b32_f16 v8, v6, v8
	v_cvt_f16_f32_e32 v6, v57
	v_pack_b32_f16 v9, v6, v9
	v_cvt_f16_f32_e32 v6, v58
	v_mov_b32_e32 v58, s91
	v_pack_b32_f16 v6, v6, v10
	v_cvt_f16_f32_e32 v10, v60
	v_pack_b32_f16 v7, v10, v7
	v_lshl_add_u64 v[10:11], v[34:35], 2, s[36:37]
	v_lshl_add_u64 v[10:11], v[10:11], 0, v[16:17]
	v_cndmask_b32_e64 v57, v58, v11, s[30:31]
	v_cndmask_b32_e64 v56, v59, v10, s[30:31]
	v_lshl_add_u64 v[10:11], v[36:37], 2, s[36:37]
	v_lshl_add_u64 v[10:11], v[10:11], 0, v[16:17]
	v_cndmask_b32_e64 v11, v58, v11, s[34:35]
	v_cndmask_b32_e64 v10, v59, v10, s[34:35]
	flat_load_dwordx4 v[56:59], v[56:57]
	s_cselect_b64 s[30:31], -1, 0
	s_xor_b64 s[34:35], s[38:39], -1
	s_or_b64 s[30:31], s[34:35], s[30:31]
	s_waitcnt vmcnt(0) lgkmcnt(0)
	ds_write_b128 v88, v[56:59]
	flat_load_dwordx4 v[56:59], v[10:11]
	s_waitcnt vmcnt(0) lgkmcnt(0)
	ds_write_b128 v152, v[56:59]
	s_waitcnt lgkmcnt(0)
	s_barrier
	ds_read_u16 v3, v95 offset:144
	ds_read_u16 v4, v95 offset:288
	v_cvt_f32_f16_e32 v58, v1
	v_cvt_f32_f16_sdwa v59, v1 dst_sel:DWORD dst_unused:UNUSED_PAD src0_sel:WORD_1
	ds_read_u16 v1, v96
	ds_read_u16 v10, v96 offset:32
	v_cvt_f32_f16_e32 v56, v55
	v_cvt_f32_f16_sdwa v57, v55 dst_sel:DWORD dst_unused:UNUSED_PAD src0_sel:WORD_1
	s_waitcnt lgkmcnt(1)
	v_perm_b32 v5, v1, v4, s76
	ds_read_u16 v1, v94
	ds_read_u16 v16, v94 offset:32
	ds_read_u16 v11, v94 offset:4608
	;; [unrolled: 1-line block ×5, first 2 shown]
	s_waitcnt lgkmcnt(5)
	v_perm_b32 v4, v3, v1, s76
	s_nop 1
	v_mfma_f32_16x16x16_f16 v[56:59], v[4:5], v[8:9], v[56:59]
	s_nop 6
	v_cvt_f16_f32_e32 v4, v58
	v_cvt_f16_f32_e32 v5, v59
	;; [unrolled: 1-line block ×4, first 2 shown]
	v_cvt_f32_f16_e32 v58, v4
	v_cvt_f32_f16_e32 v59, v5
	s_waitcnt lgkmcnt(0)
	v_perm_b32 v5, v60, v55, s76
	v_perm_b32 v4, v17, v11, s76
	v_cvt_f32_f16_e32 v56, v1
	v_cvt_f32_f16_e32 v57, v3
	s_nop 1
	v_mfma_f32_16x16x16_f16 v[56:59], v[4:5], v[6:7], v[56:59]
	s_nop 6
	v_cvt_f16_f32_e32 v1, v56
	v_cvt_f16_f32_e32 v3, v57
	;; [unrolled: 1-line block ×4, first 2 shown]
	v_cvt_f32_f16_e32 v56, v54
	v_pack_b32_f16 v4, v1, v3
	v_cvt_f32_f16_sdwa v57, v54 dst_sel:DWORD dst_unused:UNUSED_PAD src0_sel:WORD_1
	v_pack_b32_f16 v1, v5, v11
	ds_read_u16 v3, v154 offset:144
	ds_read_u16 v5, v154 offset:288
	v_cvt_f32_f16_e32 v58, v51
	v_cvt_f32_f16_sdwa v59, v51 dst_sel:DWORD dst_unused:UNUSED_PAD src0_sel:WORD_1
	s_waitcnt lgkmcnt(0)
	v_perm_b32 v11, v10, v5, s76
	v_perm_b32 v10, v3, v16, s76
	s_nop 1
	v_mfma_f32_16x16x16_f16 v[54:57], v[10:11], v[8:9], v[56:59]
	ds_read_u16 v16, v97 offset:4608
	ds_read_u16 v17, v98 offset:144
	;; [unrolled: 1-line block ×4, first 2 shown]
	s_nop 2
	v_cvt_f16_f32_e32 v10, v56
	v_cvt_f16_f32_e32 v11, v57
	;; [unrolled: 1-line block ×4, first 2 shown]
	v_cvt_f32_f16_e32 v56, v10
	v_cvt_f32_f16_e32 v57, v11
	s_waitcnt lgkmcnt(0)
	v_perm_b32 v11, v58, v51, s76
	v_perm_b32 v10, v17, v16, s76
	v_cvt_f32_f16_e32 v54, v3
	v_cvt_f32_f16_e32 v55, v5
	s_nop 1
	v_mfma_f32_16x16x16_f16 v[54:57], v[10:11], v[6:7], v[54:57]
	s_nop 6
	v_cvt_f16_f32_e32 v3, v54
	v_cvt_f16_f32_e32 v5, v55
	;; [unrolled: 1-line block ×4, first 2 shown]
	v_cvt_f32_f16_e32 v54, v21
	v_pack_b32_f16 v10, v3, v5
	v_cvt_f32_f16_sdwa v55, v21 dst_sel:DWORD dst_unused:UNUSED_PAD src0_sel:WORD_1
	v_pack_b32_f16 v3, v11, v16
	ds_read_u16 v5, v94 offset:64
	ds_read_u16 v11, v156 offset:144
	;; [unrolled: 1-line block ×4, first 2 shown]
	v_cvt_f32_f16_e32 v56, v12
	v_cvt_f32_f16_sdwa v57, v12 dst_sel:DWORD dst_unused:UNUSED_PAD src0_sel:WORD_1
	s_waitcnt lgkmcnt(0)
	v_perm_b32 v17, v17, v16, s76
	v_perm_b32 v16, v11, v5, s76
	s_nop 1
	v_mfma_f32_16x16x16_f16 v[54:57], v[16:17], v[8:9], v[54:57]
	ds_read_u16 v21, v100 offset:4608
	ds_read_u16 v51, v101 offset:144
	;; [unrolled: 1-line block ×4, first 2 shown]
	s_nop 2
	v_cvt_f16_f32_e32 v16, v57
	v_cvt_f16_f32_e32 v5, v54
	;; [unrolled: 1-line block ×4, first 2 shown]
	v_cvt_f32_f16_e32 v57, v16
	s_waitcnt lgkmcnt(0)
	v_perm_b32 v17, v58, v17, s76
	v_perm_b32 v16, v51, v21, s76
	v_cvt_f32_f16_e32 v54, v5
	v_cvt_f32_f16_e32 v55, v11
	;; [unrolled: 1-line block ×3, first 2 shown]
	s_nop 1
	v_mfma_f32_16x16x16_f16 v[54:57], v[16:17], v[6:7], v[54:57]
	s_nop 6
	v_cvt_f16_f32_e32 v5, v54
	v_cvt_f16_f32_e32 v11, v55
	;; [unrolled: 1-line block ×4, first 2 shown]
	v_cvt_f32_f16_e32 v54, v20
	v_pack_b32_f16 v12, v5, v11
	v_cvt_f32_f16_sdwa v55, v20 dst_sel:DWORD dst_unused:UNUSED_PAD src0_sel:WORD_1
	v_pack_b32_f16 v5, v16, v17
	ds_read_u16 v11, v94 offset:96
	ds_read_u16 v16, v158 offset:144
	;; [unrolled: 1-line block ×4, first 2 shown]
	v_cvt_f32_f16_e32 v56, v19
	v_cvt_f32_f16_sdwa v57, v19 dst_sel:DWORD dst_unused:UNUSED_PAD src0_sel:WORD_1
	s_waitcnt lgkmcnt(2)
	v_perm_b32 v16, v16, v11, s76
	s_waitcnt lgkmcnt(0)
	v_perm_b32 v17, v21, v17, s76
	s_nop 1
	v_mfma_f32_16x16x16_f16 v[54:57], v[16:17], v[8:9], v[54:57]
	ds_read_u16 v17, v103 offset:4608
	ds_read_u16 v19, v104 offset:144
	;; [unrolled: 1-line block ×4, first 2 shown]
	s_waitcnt lgkmcnt(0)
	s_barrier
	s_nop 0
	v_cvt_f16_f32_e32 v8, v54
	v_cvt_f16_f32_e32 v9, v55
	;; [unrolled: 1-line block ×4, first 2 shown]
	v_cvt_f32_f16_e32 v54, v8
	v_cvt_f32_f16_e32 v55, v9
	v_perm_b32 v9, v21, v20, s76
	v_perm_b32 v8, v19, v17, s76
	v_cvt_f32_f16_e32 v56, v11
	v_cvt_f32_f16_e32 v57, v16
	s_nop 1
	v_mfma_f32_16x16x16_f16 v[6:9], v[8:9], v[6:7], v[54:57]
	s_nop 6
	v_cvt_f16_f32_e32 v6, v6
	v_cvt_f16_f32_e32 v7, v7
	;; [unrolled: 1-line block ×4, first 2 shown]
	v_pack_b32_f16 v6, v6, v7
	v_pack_b32_f16 v7, v8, v9
	ds_bpermute_b32 v8, v15, v13
	s_waitcnt lgkmcnt(0)
	v_add_f32_e32 v8, v13, v8
	ds_bpermute_b32 v9, v18, v8
	s_waitcnt lgkmcnt(0)
	v_add_f32_e32 v15, v8, v9
	s_and_saveexec_b64 s[34:35], s[30:31]
	s_xor_b64 s[30:31], exec, s[34:35]
	s_andn2_saveexec_b64 s[30:31], s[30:31]
	s_cbranch_execz .LBB0_66
; %bb.65:                               ;   in Loop: Header=BB0_14 Depth=1
	global_load_dword v9, v2, s[98:99]
	v_max_f32_e32 v11, v14, v14
	s_waitcnt vmcnt(0)
	v_max_f32_e32 v8, v9, v9
	v_max_f32_e32 v8, v11, v8
	v_sub_f32_e32 v11, v14, v8
	v_mul_f32_e32 v13, 0x3fb8aa3b, v11
	v_fma_f32 v14, v11, s93, -v13
	v_rndne_f32_e32 v16, v13
	v_fmac_f32_e32 v14, 0x32a5705f, v11
	v_sub_f32_e32 v13, v13, v16
	v_add_f32_e32 v13, v13, v14
	v_exp_f32_e32 v13, v13
	v_cvt_i32_f32_e32 v14, v16
	v_cmp_ngt_f32_e32 vcc, s22, v11
	v_sub_f32_e32 v9, v9, v8
	v_ldexp_f32 v13, v13, v14
	v_cndmask_b32_e32 v13, 0, v13, vcc
	v_cmp_nlt_f32_e32 vcc, s73, v11
	s_nop 1
	v_cndmask_b32_e32 v13, v170, v13, vcc
	v_cmp_le_f32_e32 vcc, s23, v11
	s_nop 1
	v_cndmask_b32_e32 v11, 0, v13, vcc
	v_cvt_f16_f32_e32 v13, v11
	v_cmp_ngt_f32_e32 vcc, s22, v9
	v_pk_mul_f16 v4, v13, v4 op_sel_hi:[0,1]
	v_pk_mul_f16 v1, v13, v1 op_sel_hi:[0,1]
	;; [unrolled: 1-line block ×8, first 2 shown]
	v_mul_f32_e32 v13, 0x3fb8aa3b, v9
	v_fma_f32 v14, v9, s93, -v13
	v_rndne_f32_e32 v16, v13
	v_fmac_f32_e32 v14, 0x32a5705f, v9
	v_sub_f32_e32 v13, v13, v16
	v_add_f32_e32 v13, v13, v14
	v_exp_f32_e32 v13, v13
	v_cvt_i32_f32_e32 v14, v16
	v_ldexp_f32 v13, v13, v14
	v_cndmask_b32_e32 v13, 0, v13, vcc
	v_cmp_nlt_f32_e32 vcc, s73, v9
	s_nop 1
	v_cndmask_b32_e32 v9, v170, v13, vcc
	v_fmac_f32_e32 v9, v15, v11
	v_mov_b64_e32 v[14:15], v[8:9]
.LBB0_66:                               ;   in Loop: Header=BB0_14 Depth=1
	s_or_b64 exec, exec, s[30:31]
	s_mov_b64 s[30:31], exec
	v_readlane_b32 s34, v191, 56
	v_readlane_b32 s35, v191, 57
	s_and_b64 s[34:35], s[30:31], s[34:35]
	s_mov_b64 exec, s[34:35]
	s_cbranch_execz .LBB0_68
; %bb.67:                               ;   in Loop: Header=BB0_14 Depth=1
	v_add_u32_e32 v8, 0, v117
	ds_write2_b32 v8, v14, v15 offset0:32 offset1:33
.LBB0_68:                               ;   in Loop: Header=BB0_14 Depth=1
	s_or_b64 exec, exec, s[30:31]
	s_waitcnt lgkmcnt(0)
	s_barrier
	s_mov_b64 s[30:31], exec
	v_readlane_b32 s34, v191, 54
	v_readlane_b32 s35, v191, 55
	s_and_b64 s[34:35], s[30:31], s[34:35]
	s_xor_b64 s[30:31], s[34:35], s[30:31]
	s_mov_b64 exec, s[34:35]
	s_cbranch_execz .LBB0_70
; %bb.69:                               ;   in Loop: Header=BB0_14 Depth=1
	s_barrier
	s_waitcnt lgkmcnt(0)
                                        ; implicit-def: $vgpr18
.LBB0_70:                               ;   in Loop: Header=BB0_14 Depth=1
	s_andn2_saveexec_b64 s[30:31], s[30:31]
	s_cbranch_execz .LBB0_76
; %bb.71:                               ;   in Loop: Header=BB0_14 Depth=1
	v_add_u32_e32 v9, 0, v118
	ds_read_b64 v[16:17], v9 offset:128
	s_waitcnt lgkmcnt(0)
	s_barrier
	ds_bpermute_b32 v8, v18, v16
	v_max_f32_e32 v11, v16, v16
	s_waitcnt lgkmcnt(0)
	v_max_f32_e32 v8, v8, v8
	v_max_f32_e32 v8, v11, v8
	v_sub_f32_e32 v11, v16, v8
	v_mul_f32_e32 v13, 0x3fb8aa3b, v11
	v_fma_f32 v14, v11, s93, -v13
	v_rndne_f32_e32 v15, v13
	v_fmac_f32_e32 v14, 0x32a5705f, v11
	v_sub_f32_e32 v13, v13, v15
	v_add_f32_e32 v13, v13, v14
	v_cvt_i32_f32_e32 v15, v15
	v_exp_f32_e32 v13, v13
	v_cmp_ngt_f32_e32 vcc, s22, v11
	v_ldexp_f32 v13, v13, v15
	s_nop 0
	v_cndmask_b32_e32 v13, 0, v13, vcc
	v_cmp_nlt_f32_e32 vcc, s73, v11
	s_nop 1
	v_cndmask_b32_e32 v14, v170, v13, vcc
	v_mul_f32_e32 v11, v17, v14
	ds_bpermute_b32 v15, v18, v11
	s_waitcnt lgkmcnt(0)
	v_fmac_f32_e32 v15, v17, v14
	s_mov_b64 s[34:35], exec
	v_readlane_b32 s36, v191, 58
	v_readlane_b32 s37, v191, 59
	s_and_b64 s[36:37], s[34:35], s[36:37]
	s_mov_b64 exec, s[36:37]
	s_cbranch_execz .LBB0_73
; %bb.72:                               ;   in Loop: Header=BB0_14 Depth=1
	ds_write_b64 v9, v[14:15] offset:128
.LBB0_73:                               ;   in Loop: Header=BB0_14 Depth=1
	s_or_b64 exec, exec, s[34:35]
	s_mov_b64 s[34:35], exec
	v_readlane_b32 s36, v191, 56
	v_readlane_b32 s37, v191, 57
	s_and_b64 s[36:37], s[34:35], s[36:37]
	s_mov_b64 exec, s[36:37]
	s_cbranch_execz .LBB0_75
; %bb.74:                               ;   in Loop: Header=BB0_14 Depth=1
	v_mov_b32_e32 v9, v15
	global_store_dwordx2 v[38:39], v[8:9], off
.LBB0_75:                               ;   in Loop: Header=BB0_14 Depth=1
	s_or_b64 exec, exec, s[34:35]
.LBB0_76:                               ;   in Loop: Header=BB0_14 Depth=1
	s_or_b64 exec, exec, s[30:31]
	ds_write2_b32 v119, v4, v1 offset1:1
	ds_write2_b32 v119, v10, v3 offset0:8 offset1:9
	ds_write2_b32 v119, v12, v5 offset0:16 offset1:17
	;; [unrolled: 1-line block ×3, first 2 shown]
	s_waitcnt lgkmcnt(0)
	s_barrier
	s_and_saveexec_b64 s[30:31], s[38:39]
	s_cbranch_execz .LBB0_114
; %bb.77:                               ;   in Loop: Header=BB0_14 Depth=1
	v_add_u32_e32 v3, s78, v106
	v_cmp_gt_i32_e32 vcc, s72, v3
	v_mov_b32_e32 v1, 0x47
	s_and_saveexec_b64 s[34:35], vcc
	s_cbranch_execz .LBB0_79
; %bb.78:                               ;   in Loop: Header=BB0_14 Depth=1
	v_readlane_b32 s36, v191, 42
	s_nop 1
	v_mul_lo_u32 v1, s36, v3
	v_add_u32_e32 v3, 0, v121
	v_add_u32_e32 v3, 0x80, v3
	ds_read2st64_b32 v[4:5], v3 offset1:9
	ds_read2st64_b32 v[6:7], v122 offset1:9
	v_or_b32_e32 v8, v1, v32
	v_readlane_b32 s36, v191, 63
	v_ashrrev_i32_e32 v9, 31, v8
	v_readlane_b32 s37, v190, 0
	s_waitcnt lgkmcnt(0)
	v_cvt_f32_f16_sdwa v11, v6 dst_sel:DWORD dst_unused:UNUSED_PAD src0_sel:WORD_1
	v_cvt_f32_f16_e32 v10, v6
	v_cvt_f32_f16_sdwa v13, v7 dst_sel:DWORD dst_unused:UNUSED_PAD src0_sel:WORD_1
	v_cvt_f32_f16_e32 v12, v7
	v_lshl_add_u64 v[8:9], v[8:9], 3, s[36:37]
	v_pk_fma_f32 v[10:11], v[4:5], v[10:11], 0 op_sel_hi:[0,1,0]
	v_mov_b32_e32 v4, v5
	v_pk_fma_f32 v[4:5], v[4:5], v[12:13], v[10:11] op_sel_hi:[0,1,1]
	v_mov_b32_e32 v1, 0
	global_store_dwordx2 v[8:9], v[4:5], off
.LBB0_79:                               ;   in Loop: Header=BB0_14 Depth=1
	s_or_b64 exec, exec, s[34:35]
	s_movk_i32 s34, 0x47
	v_cmp_gt_i32_e32 vcc, s34, v1
	s_mov_b64 s[34:35], -1
	s_and_saveexec_b64 s[36:37], vcc
; %bb.80:                               ;   in Loop: Header=BB0_14 Depth=1
	v_cmp_eq_u32_e32 vcc, 0, v1
	s_orn2_b64 s[34:35], vcc, exec
; %bb.81:                               ;   in Loop: Header=BB0_14 Depth=1
	s_or_b64 exec, exec, s[36:37]
	s_and_b64 exec, exec, s[34:35]
	s_cbranch_execz .LBB0_114
; %bb.82:                               ;   in Loop: Header=BB0_14 Depth=1
	v_add_u32_e32 v3, s78, v107
	v_cmp_gt_i32_e32 vcc, s72, v3
	v_mov_b32_e32 v1, 0x47
	s_and_saveexec_b64 s[34:35], vcc
	s_cbranch_execz .LBB0_84
; %bb.83:                               ;   in Loop: Header=BB0_14 Depth=1
	v_readlane_b32 s36, v191, 42
	s_nop 1
	v_mul_lo_u32 v1, s36, v3
	v_add_u32_e32 v3, 0, v123
	v_add_u32_e32 v3, 0x80, v3
	ds_read2st64_b32 v[4:5], v3 offset1:9
	ds_read2st64_b32 v[6:7], v124 offset1:9
	v_or_b32_e32 v8, v1, v32
	v_readlane_b32 s36, v191, 63
	v_ashrrev_i32_e32 v9, 31, v8
	v_readlane_b32 s37, v190, 0
	s_waitcnt lgkmcnt(0)
	v_cvt_f32_f16_sdwa v11, v6 dst_sel:DWORD dst_unused:UNUSED_PAD src0_sel:WORD_1
	v_cvt_f32_f16_e32 v10, v6
	v_cvt_f32_f16_sdwa v13, v7 dst_sel:DWORD dst_unused:UNUSED_PAD src0_sel:WORD_1
	v_cvt_f32_f16_e32 v12, v7
	v_lshl_add_u64 v[8:9], v[8:9], 3, s[36:37]
	v_pk_fma_f32 v[10:11], v[4:5], v[10:11], 0 op_sel_hi:[0,1,0]
	v_mov_b32_e32 v4, v5
	v_pk_fma_f32 v[4:5], v[4:5], v[12:13], v[10:11] op_sel_hi:[0,1,1]
	v_mov_b32_e32 v1, 0
	global_store_dwordx2 v[8:9], v[4:5], off
.LBB0_84:                               ;   in Loop: Header=BB0_14 Depth=1
	s_or_b64 exec, exec, s[34:35]
	s_movk_i32 s34, 0x47
	v_cmp_gt_i32_e32 vcc, s34, v1
	s_mov_b64 s[34:35], -1
	s_and_saveexec_b64 s[36:37], vcc
; %bb.85:                               ;   in Loop: Header=BB0_14 Depth=1
	v_cmp_eq_u32_e32 vcc, 0, v1
	s_orn2_b64 s[34:35], vcc, exec
; %bb.86:                               ;   in Loop: Header=BB0_14 Depth=1
	s_or_b64 exec, exec, s[36:37]
	s_and_b64 exec, exec, s[34:35]
	;; [unrolled: 42-line block ×4, first 2 shown]
	s_cbranch_execz .LBB0_114
; %bb.97:                               ;   in Loop: Header=BB0_14 Depth=1
	v_add_u32_e32 v3, s78, v110
	v_cmp_gt_i32_e32 vcc, s72, v3
	v_mov_b32_e32 v1, 0x47
	s_and_saveexec_b64 s[34:35], vcc
	s_cbranch_execz .LBB0_99
; %bb.98:                               ;   in Loop: Header=BB0_14 Depth=1
	v_readlane_b32 s36, v191, 42
	s_nop 1
	v_mul_lo_u32 v1, s36, v3
	v_add_u32_e32 v3, 0, v129
	v_add_u32_e32 v3, 0x80, v3
	ds_read2st64_b32 v[4:5], v3 offset1:9
	ds_read2st64_b32 v[6:7], v130 offset1:9
	v_or_b32_e32 v8, v1, v32
	v_readlane_b32 s36, v191, 63
	v_ashrrev_i32_e32 v9, 31, v8
	v_readlane_b32 s37, v190, 0
	s_waitcnt lgkmcnt(0)
	v_cvt_f32_f16_sdwa v11, v6 dst_sel:DWORD dst_unused:UNUSED_PAD src0_sel:WORD_1
	v_cvt_f32_f16_e32 v10, v6
	v_cvt_f32_f16_sdwa v13, v7 dst_sel:DWORD dst_unused:UNUSED_PAD src0_sel:WORD_1
	v_cvt_f32_f16_e32 v12, v7
	v_lshl_add_u64 v[8:9], v[8:9], 3, s[36:37]
	v_pk_fma_f32 v[10:11], v[4:5], v[10:11], 0 op_sel_hi:[0,1,0]
	v_mov_b32_e32 v4, v5
	v_pk_fma_f32 v[4:5], v[4:5], v[12:13], v[10:11] op_sel_hi:[0,1,1]
	v_mov_b32_e32 v1, 0
	global_store_dwordx2 v[8:9], v[4:5], off
.LBB0_99:                               ;   in Loop: Header=BB0_14 Depth=1
	s_or_b64 exec, exec, s[34:35]
	s_movk_i32 s34, 0x47
	v_cmp_gt_i32_e32 vcc, s34, v1
	s_mov_b64 s[34:35], -1
	s_and_saveexec_b64 s[36:37], vcc
; %bb.100:                              ;   in Loop: Header=BB0_14 Depth=1
	v_cmp_eq_u32_e32 vcc, 0, v1
	s_orn2_b64 s[34:35], vcc, exec
; %bb.101:                              ;   in Loop: Header=BB0_14 Depth=1
	s_or_b64 exec, exec, s[36:37]
	s_and_b64 exec, exec, s[34:35]
	s_cbranch_execz .LBB0_114
; %bb.102:                              ;   in Loop: Header=BB0_14 Depth=1
	v_add_u32_e32 v3, s78, v111
	v_cmp_gt_i32_e32 vcc, s72, v3
	v_mov_b32_e32 v1, 0x47
	s_and_saveexec_b64 s[34:35], vcc
	s_cbranch_execz .LBB0_104
; %bb.103:                              ;   in Loop: Header=BB0_14 Depth=1
	v_readlane_b32 s36, v191, 42
	s_nop 1
	v_mul_lo_u32 v1, s36, v3
	v_add_u32_e32 v3, 0, v131
	v_add_u32_e32 v3, 0x80, v3
	ds_read2st64_b32 v[4:5], v3 offset1:9
	ds_read2st64_b32 v[6:7], v132 offset1:9
	v_or_b32_e32 v8, v1, v32
	v_readlane_b32 s36, v191, 63
	v_ashrrev_i32_e32 v9, 31, v8
	v_readlane_b32 s37, v190, 0
	s_waitcnt lgkmcnt(0)
	v_cvt_f32_f16_sdwa v11, v6 dst_sel:DWORD dst_unused:UNUSED_PAD src0_sel:WORD_1
	v_cvt_f32_f16_e32 v10, v6
	v_cvt_f32_f16_sdwa v13, v7 dst_sel:DWORD dst_unused:UNUSED_PAD src0_sel:WORD_1
	v_cvt_f32_f16_e32 v12, v7
	v_lshl_add_u64 v[8:9], v[8:9], 3, s[36:37]
	v_pk_fma_f32 v[10:11], v[4:5], v[10:11], 0 op_sel_hi:[0,1,0]
	v_mov_b32_e32 v4, v5
	v_pk_fma_f32 v[4:5], v[4:5], v[12:13], v[10:11] op_sel_hi:[0,1,1]
	v_mov_b32_e32 v1, 0
	global_store_dwordx2 v[8:9], v[4:5], off
.LBB0_104:                              ;   in Loop: Header=BB0_14 Depth=1
	s_or_b64 exec, exec, s[34:35]
	s_movk_i32 s34, 0x47
	v_cmp_gt_i32_e32 vcc, s34, v1
	s_mov_b64 s[34:35], -1
	s_and_saveexec_b64 s[36:37], vcc
; %bb.105:                              ;   in Loop: Header=BB0_14 Depth=1
	v_cmp_eq_u32_e32 vcc, 0, v1
	s_orn2_b64 s[34:35], vcc, exec
; %bb.106:                              ;   in Loop: Header=BB0_14 Depth=1
	s_or_b64 exec, exec, s[36:37]
	s_and_b64 exec, exec, s[34:35]
	s_cbranch_execz .LBB0_114
; %bb.107:                              ;   in Loop: Header=BB0_14 Depth=1
	v_add_u32_e32 v3, s78, v112
	v_cmp_gt_i32_e32 vcc, s72, v3
	v_mov_b32_e32 v1, 0x47
	s_and_saveexec_b64 s[34:35], vcc
	s_cbranch_execz .LBB0_109
; %bb.108:                              ;   in Loop: Header=BB0_14 Depth=1
	v_readlane_b32 s36, v191, 42
	s_nop 1
	v_mul_lo_u32 v1, s36, v3
	v_add_u32_e32 v3, 0, v133
	v_add_u32_e32 v3, 0x80, v3
	ds_read2st64_b32 v[4:5], v3 offset1:9
	ds_read2st64_b32 v[6:7], v134 offset1:9
	v_or_b32_e32 v8, v1, v32
	v_readlane_b32 s36, v191, 63
	v_ashrrev_i32_e32 v9, 31, v8
	v_readlane_b32 s37, v190, 0
	s_waitcnt lgkmcnt(0)
	v_cvt_f32_f16_sdwa v11, v6 dst_sel:DWORD dst_unused:UNUSED_PAD src0_sel:WORD_1
	v_cvt_f32_f16_e32 v10, v6
	v_cvt_f32_f16_sdwa v13, v7 dst_sel:DWORD dst_unused:UNUSED_PAD src0_sel:WORD_1
	v_cvt_f32_f16_e32 v12, v7
	v_lshl_add_u64 v[8:9], v[8:9], 3, s[36:37]
	v_pk_fma_f32 v[10:11], v[4:5], v[10:11], 0 op_sel_hi:[0,1,0]
	v_mov_b32_e32 v4, v5
	v_pk_fma_f32 v[4:5], v[4:5], v[12:13], v[10:11] op_sel_hi:[0,1,1]
	v_mov_b32_e32 v1, 0
	global_store_dwordx2 v[8:9], v[4:5], off
.LBB0_109:                              ;   in Loop: Header=BB0_14 Depth=1
	s_or_b64 exec, exec, s[34:35]
	s_movk_i32 s34, 0x47
	v_cmp_gt_i32_e32 vcc, s34, v1
	s_mov_b64 s[34:35], -1
	s_and_saveexec_b64 s[36:37], vcc
; %bb.110:                              ;   in Loop: Header=BB0_14 Depth=1
	v_cmp_eq_u32_e32 vcc, 0, v1
	s_orn2_b64 s[34:35], vcc, exec
; %bb.111:                              ;   in Loop: Header=BB0_14 Depth=1
	s_or_b64 exec, exec, s[36:37]
	s_and_b64 exec, exec, s[34:35]
	s_cbranch_execz .LBB0_114
; %bb.112:                              ;   in Loop: Header=BB0_14 Depth=1
	v_add_u32_e32 v1, s78, v113
	v_cmp_gt_i32_e32 vcc, s72, v1
	s_and_b64 exec, exec, vcc
	s_cbranch_execz .LBB0_114
; %bb.113:                              ;   in Loop: Header=BB0_14 Depth=1
	v_add_u32_e32 v3, 0, v135
	v_add_u32_e32 v3, 0x80, v3
	ds_read2st64_b32 v[4:5], v3 offset1:9
	ds_read2st64_b32 v[6:7], v136 offset1:9
	v_readlane_b32 s34, v191, 42
	s_waitcnt lgkmcnt(0)
	v_cvt_f32_f16_sdwa v11, v6 dst_sel:DWORD dst_unused:UNUSED_PAD src0_sel:WORD_1
	v_cvt_f32_f16_e32 v10, v6
	v_cvt_f32_f16_sdwa v13, v7 dst_sel:DWORD dst_unused:UNUSED_PAD src0_sel:WORD_1
	v_cvt_f32_f16_e32 v12, v7
	v_mul_lo_u32 v1, s34, v1
	v_or_b32_e32 v8, v1, v32
	v_readlane_b32 s34, v191, 63
	v_ashrrev_i32_e32 v9, 31, v8
	v_readlane_b32 s35, v190, 0
	v_pk_fma_f32 v[10:11], v[4:5], v[10:11], 0 op_sel_hi:[0,1,0]
	v_mov_b32_e32 v4, v5
	v_lshl_add_u64 v[8:9], v[8:9], 3, s[34:35]
	v_pk_fma_f32 v[4:5], v[4:5], v[12:13], v[10:11] op_sel_hi:[0,1,1]
	global_store_dwordx2 v[8:9], v[4:5], off
.LBB0_114:                              ;   in Loop: Header=BB0_14 Depth=1
	s_or_b64 exec, exec, s[30:31]
	s_barrier
	s_branch .LBB0_13
.LBB0_115:                              ;   in Loop: Header=BB0_14 Depth=1
	s_lshl_b32 s94, s29, 5
	v_add_u32_e32 v1, s94, v27
	v_cmp_le_i32_e32 vcc, s72, v1
	s_and_saveexec_b64 s[30:31], vcc
	s_xor_b64 s[30:31], exec, s[30:31]
	s_cbranch_execz .LBB0_117
; %bb.116:                              ;   in Loop: Header=BB0_14 Depth=1
	ds_write_b32 v120, v2
                                        ; implicit-def: $vgpr1
.LBB0_117:                              ;   in Loop: Header=BB0_14 Depth=1
	s_andn2_saveexec_b64 s[30:31], s[30:31]
	s_cbranch_execz .LBB0_119
; %bb.118:                              ;   in Loop: Header=BB0_14 Depth=1
	v_mad_u64_u32 v[4:5], s[34:35], v1, s95, v[32:33]
	v_ashrrev_i32_e32 v5, 31, v4
	v_lshl_add_u64 v[4:5], v[4:5], 3, s[26:27]
	global_load_dwordx2 v[4:5], v[4:5], off
	s_waitcnt vmcnt(0)
	v_cvt_f16_f32_e32 v1, v4
	v_cvt_f16_f32_e32 v3, v5
	v_pack_b32_f16 v1, v1, v3
	v_pk_mul_f16 v1, v23, v1
	ds_write_b32 v120, v1
.LBB0_119:                              ;   in Loop: Header=BB0_14 Depth=1
	s_or_b64 exec, exec, s[30:31]
	v_add_u32_e32 v1, s94, v165
	v_cmp_le_i32_e32 vcc, s72, v1
	s_and_saveexec_b64 s[30:31], vcc
	s_xor_b64 s[30:31], exec, s[30:31]
	s_cbranch_execz .LBB0_121
; %bb.120:                              ;   in Loop: Header=BB0_14 Depth=1
	ds_write_b32 v120, v2 offset:1152
                                        ; implicit-def: $vgpr1
.LBB0_121:                              ;   in Loop: Header=BB0_14 Depth=1
	s_andn2_saveexec_b64 s[30:31], s[30:31]
	s_cbranch_execz .LBB0_123
; %bb.122:                              ;   in Loop: Header=BB0_14 Depth=1
	v_mad_u64_u32 v[4:5], s[34:35], v1, s95, v[32:33]
	v_ashrrev_i32_e32 v5, 31, v4
	v_lshl_add_u64 v[4:5], v[4:5], 3, s[26:27]
	global_load_dwordx2 v[4:5], v[4:5], off
	s_waitcnt vmcnt(0)
	v_cvt_f16_f32_e32 v1, v4
	v_cvt_f16_f32_e32 v3, v5
	v_pack_b32_f16 v1, v1, v3
	v_pk_mul_f16 v1, v23, v1
	ds_write_b32 v120, v1 offset:1152
.LBB0_123:                              ;   in Loop: Header=BB0_14 Depth=1
	s_or_b64 exec, exec, s[30:31]
	v_add_u32_e32 v1, s94, v166
	v_cmp_le_i32_e32 vcc, s72, v1
	s_and_saveexec_b64 s[30:31], vcc
	s_xor_b64 s[30:31], exec, s[30:31]
	s_cbranch_execz .LBB0_125
; %bb.124:                              ;   in Loop: Header=BB0_14 Depth=1
	ds_write_b32 v120, v2 offset:2304
                                        ; implicit-def: $vgpr1
.LBB0_125:                              ;   in Loop: Header=BB0_14 Depth=1
	s_andn2_saveexec_b64 s[30:31], s[30:31]
	s_cbranch_execz .LBB0_127
; %bb.126:                              ;   in Loop: Header=BB0_14 Depth=1
	v_mad_u64_u32 v[4:5], s[34:35], v1, s95, v[32:33]
	v_ashrrev_i32_e32 v5, 31, v4
	v_lshl_add_u64 v[4:5], v[4:5], 3, s[26:27]
	global_load_dwordx2 v[4:5], v[4:5], off
	s_waitcnt vmcnt(0)
	v_cvt_f16_f32_e32 v1, v4
	v_cvt_f16_f32_e32 v3, v5
	v_pack_b32_f16 v1, v1, v3
	v_pk_mul_f16 v1, v23, v1
	ds_write_b32 v120, v1 offset:2304
.LBB0_127:                              ;   in Loop: Header=BB0_14 Depth=1
	;; [unrolled: 24-line block ×3, first 2 shown]
	s_or_b64 exec, exec, s[30:31]
	s_waitcnt lgkmcnt(0)
	s_barrier
	ds_read2_b64 v[10:13], v85 offset1:4
	ds_read2_b64 v[6:9], v85 offset0:8 offset1:12
	s_mov_b32 s29, 0
	s_cmp_lt_i32 s92, 2
	v_mov_b32_e32 v181, 0
	v_cmp_ne_u64_e64 s[30:31], 0, v[52:53]
	s_waitcnt lgkmcnt(0)
	s_barrier
	s_cbranch_scc1 .LBB0_142
; %bb.132:                              ;   in Loop: Header=BB0_14 Depth=1
	v_add_u32_e32 v1, s94, v80
	v_mul_hi_u32 v3, s86, v1
	v_add_u32_e32 v3, v1, v3
	v_lshrrev_b32_e32 v3, s87, v3
	v_mul_lo_u32 v3, v3, s72
	v_sub_u32_e32 v1, v1, v3
	v_add_u32_e32 v3, s94, v137
	v_mul_hi_u32 v4, s86, v3
	v_add_u32_e32 v4, v3, v4
	v_lshrrev_b32_e32 v4, s87, v4
	v_mul_lo_u32 v4, v4, s72
	v_sub_u32_e32 v3, v3, v4
	;; [unrolled: 6-line block ×7, first 2 shown]
	v_add_u32_e32 v17, s94, v149
	v_mul_hi_u32 v18, s86, v17
	v_add_u32_e32 v18, v17, v18
	v_lshrrev_b32_e32 v18, s87, v18
	v_mul_lo_u32 v18, v18, s72
	s_add_i32 s29, s92, -1
	v_sub_u32_e32 v17, v17, v18
	v_and_b32_e32 v18, 64, v172
	v_readlane_b32 s26, v190, 1
	v_readlane_b32 s27, v190, 2
	v_add_u32_e32 v18, 64, v18
	v_xor_b32_e32 v19, 32, v172
	s_add_u32 s26, s26, s27
	v_cmp_lt_i32_e32 vcc, v19, v18
	s_addc_u32 s27, s2, s24
	v_readlane_b32 s2, v190, 3
	v_readlane_b32 s24, v190, 4
	v_cndmask_b32_e32 v19, v172, v19, vcc
	s_add_u32 s24, s2, s24
	v_lshlrev_b32_e32 v173, 2, v19
	v_xor_b32_e32 v19, 16, v172
	s_addc_u32 s25, s25, s28
	v_cmp_lt_i32_e32 vcc, v19, v18
	v_lshl_add_u64 v[60:61], v[46:47], 0, s[24:25]
	v_lshl_add_u64 v[62:63], v[48:49], 0, s[24:25]
	v_readlane_b32 s24, v191, 60
	v_cndmask_b32_e32 v18, v172, v19, vcc
	v_readlane_b32 s25, v191, 61
	s_mov_b32 s2, s24
	v_mov_b32_e32 v175, 0
	v_lshlrev_b32_e32 v174, 2, v18
	v_mov_b32_e32 v54, v50
	v_mov_b32_e32 v55, v50
	v_lshl_add_u64 v[56:57], v[42:43], 0, s[26:27]
	v_lshl_add_u64 v[58:59], v[44:45], 0, s[26:27]
	v_mad_i64_i32 v[64:65], s[24:25], s2, v5, v[52:53]
	v_mad_i64_i32 v[66:67], s[24:25], s2, v4, v[52:53]
	;; [unrolled: 1-line block ×8, first 2 shown]
	v_mov_b32_e32 v183, 0
	v_mov_b32_e32 v184, 0xfeffffff
	s_mov_b32 s2, s29
	v_mov_b32_e32 v176, 0
	v_mov_b32_e32 v178, 0
	;; [unrolled: 1-line block ×7, first 2 shown]
	v_cndmask_b32_e64 v1, 0, 1, s[30:31]
	v_cmp_ne_u32_e64 s[34:35], 1, v1
	s_andn2_b64 vcc, exec, s[30:31]
	s_cbranch_vccnz .LBB0_138
.LBB0_133:                              ;   in Loop: Header=BB0_14 Depth=1
                                        ; implicit-def: $sgpr24
	s_and_saveexec_b64 s[26:27], s[0:1]
	s_xor_b64 s[26:27], exec, s[26:27]
	s_cbranch_execz .LBB0_135
; %bb.134:                              ;   in Loop: Header=BB0_14 Depth=1
	ds_write_b16 v86, v2 offset:9216
	ds_write_b16 v138, v2 offset:9216
	;; [unrolled: 1-line block ×4, first 2 shown]
	s_mov_b32 s24, 0
.LBB0_135:                              ;   in Loop: Header=BB0_14 Depth=1
	s_or_saveexec_b64 s[26:27], s[26:27]
	v_mov_b32_e32 v1, s24
	v_mov_b32_e32 v3, s24
	;; [unrolled: 1-line block ×4, first 2 shown]
	s_xor_b64 exec, exec, s[26:27]
	s_cbranch_execz .LBB0_137
; %bb.136:                              ;   in Loop: Header=BB0_14 Depth=1
	v_lshl_add_u64 v[4:5], v[70:71], 0, v[24:25]
	flat_load_ushort v1, v[4:5]
	v_lshl_add_u64 v[4:5], v[68:69], 0, v[24:25]
	flat_load_ushort v3, v[4:5]
	;; [unrolled: 2-line block ×4, first 2 shown]
	s_waitcnt vmcnt(0) lgkmcnt(0)
	ds_write_b16 v86, v1 offset:9216
	ds_write_b16 v138, v3 offset:9216
	;; [unrolled: 1-line block ×4, first 2 shown]
	v_lshl_add_u64 v[4:5], v[78:79], 0, v[24:25]
	flat_load_ushort v1, v[4:5]
	v_lshl_add_u64 v[4:5], v[76:77], 0, v[24:25]
	flat_load_ushort v3, v[4:5]
	v_lshl_add_u64 v[4:5], v[74:75], 0, v[24:25]
	v_lshl_add_u64 v[14:15], v[72:73], 0, v[24:25]
	flat_load_ushort v4, v[4:5]
	s_nop 0
	flat_load_ushort v5, v[14:15]
.LBB0_137:                              ;   in Loop: Header=BB0_14 Depth=1
	s_or_b64 exec, exec, s[26:27]
	s_waitcnt vmcnt(0) lgkmcnt(0)
	ds_write_b16 v144, v1 offset:9216
	ds_write_b16 v146, v3 offset:9216
	;; [unrolled: 1-line block ×4, first 2 shown]
.LBB0_138:                              ;   Parent Loop BB0_14 Depth=1
                                        ; =>  This Inner Loop Header: Depth=2
	v_mov_b32_e32 v3, v2
	v_mov_b32_e32 v4, v2
	;; [unrolled: 1-line block ×3, first 2 shown]
	v_lshl_add_u64 v[14:15], v[60:61], 0, v[40:41]
	v_mov_b32_e32 v1, s91
	v_mov_b32_e32 v18, s90
	scratch_store_dwordx4 off, v[2:5], off
	v_cndmask_b32_e64 v15, v1, v15, s[50:51]
	v_cndmask_b32_e64 v14, v18, v14, s[50:51]
	flat_load_dwordx4 v[14:17], v[14:15]
	s_and_b64 vcc, exec, s[34:35]
	s_waitcnt vmcnt(0) lgkmcnt(0)
	ds_write_b128 v88, v[14:17]
	v_lshl_add_u64 v[14:15], v[62:63], 0, v[40:41]
	v_cndmask_b32_e64 v15, v1, v15, s[4:5]
	v_cndmask_b32_e64 v14, v18, v14, s[4:5]
	flat_load_dwordx4 v[14:17], v[14:15]
	v_add_u32_e32 v1, v33, v89
	s_waitcnt vmcnt(0) lgkmcnt(0)
	ds_write_b128 v152, v[14:17]
	s_waitcnt lgkmcnt(0)
	s_barrier
	ds_read2_b64 v[14:17], v1 offset1:4
	s_waitcnt lgkmcnt(0)
	v_mfma_f32_16x16x16_f16 v[18:21], v[14:15], v[10:11], 0
	v_mfma_f32_16x16x16_f16 v[14:17], v[16:17], v[12:13], v[18:21]
	s_nop 5
	ds_read2_b64 v[18:21], v1 offset0:8 offset1:12
	s_waitcnt lgkmcnt(0)
	v_mfma_f32_16x16x16_f16 v[14:17], v[18:19], v[6:7], v[14:17]
	v_add_u32_e32 v1, 0x1000, v1
	v_mfma_f32_16x16x16_f16 v[18:21], v[20:21], v[8:9], v[14:17]
	s_nop 4
	ds_read2_b64 v[14:17], v1 offset0:64 offset1:68
	s_waitcnt lgkmcnt(0)
	v_mfma_f32_16x16x16_f16 v[186:189], v[14:15], v[10:11], 0
	v_mfma_f32_16x16x16_f16 v[14:17], v[16:17], v[12:13], v[186:189]
	s_nop 5
	ds_read2_b64 v[186:189], v1 offset0:72 offset1:76
	s_waitcnt lgkmcnt(0)
	v_mfma_f32_16x16x16_f16 v[14:17], v[186:187], v[6:7], v[14:17]
	s_barrier
	v_mfma_f32_16x16x16_f16 v[14:17], v[188:189], v[8:9], v[14:17]
	s_cbranch_vccnz .LBB0_140
; %bb.139:                              ;   in Loop: Header=BB0_138 Depth=2
	v_add_u32_e32 v1, 0x2400, v91
	ds_read2_b32 v[186:187], v1 offset1:1
	ds_read_b32 v1, v93 offset:9216
	v_mov_b32_e32 v51, v50
	s_waitcnt lgkmcnt(1)
	v_cvt_f32_f16_e32 v188, v186
	v_cvt_f32_f16_sdwa v189, v186 dst_sel:DWORD dst_unused:UNUSED_PAD src0_sel:WORD_1
	v_cvt_f32_f16_e32 v186, v187
	v_cvt_f32_f16_sdwa v187, v187 dst_sel:DWORD dst_unused:UNUSED_PAD src0_sel:WORD_1
	v_pk_fma_f32 v[18:19], v[54:55], v[188:189], v[18:19]
	v_pk_fma_f32 v[20:21], v[50:51], v[186:187], v[20:21]
	s_waitcnt lgkmcnt(0)
	v_cvt_f32_f16_sdwa v187, v1 dst_sel:DWORD dst_unused:UNUSED_PAD src0_sel:WORD_1
	v_cvt_f32_f16_e32 v186, v1
	ds_read_b32 v1, v115 offset:9216
	v_pk_fma_f32 v[14:15], v[54:55], v[186:187], v[14:15]
	s_waitcnt lgkmcnt(0)
	v_cvt_f32_f16_sdwa v189, v1 dst_sel:DWORD dst_unused:UNUSED_PAD src0_sel:WORD_1
	v_cvt_f32_f16_e32 v188, v1
	v_pk_fma_f32 v[16:17], v[50:51], v[188:189], v[16:17]
.LBB0_140:                              ;   in Loop: Header=BB0_138 Depth=2
	v_add_f32_e32 v1, 0x40051340, v18
	v_max_f32_e32 v51, v184, v184
	v_max_f32_e32 v1, v51, v1
	v_cndmask_b32_e64 v1, v184, v1, s[6:7]
	v_add_f32_e32 v51, 0x40051340, v19
	v_max_f32_e32 v185, v1, v1
	v_max_f32_e32 v51, v185, v51
	v_cndmask_b32_e64 v1, v1, v51, s[8:9]
	;; [unrolled: 4-line block ×8, first 2 shown]
	ds_bpermute_b32 v51, v173, v1
	v_max_f32_e32 v1, v1, v1
	v_cndmask_b32_e64 v20, v20, v20, s[8:9]
	v_cndmask_b32_e64 v21, v21, v21, s[8:9]
	;; [unrolled: 1-line block ×3, first 2 shown]
	s_waitcnt lgkmcnt(0)
	v_max_f32_e32 v51, v51, v51
	v_max_f32_e32 v1, v1, v51
	ds_bpermute_b32 v51, v174, v1
	v_cndmask_b32_e64 v16, v16, v16, s[14:15]
	v_cndmask_b32_e64 v17, v17, v17, s[14:15]
	scratch_store_dwordx4 off, v[2:5], off
	s_add_i32 s2, s2, -1
	s_waitcnt lgkmcnt(0)
	v_max_f32_e32 v51, v51, v51
	v_max_f32_e32 v1, v1, v51
	v_sub_f32_e32 v18, v18, v1
	v_mul_f32_e32 v51, 0x3fb8aa3b, v18
	v_fma_f32 v185, v18, s93, -v51
	v_rndne_f32_e32 v186, v51
	v_fmac_f32_e32 v185, 0x32a5705f, v18
	v_sub_f32_e32 v51, v51, v186
	v_add_f32_e32 v51, v51, v185
	v_exp_f32_e32 v51, v51
	v_cvt_i32_f32_e32 v185, v186
	v_cmp_ngt_f32_e32 vcc, s22, v18
	v_sub_f32_e32 v19, v19, v1
	v_sub_f32_e32 v20, v20, v1
	v_ldexp_f32 v51, v51, v185
	v_cndmask_b32_e32 v51, 0, v51, vcc
	v_cmp_nlt_f32_e32 vcc, s73, v18
	v_sub_f32_e32 v14, v14, v1
	v_sub_f32_e32 v15, v15, v1
	v_cndmask_b32_e32 v18, v170, v51, vcc
	v_mul_f32_e32 v51, 0x3fb8aa3b, v19
	v_fma_f32 v185, v19, s93, -v51
	v_rndne_f32_e32 v186, v51
	v_fmac_f32_e32 v185, 0x32a5705f, v19
	v_sub_f32_e32 v51, v51, v186
	v_add_f32_e32 v51, v51, v185
	v_exp_f32_e32 v51, v51
	v_cvt_i32_f32_e32 v185, v186
	v_cmp_ngt_f32_e32 vcc, s22, v19
	v_cndmask_b32_e64 v18, 0, v18, s[6:7]
	v_lshl_add_u64 v[60:61], v[60:61], 0, s[82:83]
	v_ldexp_f32 v51, v51, v185
	v_cndmask_b32_e32 v51, 0, v51, vcc
	v_cmp_nlt_f32_e32 vcc, s73, v19
	v_mov_b32_e32 v19, s3
	v_lshl_add_u64 v[62:63], v[62:63], 0, s[82:83]
	v_cndmask_b32_e32 v51, v170, v51, vcc
	v_add_f32_e32 v185, v51, v18
	v_cndmask_b32_e64 v186, v19, v51, s[8:9]
	v_mul_f32_e32 v51, 0x3fb8aa3b, v20
	v_cndmask_b32_e64 v19, v18, v185, s[8:9]
	v_fma_f32 v185, v20, s93, -v51
	v_rndne_f32_e32 v187, v51
	v_fmac_f32_e32 v185, 0x32a5705f, v20
	v_sub_f32_e32 v51, v51, v187
	v_add_f32_e32 v51, v51, v185
	v_exp_f32_e32 v51, v51
	v_cvt_i32_f32_e32 v185, v187
	v_cmp_ngt_f32_e32 vcc, s22, v20
	v_lshl_add_u64 v[64:65], v[64:65], 0, s[84:85]
	v_lshl_add_u64 v[66:67], v[66:67], 0, s[84:85]
	v_ldexp_f32 v51, v51, v185
	v_cndmask_b32_e32 v51, 0, v51, vcc
	v_cmp_nlt_f32_e32 vcc, s73, v20
	v_mov_b32_e32 v20, s3
	v_lshl_add_u64 v[68:69], v[68:69], 0, s[84:85]
	v_cndmask_b32_e32 v51, v170, v51, vcc
	v_add_f32_e32 v185, v19, v51
	v_cndmask_b32_e64 v187, v20, v51, s[10:11]
	v_cndmask_b32_e64 v20, v19, v185, s[10:11]
	v_sub_f32_e32 v19, v21, v1
	v_mul_f32_e32 v21, 0x3fb8aa3b, v19
	v_fma_f32 v51, v19, s93, -v21
	v_rndne_f32_e32 v185, v21
	v_fmac_f32_e32 v51, 0x32a5705f, v19
	v_sub_f32_e32 v21, v21, v185
	v_add_f32_e32 v21, v21, v51
	v_exp_f32_e32 v21, v21
	v_cvt_i32_f32_e32 v51, v185
	v_cmp_ngt_f32_e32 vcc, s22, v19
	v_lshl_add_u64 v[70:71], v[70:71], 0, s[84:85]
	v_lshl_add_u64 v[72:73], v[72:73], 0, s[84:85]
	v_ldexp_f32 v21, v21, v51
	v_cndmask_b32_e32 v21, 0, v21, vcc
	v_cmp_nlt_f32_e32 vcc, s73, v19
	v_mov_b32_e32 v19, s3
	v_lshl_add_u64 v[74:75], v[74:75], 0, s[84:85]
	v_cndmask_b32_e32 v21, v170, v21, vcc
	v_add_f32_e32 v51, v20, v21
	v_cndmask_b32_e64 v19, v19, v21, s[12:13]
	v_mul_f32_e32 v21, 0x3fb8aa3b, v14
	v_cndmask_b32_e64 v20, v20, v51, s[12:13]
	v_fma_f32 v51, v14, s93, -v21
	v_rndne_f32_e32 v185, v21
	v_fmac_f32_e32 v51, 0x32a5705f, v14
	v_sub_f32_e32 v21, v21, v185
	v_add_f32_e32 v21, v21, v51
	v_exp_f32_e32 v21, v21
	v_cvt_i32_f32_e32 v51, v185
	v_cmp_ngt_f32_e32 vcc, s22, v14
	v_lshl_add_u64 v[76:77], v[76:77], 0, s[84:85]
	v_lshl_add_u64 v[78:79], v[78:79], 0, s[84:85]
	v_ldexp_f32 v21, v21, v51
	v_cndmask_b32_e32 v21, 0, v21, vcc
	v_cmp_nlt_f32_e32 vcc, s73, v14
	v_mov_b32_e32 v14, s3
	s_cmp_lg_u32 s2, 0
	v_cndmask_b32_e32 v21, v170, v21, vcc
	v_add_f32_e32 v51, v21, v20
	v_cndmask_b32_e64 v185, v14, v21, s[14:15]
	v_cndmask_b32_e64 v14, v20, v51, s[14:15]
	v_mul_f32_e32 v20, 0x3fb8aa3b, v15
	v_fma_f32 v21, v15, s93, -v20
	v_rndne_f32_e32 v51, v20
	v_fmac_f32_e32 v21, 0x32a5705f, v15
	v_sub_f32_e32 v20, v20, v51
	v_add_f32_e32 v20, v20, v21
	v_exp_f32_e32 v20, v20
	v_cvt_i32_f32_e32 v21, v51
	v_cmp_ngt_f32_e32 vcc, s22, v15
	v_ldexp_f32 v20, v20, v21
	s_nop 0
	v_cndmask_b32_e32 v20, 0, v20, vcc
	v_cmp_nlt_f32_e32 vcc, s73, v15
	v_mov_b32_e32 v15, s3
	s_nop 0
	v_cndmask_b32_e32 v20, v170, v20, vcc
	v_add_f32_e32 v21, v20, v14
	v_cndmask_b32_e64 v188, v15, v20, s[16:17]
	v_cndmask_b32_e64 v15, v14, v21, s[16:17]
	v_sub_f32_e32 v14, v16, v1
	v_mul_f32_e32 v16, 0x3fb8aa3b, v14
	v_fma_f32 v20, v14, s93, -v16
	v_rndne_f32_e32 v21, v16
	v_fmac_f32_e32 v20, 0x32a5705f, v14
	v_sub_f32_e32 v16, v16, v21
	v_add_f32_e32 v16, v16, v20
	v_exp_f32_e32 v16, v16
	v_cvt_i32_f32_e32 v20, v21
	v_cmp_ngt_f32_e32 vcc, s22, v14
	v_ldexp_f32 v16, v16, v20
	s_nop 0
	v_cndmask_b32_e32 v16, 0, v16, vcc
	v_cmp_nlt_f32_e32 vcc, s73, v14
	v_mov_b32_e32 v14, s3
	s_nop 0
	v_cndmask_b32_e32 v16, v170, v16, vcc
	v_add_f32_e32 v20, v16, v15
	v_cndmask_b32_e64 v189, v14, v16, s[18:19]
	v_cndmask_b32_e64 v14, v15, v20, s[18:19]
	v_sub_f32_e32 v15, v17, v1
	v_mul_f32_e32 v16, 0x3fb8aa3b, v15
	v_fma_f32 v17, v15, s93, -v16
	v_rndne_f32_e32 v20, v16
	v_fmac_f32_e32 v17, 0x32a5705f, v15
	v_sub_f32_e32 v16, v16, v20
	v_add_f32_e32 v16, v16, v17
	v_exp_f32_e32 v16, v16
	v_cvt_i32_f32_e32 v17, v20
	v_cmp_ngt_f32_e32 vcc, s22, v15
	v_ldexp_f32 v16, v16, v17
	s_nop 0
	v_cndmask_b32_e32 v16, 0, v16, vcc
	v_cmp_nlt_f32_e32 vcc, s73, v15
	v_mov_b32_e32 v15, s3
	s_nop 0
	v_cndmask_b32_e32 v16, v170, v16, vcc
	v_add_f32_e32 v17, v16, v14
	v_cndmask_b32_e64 v20, v14, v17, s[20:21]
	v_sub_f32_e32 v14, v184, v1
	v_cndmask_b32_e64 v15, v15, v16, s[20:21]
	v_mul_f32_e32 v16, 0x3fb8aa3b, v14
	v_fma_f32 v17, v14, s93, -v16
	v_rndne_f32_e32 v21, v16
	v_fmac_f32_e32 v17, 0x32a5705f, v14
	v_sub_f32_e32 v16, v16, v21
	v_add_f32_e32 v16, v16, v17
	v_exp_f32_e32 v16, v16
	v_cvt_i32_f32_e32 v17, v21
	v_cmp_ngt_f32_e32 vcc, s22, v14
	v_cvt_f16_f32_e32 v15, v15
	v_ldexp_f32 v16, v16, v17
	v_cndmask_b32_e32 v16, 0, v16, vcc
	v_cmp_nlt_f32_e32 vcc, s73, v14
	v_cvt_f16_f32_e32 v17, v19
	s_nop 0
	v_cndmask_b32_e32 v16, v170, v16, vcc
	v_cmp_le_f32_e32 vcc, s23, v14
	s_nop 1
	v_cndmask_b32_e32 v14, 0, v16, vcc
	v_fmac_f32_e32 v20, v183, v14
	v_cvt_f16_f32_e32 v14, v14
	v_cvt_f16_f32_e32 v16, v186
	v_pk_mul_f16 v183, v14, v175 op_sel_hi:[0,1]
	v_pk_mul_f16 v175, v14, v176 op_sel_hi:[0,1]
	;; [unrolled: 1-line block ×8, first 2 shown]
	v_cvt_f16_f32_e32 v14, v18
	v_cvt_f16_f32_e32 v18, v188
	v_mov_b32_e32 v176, s91
	v_mov_b32_e32 v181, s90
	v_pack_b32_f16 v16, v14, v16
	v_cvt_f16_f32_e32 v14, v187
	v_cvt_f32_f16_e32 v182, v183
	v_cvt_f32_f16_sdwa v183, v183 dst_sel:DWORD dst_unused:UNUSED_PAD src0_sel:WORD_1
	v_pack_b32_f16 v17, v14, v17
	v_cvt_f16_f32_e32 v14, v185
	v_pack_b32_f16 v14, v14, v18
	v_cvt_f16_f32_e32 v18, v189
	v_pack_b32_f16 v15, v18, v15
	v_lshl_add_u64 v[18:19], v[56:57], 0, v[40:41]
	v_cndmask_b32_e64 v185, v176, v19, s[50:51]
	v_cndmask_b32_e64 v184, v181, v18, s[50:51]
	flat_load_dwordx4 v[184:187], v[184:185]
	v_lshl_add_u64 v[18:19], v[58:59], 0, v[40:41]
	v_cndmask_b32_e64 v19, v176, v19, s[4:5]
	v_cndmask_b32_e64 v18, v181, v18, s[4:5]
	v_lshl_add_u64 v[56:57], v[56:57], 0, s[80:81]
	v_lshl_add_u64 v[58:59], v[58:59], 0, s[80:81]
	s_waitcnt vmcnt(0) lgkmcnt(0)
	ds_write_b128 v88, v[184:187]
	flat_load_dwordx4 v[184:187], v[18:19]
	s_waitcnt vmcnt(0) lgkmcnt(0)
	ds_write_b128 v152, v[184:187]
	s_waitcnt lgkmcnt(0)
	s_barrier
	ds_read_u16 v3, v95 offset:144
	ds_read_u16 v4, v95 offset:288
	ds_read_u16 v5, v96
	ds_read_u16 v18, v96 offset:32
	v_cvt_f32_f16_e32 v184, v175
	v_cvt_f32_f16_sdwa v185, v175 dst_sel:DWORD dst_unused:UNUSED_PAD src0_sel:WORD_1
	s_waitcnt lgkmcnt(1)
	v_perm_b32 v5, v5, v4, s76
	ds_read_u16 v4, v94
	ds_read_u16 v19, v94 offset:32
	ds_read_u16 v176, v94 offset:4608
	;; [unrolled: 1-line block ×5, first 2 shown]
	s_waitcnt lgkmcnt(5)
	v_perm_b32 v4, v3, v4, s76
	s_nop 1
	v_mfma_f32_16x16x16_f16 v[182:185], v[4:5], v[16:17], v[182:185]
	s_nop 6
	v_cvt_f16_f32_e32 v4, v183
	v_cvt_f16_f32_e32 v5, v184
	;; [unrolled: 1-line block ×4, first 2 shown]
	v_cvt_f32_f16_e32 v183, v4
	v_cvt_f32_f16_e32 v184, v5
	s_waitcnt lgkmcnt(0)
	v_perm_b32 v5, v187, v186, s76
	v_perm_b32 v4, v181, v176, s76
	v_cvt_f32_f16_e32 v182, v3
	v_cvt_f32_f16_e32 v185, v175
	s_nop 1
	v_mfma_f32_16x16x16_f16 v[182:185], v[4:5], v[14:15], v[182:185]
	s_nop 6
	v_cvt_f16_f32_e32 v3, v182
	v_cvt_f16_f32_e32 v4, v183
	v_cvt_f16_f32_e32 v5, v184
	v_cvt_f16_f32_e32 v176, v185
	v_cvt_f32_f16_e32 v182, v178
	v_pack_b32_f16 v175, v3, v4
	ds_read_u16 v3, v154 offset:144
	ds_read_u16 v4, v154 offset:288
	v_pack_b32_f16 v176, v5, v176
	v_cvt_f32_f16_sdwa v183, v178 dst_sel:DWORD dst_unused:UNUSED_PAD src0_sel:WORD_1
	v_cvt_f32_f16_e32 v184, v177
	v_cvt_f32_f16_sdwa v185, v177 dst_sel:DWORD dst_unused:UNUSED_PAD src0_sel:WORD_1
	s_waitcnt lgkmcnt(0)
	v_perm_b32 v5, v18, v4, s76
	v_perm_b32 v4, v3, v19, s76
	ds_read_u16 v19, v97 offset:4608
	ds_read_u16 v177, v98 offset:144
	;; [unrolled: 1-line block ×4, first 2 shown]
	v_mfma_f32_16x16x16_f16 v[182:185], v[4:5], v[16:17], v[182:185]
	s_nop 6
	v_cvt_f16_f32_e32 v4, v183
	v_cvt_f16_f32_e32 v5, v184
	;; [unrolled: 1-line block ×4, first 2 shown]
	v_cvt_f32_f16_e32 v183, v4
	v_cvt_f32_f16_e32 v184, v5
	s_waitcnt lgkmcnt(0)
	v_perm_b32 v5, v181, v178, s76
	v_perm_b32 v4, v177, v19, s76
	v_cvt_f32_f16_e32 v182, v3
	v_cvt_f32_f16_e32 v185, v18
	s_nop 1
	v_mfma_f32_16x16x16_f16 v[182:185], v[4:5], v[14:15], v[182:185]
	s_nop 6
	v_cvt_f16_f32_e32 v3, v182
	v_cvt_f16_f32_e32 v4, v183
	;; [unrolled: 1-line block ×4, first 2 shown]
	v_cvt_f32_f16_e32 v182, v180
	v_pack_b32_f16 v178, v3, v4
	v_cvt_f32_f16_sdwa v183, v180 dst_sel:DWORD dst_unused:UNUSED_PAD src0_sel:WORD_1
	v_pack_b32_f16 v177, v5, v18
	ds_read_u16 v3, v94 offset:64
	ds_read_u16 v4, v156 offset:144
	;; [unrolled: 1-line block ×4, first 2 shown]
	v_cvt_f32_f16_e32 v184, v179
	v_cvt_f32_f16_sdwa v185, v179 dst_sel:DWORD dst_unused:UNUSED_PAD src0_sel:WORD_1
	s_waitcnt lgkmcnt(2)
	v_perm_b32 v4, v4, v3, s76
	s_waitcnt lgkmcnt(0)
	v_perm_b32 v5, v18, v5, s76
	s_nop 1
	v_mfma_f32_16x16x16_f16 v[180:183], v[4:5], v[16:17], v[182:185]
	ds_read_u16 v19, v100 offset:4608
	ds_read_u16 v179, v101 offset:144
	s_nop 0
	ds_read_u16 v184, v157 offset:288
	ds_read_u16 v185, v102 offset:4608
	s_nop 1
	v_cvt_f16_f32_e32 v4, v181
	v_cvt_f16_f32_e32 v5, v182
	;; [unrolled: 1-line block ×4, first 2 shown]
	v_cvt_f32_f16_e32 v181, v4
	v_cvt_f32_f16_e32 v182, v5
	s_waitcnt lgkmcnt(0)
	v_perm_b32 v5, v185, v184, s76
	v_perm_b32 v4, v179, v19, s76
	v_cvt_f32_f16_e32 v180, v3
	v_cvt_f32_f16_e32 v183, v18
	;; [unrolled: 1-line block ×3, first 2 shown]
	v_cvt_f32_f16_sdwa v185, v21 dst_sel:DWORD dst_unused:UNUSED_PAD src0_sel:WORD_1
	v_mfma_f32_16x16x16_f16 v[180:183], v[4:5], v[14:15], v[180:183]
	s_nop 6
	v_cvt_f16_f32_e32 v3, v180
	v_cvt_f16_f32_e32 v4, v181
	;; [unrolled: 1-line block ×4, first 2 shown]
	v_cvt_f32_f16_e32 v182, v51
	v_pack_b32_f16 v180, v3, v4
	v_cvt_f32_f16_sdwa v183, v51 dst_sel:DWORD dst_unused:UNUSED_PAD src0_sel:WORD_1
	v_pack_b32_f16 v179, v5, v18
	ds_read_u16 v3, v94 offset:96
	ds_read_u16 v4, v158 offset:144
	;; [unrolled: 1-line block ×4, first 2 shown]
	s_waitcnt lgkmcnt(2)
	v_perm_b32 v4, v4, v3, s76
	s_waitcnt lgkmcnt(0)
	v_perm_b32 v5, v18, v5, s76
	s_nop 1
	v_mfma_f32_16x16x16_f16 v[16:19], v[4:5], v[16:17], v[182:185]
	ds_read_u16 v21, v103 offset:4608
	ds_read_u16 v51, v104 offset:144
	;; [unrolled: 1-line block ×4, first 2 shown]
	s_waitcnt lgkmcnt(0)
	s_barrier
	s_nop 0
	v_cvt_f16_f32_e32 v4, v17
	v_cvt_f16_f32_e32 v5, v18
	;; [unrolled: 1-line block ×4, first 2 shown]
	v_cvt_f32_f16_e32 v17, v4
	v_cvt_f32_f16_e32 v18, v5
	v_perm_b32 v5, v182, v181, s76
	v_perm_b32 v4, v51, v21, s76
	v_cvt_f32_f16_e32 v16, v3
	v_cvt_f32_f16_e32 v19, v19
	s_nop 1
	v_mfma_f32_16x16x16_f16 v[14:17], v[4:5], v[14:15], v[16:19]
	s_nop 6
	v_cvt_f16_f32_e32 v3, v14
	v_cvt_f16_f32_e32 v4, v15
	;; [unrolled: 1-line block ×4, first 2 shown]
	v_pack_b32_f16 v182, v3, v4
	v_pack_b32_f16 v181, v5, v14
	s_cbranch_scc0 .LBB0_143
; %bb.141:                              ;   in Loop: Header=BB0_138 Depth=2
	v_mov_b32_e32 v183, v20
	v_mov_b32_e32 v184, v1
	v_cndmask_b32_e64 v1, 0, 1, s[30:31]
	v_cmp_ne_u32_e64 s[34:35], 1, v1
	s_andn2_b64 vcc, exec, s[30:31]
	s_cbranch_vccz .LBB0_133
	s_branch .LBB0_138
.LBB0_142:                              ;   in Loop: Header=BB0_14 Depth=1
	v_mov_b32_e32 v20, 0
	v_mov_b32_e32 v1, 0xfeffffff
	v_mov_b32_e32 v182, 0
	v_mov_b32_e32 v179, 0
	v_mov_b32_e32 v180, 0
	v_mov_b32_e32 v177, 0
	v_mov_b32_e32 v178, 0
	v_mov_b32_e32 v176, 0
	v_mov_b32_e32 v175, 0
.LBB0_143:                              ;   in Loop: Header=BB0_14 Depth=1
	s_lshl_b32 s2, s29, 6
	v_readlane_b32 s24, v191, 4
	v_cmp_eq_u64_e32 vcc, 0, v[52:53]
	s_sub_i32 s24, s24, s2
	v_cmp_ne_u64_e64 s[36:37], 0, v[52:53]
	v_readlane_b32 s25, v191, 5
	s_cbranch_vccnz .LBB0_153
; %bb.144:                              ;   in Loop: Header=BB0_14 Depth=1
	v_cmp_le_i32_e32 vcc, s24, v22
                                        ; implicit-def: $sgpr25
	s_and_saveexec_b64 s[26:27], vcc
	s_xor_b64 s[26:27], exec, s[26:27]
	s_cbranch_execz .LBB0_146
; %bb.145:                              ;   in Loop: Header=BB0_14 Depth=1
	ds_write_b16 v86, v2 offset:9216
	ds_write_b16 v138, v2 offset:9216
	s_mov_b32 s25, 0
.LBB0_146:                              ;   in Loop: Header=BB0_14 Depth=1
	s_or_saveexec_b64 s[26:27], s[26:27]
	s_lshl_b64 s[28:29], s[2:3], 1
	v_lshl_add_u64 v[4:5], v[52:53], 0, s[28:29]
	v_lshlrev_b32_e32 v14, 1, v22
	v_mov_b32_e32 v15, v2
	v_lshl_add_u64 v[4:5], v[4:5], 0, v[14:15]
	v_mov_b32_e32 v3, s25
	v_mov_b32_e32 v14, s25
	s_xor_b64 exec, exec, s[26:27]
	s_cbranch_execz .LBB0_148
; %bb.147:                              ;   in Loop: Header=BB0_14 Depth=1
	v_add_u32_e32 v3, s94, v80
	v_mul_hi_u32 v14, s86, v3
	v_add_u32_e32 v14, v3, v14
	v_lshrrev_b32_e32 v14, s87, v14
	v_mul_lo_u32 v14, v14, s72
	v_sub_u32_e32 v3, v3, v14
	v_mad_i64_i32 v[14:15], s[28:29], v3, s88, 0
	v_lshl_add_u64 v[14:15], v[14:15], 1, v[4:5]
	flat_load_ushort v3, v[14:15]
	v_add_u32_e32 v14, s94, v137
	v_mul_hi_u32 v15, s86, v14
	v_add_u32_e32 v15, v14, v15
	v_lshrrev_b32_e32 v15, s87, v15
	v_mul_lo_u32 v15, v15, s72
	v_sub_u32_e32 v14, v14, v15
	v_mad_i64_i32 v[14:15], s[28:29], v14, s88, 0
	v_lshl_add_u64 v[14:15], v[14:15], 1, v[4:5]
	flat_load_ushort v14, v[14:15]
	s_waitcnt vmcnt(0) lgkmcnt(0)
	ds_write_b16 v86, v3 offset:9216
	ds_write_b16 v138, v14 offset:9216
	v_add_u32_e32 v3, s94, v139
	v_mul_hi_u32 v14, s86, v3
	v_add_u32_e32 v14, v3, v14
	v_lshrrev_b32_e32 v14, s87, v14
	v_mul_lo_u32 v14, v14, s72
	v_sub_u32_e32 v3, v3, v14
	v_mad_i64_i32 v[14:15], s[28:29], v3, s88, 0
	v_lshl_add_u64 v[14:15], v[14:15], 1, v[4:5]
	flat_load_ushort v3, v[14:15]
	v_add_u32_e32 v14, s94, v141
	v_mul_hi_u32 v15, s86, v14
	v_add_u32_e32 v15, v14, v15
	v_lshrrev_b32_e32 v15, s87, v15
	v_mul_lo_u32 v15, v15, s72
	v_sub_u32_e32 v14, v14, v15
	v_mad_i64_i32 v[14:15], s[28:29], v14, s88, 0
	v_lshl_add_u64 v[14:15], v[14:15], 1, v[4:5]
	flat_load_ushort v14, v[14:15]
.LBB0_148:                              ;   in Loop: Header=BB0_14 Depth=1
	s_or_b64 exec, exec, s[26:27]
	s_waitcnt vmcnt(0) lgkmcnt(0)
	ds_write_b16 v140, v3 offset:9216
	ds_write_b16 v142, v14 offset:9216
                                        ; implicit-def: $sgpr25
	s_and_saveexec_b64 s[26:27], vcc
	s_xor_b64 s[26:27], exec, s[26:27]
	s_cbranch_execz .LBB0_150
; %bb.149:                              ;   in Loop: Header=BB0_14 Depth=1
	ds_write_b16 v144, v2 offset:9216
	ds_write_b16 v146, v2 offset:9216
	s_mov_b32 s25, 0
                                        ; implicit-def: $vgpr4_vgpr5
.LBB0_150:                              ;   in Loop: Header=BB0_14 Depth=1
	s_or_saveexec_b64 s[26:27], s[26:27]
	v_mov_b32_e32 v3, s25
	v_mov_b32_e32 v14, s25
	s_xor_b64 exec, exec, s[26:27]
	s_cbranch_execz .LBB0_152
; %bb.151:                              ;   in Loop: Header=BB0_14 Depth=1
	v_add_u32_e32 v3, s94, v143
	v_mul_hi_u32 v14, s86, v3
	v_add_u32_e32 v14, v3, v14
	v_lshrrev_b32_e32 v14, s87, v14
	v_mul_lo_u32 v14, v14, s72
	v_sub_u32_e32 v3, v3, v14
	v_mad_i64_i32 v[14:15], s[28:29], v3, s88, 0
	v_lshl_add_u64 v[14:15], v[14:15], 1, v[4:5]
	flat_load_ushort v3, v[14:15]
	v_add_u32_e32 v14, s94, v145
	v_mul_hi_u32 v15, s86, v14
	v_add_u32_e32 v15, v14, v15
	v_lshrrev_b32_e32 v15, s87, v15
	v_mul_lo_u32 v15, v15, s72
	v_sub_u32_e32 v14, v14, v15
	v_mad_i64_i32 v[14:15], s[28:29], v14, s88, 0
	v_lshl_add_u64 v[14:15], v[14:15], 1, v[4:5]
	flat_load_ushort v14, v[14:15]
	s_waitcnt vmcnt(0) lgkmcnt(0)
	ds_write_b16 v144, v3 offset:9216
	ds_write_b16 v146, v14 offset:9216
	v_add_u32_e32 v3, s94, v147
	v_mul_hi_u32 v14, s86, v3
	v_add_u32_e32 v14, v3, v14
	v_lshrrev_b32_e32 v14, s87, v14
	v_mul_lo_u32 v14, v14, s72
	v_sub_u32_e32 v3, v3, v14
	v_mad_i64_i32 v[14:15], s[28:29], v3, s88, 0
	v_lshl_add_u64 v[14:15], v[14:15], 1, v[4:5]
	flat_load_ushort v3, v[14:15]
	v_add_u32_e32 v14, s94, v149
	v_mul_hi_u32 v15, s86, v14
	v_add_u32_e32 v15, v14, v15
	v_lshrrev_b32_e32 v15, s87, v15
	v_mul_lo_u32 v15, v15, s72
	v_sub_u32_e32 v14, v14, v15
	v_mad_i64_i32 v[14:15], s[28:29], v14, s88, 0
	v_lshl_add_u64 v[4:5], v[14:15], 1, v[4:5]
	flat_load_ushort v14, v[4:5]
.LBB0_152:                              ;   in Loop: Header=BB0_14 Depth=1
	s_or_b64 exec, exec, s[26:27]
	s_waitcnt vmcnt(0) lgkmcnt(0)
	ds_write_b16 v148, v3 offset:9216
	ds_write_b16 v150, v14 offset:9216
.LBB0_153:                              ;   in Loop: Header=BB0_14 Depth=1
	s_mul_i32 s25, s2, s75
	s_mul_hi_u32 s26, s2, s74
	s_add_i32 s27, s26, s25
	s_mul_i32 s26, s2, s74
	s_lshl_b64 s[26:27], s[26:27], 2
	s_add_u32 s26, s77, s26
	s_addc_u32 s27, s33, s27
	v_lshl_add_u64 v[14:15], v[28:29], 2, s[26:27]
	v_lshlrev_b32_e32 v18, 2, v26
	v_mov_b32_e32 v19, v2
	v_mov_b32_e32 v3, v2
	;; [unrolled: 1-line block ×4, first 2 shown]
	v_cmp_gt_i32_e64 s[30:31], s24, v87
	v_lshl_add_u64 v[14:15], v[14:15], 0, v[18:19]
	v_mov_b32_e32 v21, s91
	v_mov_b32_e32 v51, s90
	scratch_store_dwordx4 off, v[2:5], off
	v_cndmask_b32_e64 v15, v21, v15, s[30:31]
	v_cndmask_b32_e64 v14, v51, v14, s[30:31]
	flat_load_dwordx4 v[14:17], v[14:15]
	v_cmp_gt_i32_e64 s[34:35], s24, v151
	s_andn2_b64 vcc, exec, s[36:37]
	s_waitcnt vmcnt(0) lgkmcnt(0)
	ds_write_b128 v88, v[14:17]
	v_lshl_add_u64 v[14:15], v[30:31], 2, s[26:27]
	v_lshl_add_u64 v[14:15], v[14:15], 0, v[18:19]
	v_cndmask_b32_e64 v15, v21, v15, s[34:35]
	v_cndmask_b32_e64 v14, v51, v14, s[34:35]
	flat_load_dwordx4 v[14:17], v[14:15]
	v_add_u32_e32 v21, v33, v89
	s_waitcnt vmcnt(0) lgkmcnt(0)
	ds_write_b128 v152, v[14:17]
	s_waitcnt lgkmcnt(0)
	s_barrier
	ds_read2_b64 v[14:17], v21 offset1:4
	s_waitcnt lgkmcnt(0)
	v_mfma_f32_16x16x16_f16 v[52:55], v[14:15], v[10:11], 0
	v_mfma_f32_16x16x16_f16 v[14:17], v[16:17], v[12:13], v[52:55]
	s_nop 5
	ds_read2_b64 v[52:55], v21 offset0:8 offset1:12
	s_waitcnt lgkmcnt(0)
	v_mfma_f32_16x16x16_f16 v[14:17], v[52:53], v[6:7], v[14:17]
	v_add_u32_e32 v21, 0x1000, v21
	v_mfma_f32_16x16x16_f16 v[14:17], v[54:55], v[8:9], v[14:17]
	ds_read2_b64 v[52:55], v21 offset0:64 offset1:68
	s_waitcnt lgkmcnt(0)
	v_mfma_f32_16x16x16_f16 v[56:59], v[52:53], v[10:11], 0
	v_mfma_f32_16x16x16_f16 v[10:13], v[54:55], v[12:13], v[56:59]
	ds_read2_b64 v[52:55], v21 offset0:72 offset1:76
	s_waitcnt lgkmcnt(0)
	s_barrier
	v_mfma_f32_16x16x16_f16 v[10:13], v[52:53], v[6:7], v[10:13]
	v_mfma_f32_16x16x16_f16 v[6:9], v[54:55], v[8:9], v[10:13]
	s_cbranch_vccnz .LBB0_155
; %bb.154:                              ;   in Loop: Header=BB0_14 Depth=1
	s_nop 4
	v_add_u32_e32 v10, 0x2400, v91
	ds_read2_b32 v[10:11], v10 offset1:1
	s_waitcnt lgkmcnt(0)
	v_cvt_f32_f16_e32 v12, v10
	v_cvt_f32_f16_sdwa v13, v10 dst_sel:DWORD dst_unused:UNUSED_PAD src0_sel:WORD_1
	v_cvt_f32_f16_e32 v10, v11
	v_cvt_f32_f16_sdwa v11, v11 dst_sel:DWORD dst_unused:UNUSED_PAD src0_sel:WORD_1
	v_pk_fma_f32 v[14:15], v[50:51], v[12:13], v[14:15] op_sel_hi:[0,1,1]
	ds_read_b32 v12, v115 offset:9216
	v_pk_fma_f32 v[16:17], v[50:51], v[10:11], v[16:17] op_sel_hi:[0,1,1]
	ds_read_b32 v10, v93 offset:9216
	s_waitcnt lgkmcnt(1)
	v_cvt_f32_f16_sdwa v13, v12 dst_sel:DWORD dst_unused:UNUSED_PAD src0_sel:WORD_1
	v_cvt_f32_f16_e32 v12, v12
	s_waitcnt lgkmcnt(0)
	v_cvt_f32_f16_sdwa v11, v10 dst_sel:DWORD dst_unused:UNUSED_PAD src0_sel:WORD_1
	v_cvt_f32_f16_e32 v10, v10
	v_pk_fma_f32 v[8:9], v[50:51], v[12:13], v[8:9] op_sel_hi:[0,1,1]
	v_pk_fma_f32 v[6:7], v[50:51], v[10:11], v[6:7] op_sel_hi:[0,1,1]
.LBB0_155:                              ;   in Loop: Header=BB0_14 Depth=1
	s_nop 4
	v_add_f32_e32 v10, 0x40051340, v14
	v_max_f32_e32 v11, v1, v1
	v_cmp_gt_u32_e64 s[48:49], s24, v90
	v_max_f32_e32 v10, v11, v10
	v_add_f32_e32 v11, 0x40051340, v15
	v_cndmask_b32_e64 v10, v1, v10, s[48:49]
	v_max_f32_e32 v12, v10, v10
	v_cmp_gt_u32_e64 s[46:47], s24, v160
	v_max_f32_e32 v11, v12, v11
	v_cmp_gt_u32_e64 s[44:45], s24, v161
	v_cndmask_b32_e64 v10, v10, v11, s[46:47]
	v_add_f32_e32 v11, 0x40051340, v16
	v_max_f32_e32 v12, v10, v10
	v_max_f32_e32 v11, v12, v11
	v_cndmask_b32_e64 v10, v10, v11, s[44:45]
	v_add_f32_e32 v11, 0x40051340, v17
	v_max_f32_e32 v12, v10, v10
	v_cmp_gt_u32_e64 s[42:43], s24, v162
	v_max_f32_e32 v11, v12, v11
	v_cmp_gt_u32_e64 s[40:41], s24, v92
	v_cndmask_b32_e64 v10, v10, v11, s[42:43]
	v_add_f32_e32 v11, 0x40051340, v6
	v_max_f32_e32 v12, v10, v10
	v_max_f32_e32 v11, v12, v11
	v_cndmask_b32_e64 v10, v10, v11, s[40:41]
	v_add_f32_e32 v11, 0x40051340, v7
	;; [unrolled: 10-line block ×3, first 2 shown]
	v_max_f32_e32 v12, v10, v10
	v_cmp_gt_u32_e32 vcc, s24, v164
	v_max_f32_e32 v11, v12, v11
	v_cndmask_b32_e64 v16, v16, v16, s[46:47]
	v_cndmask_b32_e32 v10, v10, v11, vcc
	v_and_b32_e32 v11, 64, v172
	v_add_u32_e32 v12, 64, v11
	v_xor_b32_e32 v11, 32, v172
	v_cmp_lt_i32_e64 s[52:53], v11, v12
	v_cndmask_b32_e64 v17, v17, v17, s[46:47]
	v_cndmask_b32_e64 v7, v7, v7, s[40:41]
	;; [unrolled: 1-line block ×3, first 2 shown]
	v_lshlrev_b32_e32 v11, 2, v11
	ds_bpermute_b32 v13, v11, v10
	v_max_f32_e32 v10, v10, v10
	v_cndmask_b32_e64 v9, v9, v9, s[40:41]
	v_cndmask_b32_e64 v8, v8, v8, s[40:41]
	s_mul_i32 s24, s2, s55
	s_waitcnt lgkmcnt(0)
	v_max_f32_e32 v13, v13, v13
	v_max_f32_e32 v10, v10, v13
	v_xor_b32_e32 v13, 16, v172
	v_cmp_lt_i32_e64 s[52:53], v13, v12
	s_mul_hi_u32 s25, s2, s54
	s_add_i32 s25, s25, s24
	v_cndmask_b32_e64 v12, v172, v13, s[52:53]
	v_lshlrev_b32_e32 v21, 2, v12
	ds_bpermute_b32 v12, v21, v10
	s_mul_i32 s24, s2, s54
	s_lshl_b64 s[24:25], s[24:25], 2
	s_add_u32 s24, s79, s24
	s_addc_u32 s25, s89, s25
	s_waitcnt lgkmcnt(0)
	v_max_f32_e32 v12, v12, v12
	v_max_f32_e32 v10, v10, v12
	v_sub_f32_e32 v12, v14, v10
	v_mul_f32_e32 v13, 0x3fb8aa3b, v12
	v_fma_f32 v14, v12, s93, -v13
	v_rndne_f32_e32 v50, v13
	v_fmac_f32_e32 v14, 0x32a5705f, v12
	v_sub_f32_e32 v13, v13, v50
	v_add_f32_e32 v13, v13, v14
	v_exp_f32_e32 v13, v13
	v_cvt_i32_f32_e32 v14, v50
	v_cmp_ngt_f32_e64 s[52:53], s22, v12
	v_sub_f32_e32 v6, v6, v10
	v_sub_f32_e32 v7, v7, v10
	v_ldexp_f32 v13, v13, v14
	v_cndmask_b32_e64 v13, 0, v13, s[52:53]
	v_cmp_nlt_f32_e64 s[52:53], s73, v12
	v_sub_f32_e32 v1, v1, v10
	scratch_store_dwordx4 off, v[2:5], off
	v_cndmask_b32_e64 v12, v170, v13, s[52:53]
	v_sub_f32_e32 v13, v15, v10
	v_mul_f32_e32 v14, 0x3fb8aa3b, v13
	v_fma_f32 v15, v13, s93, -v14
	v_rndne_f32_e32 v50, v14
	v_fmac_f32_e32 v15, 0x32a5705f, v13
	v_sub_f32_e32 v14, v14, v50
	v_add_f32_e32 v14, v14, v15
	v_exp_f32_e32 v14, v14
	v_cvt_i32_f32_e32 v15, v50
	v_cndmask_b32_e64 v12, 0, v12, s[48:49]
	v_cmp_ngt_f32_e64 s[48:49], s22, v13
	s_cmp_eq_u64 s[98:99], 0
	v_ldexp_f32 v14, v14, v15
	v_cndmask_b32_e64 v14, 0, v14, s[48:49]
	v_cmp_nlt_f32_e64 s[48:49], s73, v13
	v_mov_b32_e32 v13, s3
	s_nop 0
	v_cndmask_b32_e64 v14, v170, v14, s[48:49]
	v_add_f32_e32 v15, v14, v12
	v_cndmask_b32_e64 v53, v13, v14, s[46:47]
	v_sub_f32_e32 v14, v16, v10
	v_cndmask_b32_e64 v13, v12, v15, s[46:47]
	v_mul_f32_e32 v15, 0x3fb8aa3b, v14
	v_fma_f32 v16, v14, s93, -v15
	v_rndne_f32_e32 v50, v15
	v_fmac_f32_e32 v16, 0x32a5705f, v14
	v_sub_f32_e32 v15, v15, v50
	v_add_f32_e32 v15, v15, v16
	v_exp_f32_e32 v15, v15
	v_cvt_i32_f32_e32 v16, v50
	v_cmp_ngt_f32_e64 s[46:47], s22, v14
	v_ldexp_f32 v15, v15, v16
	s_nop 0
	v_cndmask_b32_e64 v15, 0, v15, s[46:47]
	v_cmp_nlt_f32_e64 s[46:47], s73, v14
	v_mov_b32_e32 v14, s3
	s_nop 0
	v_cndmask_b32_e64 v15, v170, v15, s[46:47]
	v_add_f32_e32 v16, v13, v15
	v_cndmask_b32_e64 v54, v14, v15, s[44:45]
	v_cndmask_b32_e64 v14, v13, v16, s[44:45]
	v_sub_f32_e32 v13, v17, v10
	v_mul_f32_e32 v15, 0x3fb8aa3b, v13
	v_fma_f32 v16, v13, s93, -v15
	v_rndne_f32_e32 v17, v15
	v_fmac_f32_e32 v16, 0x32a5705f, v13
	v_sub_f32_e32 v15, v15, v17
	v_add_f32_e32 v15, v15, v16
	v_exp_f32_e32 v15, v15
	v_cvt_i32_f32_e32 v16, v17
	v_cmp_ngt_f32_e64 s[44:45], s22, v13
	v_ldexp_f32 v15, v15, v16
	s_nop 0
	v_cndmask_b32_e64 v15, 0, v15, s[44:45]
	v_cmp_nlt_f32_e64 s[44:45], s73, v13
	v_mov_b32_e32 v13, s3
	s_nop 0
	v_cndmask_b32_e64 v15, v170, v15, s[44:45]
	v_add_f32_e32 v16, v14, v15
	v_cndmask_b32_e64 v13, v13, v15, s[42:43]
	v_mul_f32_e32 v15, 0x3fb8aa3b, v6
	v_cndmask_b32_e64 v14, v14, v16, s[42:43]
	v_fma_f32 v16, v6, s93, -v15
	v_rndne_f32_e32 v17, v15
	v_fmac_f32_e32 v16, 0x32a5705f, v6
	v_sub_f32_e32 v15, v15, v17
	v_add_f32_e32 v15, v15, v16
	v_exp_f32_e32 v15, v15
	v_cvt_i32_f32_e32 v16, v17
	v_cmp_ngt_f32_e64 s[42:43], s22, v6
	v_ldexp_f32 v15, v15, v16
	s_nop 0
	v_cndmask_b32_e64 v15, 0, v15, s[42:43]
	v_cmp_nlt_f32_e64 s[42:43], s73, v6
	v_mov_b32_e32 v6, s3
	s_nop 0
	v_cndmask_b32_e64 v15, v170, v15, s[42:43]
	v_add_f32_e32 v16, v15, v14
	v_cndmask_b32_e64 v55, v6, v15, s[40:41]
	v_cndmask_b32_e64 v6, v14, v16, s[40:41]
	v_mul_f32_e32 v14, 0x3fb8aa3b, v7
	v_fma_f32 v15, v7, s93, -v14
	v_rndne_f32_e32 v16, v14
	v_fmac_f32_e32 v15, 0x32a5705f, v7
	v_sub_f32_e32 v14, v14, v16
	v_add_f32_e32 v14, v14, v15
	v_exp_f32_e32 v14, v14
	v_cvt_i32_f32_e32 v15, v16
	v_cmp_ngt_f32_e64 s[40:41], s22, v7
	v_ldexp_f32 v14, v14, v15
	s_nop 0
	v_cndmask_b32_e64 v14, 0, v14, s[40:41]
	v_cmp_nlt_f32_e64 s[40:41], s73, v7
	v_mov_b32_e32 v7, s3
	s_nop 0
	v_cndmask_b32_e64 v14, v170, v14, s[40:41]
	v_add_f32_e32 v15, v14, v6
	v_cndmask_b32_e64 v56, v7, v14, s[38:39]
	v_cndmask_b32_e64 v7, v6, v15, s[38:39]
	v_sub_f32_e32 v6, v8, v10
	v_mul_f32_e32 v8, 0x3fb8aa3b, v6
	v_fma_f32 v14, v6, s93, -v8
	v_rndne_f32_e32 v15, v8
	v_fmac_f32_e32 v14, 0x32a5705f, v6
	v_sub_f32_e32 v8, v8, v15
	v_add_f32_e32 v8, v8, v14
	v_exp_f32_e32 v8, v8
	v_cvt_i32_f32_e32 v14, v15
	v_cmp_ngt_f32_e64 s[38:39], s22, v6
	v_ldexp_f32 v8, v8, v14
	s_nop 0
	v_cndmask_b32_e64 v8, 0, v8, s[38:39]
	v_cmp_nlt_f32_e64 s[38:39], s73, v6
	v_mov_b32_e32 v6, s3
	s_nop 0
	v_cndmask_b32_e64 v8, v170, v8, s[38:39]
	v_add_f32_e32 v14, v8, v7
	v_cndmask_b32_e64 v57, v6, v8, s[36:37]
	v_cndmask_b32_e64 v6, v7, v14, s[36:37]
	v_sub_f32_e32 v7, v9, v10
	v_mul_f32_e32 v8, 0x3fb8aa3b, v7
	v_fma_f32 v9, v7, s93, -v8
	v_rndne_f32_e32 v14, v8
	v_fmac_f32_e32 v9, 0x32a5705f, v7
	v_sub_f32_e32 v8, v8, v14
	v_add_f32_e32 v8, v8, v9
	v_exp_f32_e32 v8, v8
	v_cvt_i32_f32_e32 v9, v14
	v_cmp_ngt_f32_e64 s[36:37], s22, v7
	v_ldexp_f32 v8, v8, v9
	s_nop 0
	v_cndmask_b32_e64 v8, 0, v8, s[36:37]
	v_cmp_nlt_f32_e64 s[36:37], s73, v7
	v_mov_b32_e32 v7, s3
	s_nop 0
	v_cndmask_b32_e64 v8, v170, v8, s[36:37]
	v_add_f32_e32 v9, v8, v6
	v_cndmask_b32_e32 v15, v6, v9, vcc
	v_mul_f32_e32 v6, 0x3fb8aa3b, v1
	v_cndmask_b32_e32 v7, v7, v8, vcc
	v_fma_f32 v8, v1, s93, -v6
	v_rndne_f32_e32 v9, v6
	v_fmac_f32_e32 v8, 0x32a5705f, v1
	v_sub_f32_e32 v6, v6, v9
	v_add_f32_e32 v6, v6, v8
	v_exp_f32_e32 v6, v6
	v_cvt_i32_f32_e32 v8, v9
	v_cmp_ngt_f32_e32 vcc, s22, v1
	v_cvt_f16_f32_e32 v9, v13
	v_cvt_f16_f32_e32 v7, v7
	v_ldexp_f32 v6, v6, v8
	v_cndmask_b32_e32 v6, 0, v6, vcc
	v_cmp_nlt_f32_e32 vcc, s73, v1
	v_cvt_f16_f32_e32 v8, v53
	v_mov_b32_e32 v53, s91
	v_cndmask_b32_e32 v6, v170, v6, vcc
	v_cmp_le_f32_e32 vcc, s23, v1
	s_nop 1
	v_cndmask_b32_e32 v1, 0, v6, vcc
	v_cvt_f16_f32_e32 v6, v1
	v_fmac_f32_e32 v15, v20, v1
	v_pk_mul_f16 v52, v6, v175 op_sel_hi:[0,1]
	v_pk_mul_f16 v1, v6, v176 op_sel_hi:[0,1]
	;; [unrolled: 1-line block ×8, first 2 shown]
	v_cvt_f16_f32_e32 v6, v12
	v_cvt_f16_f32_e32 v12, v56
	v_mov_b32_e32 v56, s90
	v_pack_b32_f16 v8, v6, v8
	v_cvt_f16_f32_e32 v6, v54
	v_pack_b32_f16 v9, v6, v9
	v_cvt_f16_f32_e32 v6, v55
	;; [unrolled: 2-line block ×3, first 2 shown]
	v_pack_b32_f16 v7, v12, v7
	v_lshl_add_u64 v[12:13], v[34:35], 2, s[24:25]
	v_lshl_add_u64 v[12:13], v[12:13], 0, v[18:19]
	v_cndmask_b32_e64 v55, v53, v13, s[30:31]
	v_cndmask_b32_e64 v54, v56, v12, s[30:31]
	v_lshl_add_u64 v[12:13], v[36:37], 2, s[24:25]
	v_lshl_add_u64 v[12:13], v[12:13], 0, v[18:19]
	v_cndmask_b32_e64 v12, v56, v12, s[34:35]
	flat_load_dwordx4 v[54:57], v[54:55]
	v_cndmask_b32_e64 v13, v53, v13, s[34:35]
	v_readlane_b32 s34, v191, 52
	v_readlane_b32 s35, v191, 53
	s_cselect_b64 s[24:25], -1, 0
	s_xor_b64 s[26:27], s[34:35], -1
	s_or_b64 s[24:25], s[26:27], s[24:25]
	s_waitcnt vmcnt(0) lgkmcnt(0)
	ds_write_b128 v88, v[54:57]
	flat_load_dwordx4 v[54:57], v[12:13]
	s_waitcnt vmcnt(0) lgkmcnt(0)
	ds_write_b128 v152, v[54:57]
	s_waitcnt lgkmcnt(0)
	s_barrier
	ds_read_u16 v3, v95 offset:144
	ds_read_u16 v4, v95 offset:288
	v_cvt_f32_f16_e32 v56, v1
	v_cvt_f32_f16_sdwa v57, v1 dst_sel:DWORD dst_unused:UNUSED_PAD src0_sel:WORD_1
	ds_read_u16 v1, v96
	ds_read_u16 v12, v96 offset:32
	v_cvt_f32_f16_e32 v54, v52
	v_cvt_f32_f16_sdwa v55, v52 dst_sel:DWORD dst_unused:UNUSED_PAD src0_sel:WORD_1
	s_waitcnt lgkmcnt(1)
	v_perm_b32 v5, v1, v4, s76
	ds_read_u16 v1, v94
	ds_read_u16 v18, v94 offset:32
	s_waitcnt lgkmcnt(1)
	v_perm_b32 v4, v3, v1, s76
	s_nop 1
	v_mfma_f32_16x16x16_f16 v[52:55], v[4:5], v[8:9], v[54:57]
	ds_read_u16 v13, v94 offset:4608
	ds_read_u16 v19, v153 offset:144
	s_nop 0
	ds_read_u16 v56, v153 offset:288
	ds_read_u16 v57, v96 offset:4608
	s_nop 1
	v_cvt_f16_f32_e32 v4, v54
	v_cvt_f16_f32_e32 v5, v55
	;; [unrolled: 1-line block ×4, first 2 shown]
	v_cvt_f32_f16_e32 v54, v4
	v_cvt_f32_f16_e32 v55, v5
	s_waitcnt lgkmcnt(0)
	v_perm_b32 v5, v57, v56, s76
	v_perm_b32 v4, v19, v13, s76
	v_cvt_f32_f16_e32 v52, v1
	v_cvt_f32_f16_e32 v53, v3
	s_nop 1
	v_mfma_f32_16x16x16_f16 v[52:55], v[4:5], v[6:7], v[52:55]
	s_nop 6
	v_cvt_f16_f32_e32 v1, v52
	v_cvt_f16_f32_e32 v3, v53
	;; [unrolled: 1-line block ×4, first 2 shown]
	v_cvt_f32_f16_e32 v52, v51
	v_pack_b32_f16 v4, v1, v3
	v_cvt_f32_f16_sdwa v53, v51 dst_sel:DWORD dst_unused:UNUSED_PAD src0_sel:WORD_1
	v_pack_b32_f16 v1, v5, v13
	ds_read_u16 v3, v154 offset:144
	ds_read_u16 v5, v154 offset:288
	v_cvt_f32_f16_e32 v54, v50
	v_cvt_f32_f16_sdwa v55, v50 dst_sel:DWORD dst_unused:UNUSED_PAD src0_sel:WORD_1
	s_waitcnt lgkmcnt(0)
	v_perm_b32 v13, v12, v5, s76
	v_perm_b32 v12, v3, v18, s76
	s_nop 1
	v_mfma_f32_16x16x16_f16 v[50:53], v[12:13], v[8:9], v[52:55]
	ds_read_u16 v18, v97 offset:4608
	ds_read_u16 v19, v98 offset:144
	s_nop 0
	ds_read_u16 v54, v155 offset:288
	ds_read_u16 v55, v99 offset:4608
	s_nop 1
	v_cvt_f16_f32_e32 v12, v52
	v_cvt_f16_f32_e32 v13, v53
	;; [unrolled: 1-line block ×4, first 2 shown]
	v_cvt_f32_f16_e32 v52, v12
	v_cvt_f32_f16_e32 v53, v13
	s_waitcnt lgkmcnt(0)
	v_perm_b32 v13, v55, v54, s76
	v_perm_b32 v12, v19, v18, s76
	v_cvt_f32_f16_e32 v50, v3
	v_cvt_f32_f16_e32 v51, v5
	s_nop 1
	v_mfma_f32_16x16x16_f16 v[50:53], v[12:13], v[6:7], v[50:53]
	s_nop 6
	v_cvt_f16_f32_e32 v3, v50
	v_cvt_f16_f32_e32 v5, v51
	;; [unrolled: 1-line block ×4, first 2 shown]
	v_cvt_f32_f16_e32 v50, v20
	v_pack_b32_f16 v12, v3, v5
	v_cvt_f32_f16_sdwa v51, v20 dst_sel:DWORD dst_unused:UNUSED_PAD src0_sel:WORD_1
	v_pack_b32_f16 v3, v13, v18
	ds_read_u16 v5, v94 offset:64
	ds_read_u16 v13, v156 offset:144
	;; [unrolled: 1-line block ×4, first 2 shown]
	v_cvt_f32_f16_e32 v52, v14
	v_cvt_f32_f16_sdwa v53, v14 dst_sel:DWORD dst_unused:UNUSED_PAD src0_sel:WORD_1
	s_waitcnt lgkmcnt(0)
	v_perm_b32 v19, v19, v18, s76
	v_perm_b32 v18, v13, v5, s76
	s_nop 1
	v_mfma_f32_16x16x16_f16 v[50:53], v[18:19], v[8:9], v[50:53]
	ds_read_u16 v20, v100 offset:4608
	ds_read_u16 v54, v101 offset:144
	;; [unrolled: 1-line block ×4, first 2 shown]
	s_nop 2
	v_cvt_f16_f32_e32 v18, v53
	v_cvt_f16_f32_e32 v5, v50
	v_cvt_f16_f32_e32 v13, v51
	v_cvt_f16_f32_e32 v14, v52
	v_cvt_f32_f16_e32 v53, v18
	s_waitcnt lgkmcnt(0)
	v_perm_b32 v19, v55, v19, s76
	v_perm_b32 v18, v54, v20, s76
	v_cvt_f32_f16_e32 v50, v5
	v_cvt_f32_f16_e32 v51, v13
	v_cvt_f32_f16_e32 v52, v14
	s_nop 1
	v_mfma_f32_16x16x16_f16 v[50:53], v[18:19], v[6:7], v[50:53]
	s_nop 6
	v_cvt_f16_f32_e32 v5, v50
	v_cvt_f16_f32_e32 v13, v51
	v_cvt_f16_f32_e32 v18, v52
	v_cvt_f16_f32_e32 v19, v53
	v_cvt_f32_f16_e32 v50, v17
	v_pack_b32_f16 v14, v5, v13
	v_cvt_f32_f16_sdwa v51, v17 dst_sel:DWORD dst_unused:UNUSED_PAD src0_sel:WORD_1
	v_pack_b32_f16 v5, v18, v19
	ds_read_u16 v13, v94 offset:96
	ds_read_u16 v18, v158 offset:144
	;; [unrolled: 1-line block ×4, first 2 shown]
	v_cvt_f32_f16_e32 v52, v16
	v_cvt_f32_f16_sdwa v53, v16 dst_sel:DWORD dst_unused:UNUSED_PAD src0_sel:WORD_1
	s_waitcnt lgkmcnt(2)
	v_perm_b32 v16, v18, v13, s76
	s_waitcnt lgkmcnt(0)
	v_perm_b32 v17, v20, v19, s76
	s_nop 1
	v_mfma_f32_16x16x16_f16 v[16:19], v[16:17], v[8:9], v[50:53]
	ds_read_u16 v20, v103 offset:4608
	s_nop 1
	ds_read_u16 v50, v104 offset:144
	ds_read_u16 v51, v159 offset:288
	;; [unrolled: 1-line block ×3, first 2 shown]
	s_waitcnt lgkmcnt(0)
	s_barrier
	v_cvt_f16_f32_e32 v8, v16
	v_cvt_f16_f32_e32 v9, v17
	;; [unrolled: 1-line block ×4, first 2 shown]
	v_cvt_f32_f16_e32 v16, v8
	v_cvt_f32_f16_e32 v17, v9
	v_perm_b32 v9, v52, v51, s76
	v_perm_b32 v8, v50, v20, s76
	v_cvt_f32_f16_e32 v18, v13
	v_cvt_f32_f16_e32 v19, v19
	s_nop 1
	v_mfma_f32_16x16x16_f16 v[6:9], v[8:9], v[6:7], v[16:19]
	s_nop 6
	v_cvt_f16_f32_e32 v6, v6
	v_cvt_f16_f32_e32 v7, v7
	;; [unrolled: 1-line block ×4, first 2 shown]
	v_pack_b32_f16 v6, v6, v7
	v_pack_b32_f16 v7, v8, v9
	ds_bpermute_b32 v8, v11, v15
	s_waitcnt lgkmcnt(0)
	v_add_f32_e32 v8, v15, v8
	ds_bpermute_b32 v9, v21, v8
	s_waitcnt lgkmcnt(0)
	v_add_f32_e32 v11, v8, v9
	s_and_saveexec_b64 s[26:27], s[24:25]
	s_xor_b64 s[26:27], exec, s[26:27]
	s_andn2_saveexec_b64 s[26:27], s[26:27]
	s_cbranch_execz .LBB0_157
; %bb.156:                              ;   in Loop: Header=BB0_14 Depth=1
	global_load_dword v9, v2, s[98:99]
	v_max_f32_e32 v13, v10, v10
	s_waitcnt vmcnt(0)
	v_max_f32_e32 v8, v9, v9
	v_max_f32_e32 v8, v13, v8
	v_sub_f32_e32 v10, v10, v8
	v_mul_f32_e32 v13, 0x3fb8aa3b, v10
	v_fma_f32 v15, v10, s93, -v13
	v_rndne_f32_e32 v16, v13
	v_fmac_f32_e32 v15, 0x32a5705f, v10
	v_sub_f32_e32 v13, v13, v16
	v_add_f32_e32 v13, v13, v15
	v_exp_f32_e32 v13, v13
	v_cvt_i32_f32_e32 v15, v16
	v_cmp_ngt_f32_e32 vcc, s22, v10
	v_sub_f32_e32 v9, v9, v8
	v_ldexp_f32 v13, v13, v15
	v_cndmask_b32_e32 v13, 0, v13, vcc
	v_cmp_nlt_f32_e32 vcc, s73, v10
	s_nop 1
	v_cndmask_b32_e32 v13, v170, v13, vcc
	v_cmp_le_f32_e32 vcc, s23, v10
	s_nop 1
	v_cndmask_b32_e32 v10, 0, v13, vcc
	v_cvt_f16_f32_e32 v13, v10
	v_cmp_ngt_f32_e32 vcc, s22, v9
	v_pk_mul_f16 v4, v13, v4 op_sel_hi:[0,1]
	v_pk_mul_f16 v1, v13, v1 op_sel_hi:[0,1]
	;; [unrolled: 1-line block ×8, first 2 shown]
	v_mul_f32_e32 v13, 0x3fb8aa3b, v9
	v_fma_f32 v15, v9, s93, -v13
	v_rndne_f32_e32 v16, v13
	v_fmac_f32_e32 v15, 0x32a5705f, v9
	v_sub_f32_e32 v13, v13, v16
	v_add_f32_e32 v13, v13, v15
	v_exp_f32_e32 v13, v13
	v_cvt_i32_f32_e32 v15, v16
	v_ldexp_f32 v13, v13, v15
	v_cndmask_b32_e32 v13, 0, v13, vcc
	v_cmp_nlt_f32_e32 vcc, s73, v9
	s_nop 1
	v_cndmask_b32_e32 v9, v170, v13, vcc
	v_fmac_f32_e32 v9, v11, v10
	v_mov_b64_e32 v[10:11], v[8:9]
.LBB0_157:                              ;   in Loop: Header=BB0_14 Depth=1
	s_or_b64 exec, exec, s[26:27]
	s_mov_b64 s[26:27], exec
	v_readlane_b32 s24, v191, 56
	v_readlane_b32 s25, v191, 57
	s_and_b64 s[24:25], s[26:27], s[24:25]
	s_mov_b64 exec, s[24:25]
	s_cbranch_execz .LBB0_159
; %bb.158:                              ;   in Loop: Header=BB0_14 Depth=1
	v_add_u32_e32 v8, 0, v117
	ds_write2_b32 v8, v10, v11 offset0:32 offset1:33
.LBB0_159:                              ;   in Loop: Header=BB0_14 Depth=1
	s_or_b64 exec, exec, s[26:27]
	v_readlane_b32 s26, v191, 54
	v_readlane_b32 s27, v191, 55
	s_waitcnt lgkmcnt(0)
	s_barrier
	s_and_saveexec_b64 s[24:25], s[26:27]
	s_xor_b64 s[26:27], exec, s[24:25]
	s_cbranch_execz .LBB0_161
; %bb.160:                              ;   in Loop: Header=BB0_14 Depth=1
	s_barrier
	s_waitcnt lgkmcnt(0)
                                        ; implicit-def: $vgpr21
.LBB0_161:                              ;   in Loop: Header=BB0_14 Depth=1
	s_andn2_saveexec_b64 s[26:27], s[26:27]
	s_cbranch_execz .LBB0_165
; %bb.162:                              ;   in Loop: Header=BB0_14 Depth=1
	v_add_u32_e32 v10, 0, v118
	ds_read_b64 v[8:9], v10 offset:128
	s_waitcnt lgkmcnt(0)
	s_barrier
	ds_bpermute_b32 v11, v21, v8
	v_max_f32_e32 v13, v8, v8
	s_waitcnt lgkmcnt(0)
	v_max_f32_e32 v11, v11, v11
	v_max_f32_e32 v11, v13, v11
	v_sub_f32_e32 v8, v8, v11
	v_mul_f32_e32 v11, 0x3fb8aa3b, v8
	v_fma_f32 v13, v8, s93, -v11
	v_rndne_f32_e32 v15, v11
	v_fmac_f32_e32 v13, 0x32a5705f, v8
	v_sub_f32_e32 v11, v11, v15
	v_add_f32_e32 v11, v11, v13
	v_cvt_i32_f32_e32 v15, v15
	v_exp_f32_e32 v11, v11
	v_cmp_ngt_f32_e32 vcc, s22, v8
	v_ldexp_f32 v11, v11, v15
	s_nop 0
	v_cndmask_b32_e32 v11, 0, v11, vcc
	v_cmp_nlt_f32_e32 vcc, s73, v8
	s_nop 1
	v_cndmask_b32_e32 v8, v170, v11, vcc
	v_mul_f32_e32 v9, v9, v8
	ds_bpermute_b32 v11, v21, v9
	s_mov_b64 s[30:31], exec
	v_readlane_b32 s24, v191, 58
	v_readlane_b32 s25, v191, 59
	s_and_b64 s[24:25], s[30:31], s[24:25]
	s_mov_b64 exec, s[24:25]
	s_cbranch_execz .LBB0_164
; %bb.163:                              ;   in Loop: Header=BB0_14 Depth=1
	s_waitcnt lgkmcnt(0)
	v_add_f32_e32 v9, v9, v11
	ds_write_b64 v10, v[8:9] offset:128
.LBB0_164:                              ;   in Loop: Header=BB0_14 Depth=1
	s_or_b64 exec, exec, s[30:31]
.LBB0_165:                              ;   in Loop: Header=BB0_14 Depth=1
	s_or_b64 exec, exec, s[26:27]
	ds_write2_b32 v119, v4, v1 offset1:1
	ds_write2_b32 v119, v12, v3 offset0:8 offset1:9
	ds_write2_b32 v119, v14, v5 offset0:16 offset1:17
	;; [unrolled: 1-line block ×3, first 2 shown]
	s_waitcnt lgkmcnt(0)
	s_barrier
	s_and_saveexec_b64 s[26:27], s[34:35]
	s_cbranch_execz .LBB0_12
; %bb.166:                              ;   in Loop: Header=BB0_14 Depth=1
	v_add_u32_e32 v3, s94, v106
	v_cmp_gt_i32_e32 vcc, s72, v3
	v_mov_b32_e32 v1, 0x47
	s_and_saveexec_b64 s[30:31], vcc
	s_cbranch_execz .LBB0_168
; %bb.167:                              ;   in Loop: Header=BB0_14 Depth=1
	v_readlane_b32 s2, v191, 42
	v_readlane_b32 s24, v191, 63
	;; [unrolled: 1-line block ×3, first 2 shown]
	v_mul_lo_u32 v1, s2, v3
	v_add_u32_e32 v3, 0, v121
	ds_read2_b32 v[4:5], v3 offset0:32 offset1:33
	ds_read2st64_b32 v[6:7], v122 offset1:9
	ds_read_b32 v8, v3 offset:2432
	v_or_b32_e32 v10, v1, v32
	v_ashrrev_i32_e32 v11, 31, v10
	v_lshl_add_u64 v[10:11], v[10:11], 3, s[24:25]
	s_waitcnt lgkmcnt(1)
	v_cvt_f32_f16_sdwa v13, v6 dst_sel:DWORD dst_unused:UNUSED_PAD src0_sel:WORD_1
	v_cvt_f32_f16_e32 v12, v6
	v_cvt_f32_f16_sdwa v15, v7 dst_sel:DWORD dst_unused:UNUSED_PAD src0_sel:WORD_1
	v_cvt_f32_f16_e32 v14, v7
	v_pk_fma_f32 v[12:13], v[4:5], v[12:13], 0 op_sel_hi:[0,1,0]
	s_waitcnt lgkmcnt(0)
	v_pk_fma_f32 v[6:7], v[8:9], v[14:15], v[12:13] op_sel_hi:[0,1,1]
	v_div_scale_f32 v1, s[24:25], v5, v5, v7
	v_rcp_f32_e32 v3, v1
	s_nop 0
	v_fma_f32 v4, -v1, v3, 1.0
	v_fmac_f32_e32 v3, v4, v3
	v_div_scale_f32 v4, vcc, v7, v5, v7
	v_mul_f32_e32 v8, v4, v3
	v_fma_f32 v9, -v1, v8, v4
	v_fmac_f32_e32 v8, v9, v3
	v_fma_f32 v1, -v1, v8, v4
	v_div_fmas_f32 v1, v1, v3, v8
	v_div_fixup_f32 v7, v1, v5, v7
	v_div_scale_f32 v1, s[24:25], v5, v5, v6
	v_rcp_f32_e32 v3, v1
	s_nop 0
	v_fma_f32 v4, -v1, v3, 1.0
	v_fmac_f32_e32 v3, v4, v3
	v_div_scale_f32 v4, vcc, v6, v5, v6
	v_mul_f32_e32 v8, v4, v3
	v_fma_f32 v9, -v1, v8, v4
	v_fmac_f32_e32 v8, v9, v3
	v_fma_f32 v1, -v1, v8, v4
	v_div_fmas_f32 v1, v1, v3, v8
	v_div_fixup_f32 v6, v1, v5, v6
	v_mov_b32_e32 v1, 0
	global_store_dwordx2 v[10:11], v[6:7], off
.LBB0_168:                              ;   in Loop: Header=BB0_14 Depth=1
	s_or_b64 exec, exec, s[30:31]
	s_movk_i32 s2, 0x47
	v_cmp_gt_i32_e32 vcc, s2, v1
	s_mov_b64 s[30:31], -1
	s_and_saveexec_b64 s[34:35], vcc
; %bb.169:                              ;   in Loop: Header=BB0_14 Depth=1
	v_cmp_eq_u32_e32 vcc, 0, v1
	s_orn2_b64 s[30:31], vcc, exec
; %bb.170:                              ;   in Loop: Header=BB0_14 Depth=1
	s_or_b64 exec, exec, s[34:35]
	s_and_b64 exec, exec, s[30:31]
	s_cbranch_execz .LBB0_12
; %bb.171:                              ;   in Loop: Header=BB0_14 Depth=1
	v_add_u32_e32 v3, s94, v107
	v_cmp_gt_i32_e32 vcc, s72, v3
	v_mov_b32_e32 v1, 0x47
	s_and_saveexec_b64 s[30:31], vcc
	s_cbranch_execz .LBB0_173
; %bb.172:                              ;   in Loop: Header=BB0_14 Depth=1
	v_readlane_b32 s2, v191, 42
	v_readlane_b32 s24, v191, 63
	;; [unrolled: 1-line block ×3, first 2 shown]
	v_mul_lo_u32 v1, s2, v3
	v_add_u32_e32 v3, 0, v123
	ds_read2_b32 v[4:5], v3 offset0:32 offset1:33
	ds_read2st64_b32 v[6:7], v124 offset1:9
	ds_read_b32 v8, v3 offset:2432
	v_or_b32_e32 v10, v1, v32
	v_ashrrev_i32_e32 v11, 31, v10
	v_lshl_add_u64 v[10:11], v[10:11], 3, s[24:25]
	s_waitcnt lgkmcnt(1)
	v_cvt_f32_f16_sdwa v13, v6 dst_sel:DWORD dst_unused:UNUSED_PAD src0_sel:WORD_1
	v_cvt_f32_f16_e32 v12, v6
	v_cvt_f32_f16_sdwa v15, v7 dst_sel:DWORD dst_unused:UNUSED_PAD src0_sel:WORD_1
	v_cvt_f32_f16_e32 v14, v7
	v_pk_fma_f32 v[12:13], v[4:5], v[12:13], 0 op_sel_hi:[0,1,0]
	s_waitcnt lgkmcnt(0)
	v_pk_fma_f32 v[6:7], v[8:9], v[14:15], v[12:13] op_sel_hi:[0,1,1]
	v_div_scale_f32 v1, s[24:25], v5, v5, v7
	v_rcp_f32_e32 v3, v1
	s_nop 0
	v_fma_f32 v4, -v1, v3, 1.0
	v_fmac_f32_e32 v3, v4, v3
	v_div_scale_f32 v4, vcc, v7, v5, v7
	v_mul_f32_e32 v8, v4, v3
	v_fma_f32 v9, -v1, v8, v4
	v_fmac_f32_e32 v8, v9, v3
	v_fma_f32 v1, -v1, v8, v4
	v_div_fmas_f32 v1, v1, v3, v8
	v_div_fixup_f32 v7, v1, v5, v7
	v_div_scale_f32 v1, s[24:25], v5, v5, v6
	v_rcp_f32_e32 v3, v1
	s_nop 0
	v_fma_f32 v4, -v1, v3, 1.0
	v_fmac_f32_e32 v3, v4, v3
	v_div_scale_f32 v4, vcc, v6, v5, v6
	v_mul_f32_e32 v8, v4, v3
	v_fma_f32 v9, -v1, v8, v4
	v_fmac_f32_e32 v8, v9, v3
	v_fma_f32 v1, -v1, v8, v4
	v_div_fmas_f32 v1, v1, v3, v8
	v_div_fixup_f32 v6, v1, v5, v6
	v_mov_b32_e32 v1, 0
	global_store_dwordx2 v[10:11], v[6:7], off
.LBB0_173:                              ;   in Loop: Header=BB0_14 Depth=1
	s_or_b64 exec, exec, s[30:31]
	s_movk_i32 s2, 0x47
	v_cmp_gt_i32_e32 vcc, s2, v1
	s_mov_b64 s[30:31], -1
	s_and_saveexec_b64 s[34:35], vcc
; %bb.174:                              ;   in Loop: Header=BB0_14 Depth=1
	v_cmp_eq_u32_e32 vcc, 0, v1
	s_orn2_b64 s[30:31], vcc, exec
; %bb.175:                              ;   in Loop: Header=BB0_14 Depth=1
	s_or_b64 exec, exec, s[34:35]
	s_and_b64 exec, exec, s[30:31]
	s_cbranch_execz .LBB0_12
; %bb.176:                              ;   in Loop: Header=BB0_14 Depth=1
	v_add_u32_e32 v3, s94, v108
	v_cmp_gt_i32_e32 vcc, s72, v3
	v_mov_b32_e32 v1, 0x47
	s_and_saveexec_b64 s[30:31], vcc
	s_cbranch_execz .LBB0_178
; %bb.177:                              ;   in Loop: Header=BB0_14 Depth=1
	v_readlane_b32 s2, v191, 42
	v_readlane_b32 s24, v191, 63
	;; [unrolled: 1-line block ×3, first 2 shown]
	v_mul_lo_u32 v1, s2, v3
	v_add_u32_e32 v3, 0, v125
	ds_read2_b32 v[4:5], v3 offset0:32 offset1:33
	ds_read2st64_b32 v[6:7], v126 offset1:9
	ds_read_b32 v8, v3 offset:2432
	v_or_b32_e32 v10, v1, v32
	v_ashrrev_i32_e32 v11, 31, v10
	v_lshl_add_u64 v[10:11], v[10:11], 3, s[24:25]
	s_waitcnt lgkmcnt(1)
	v_cvt_f32_f16_sdwa v13, v6 dst_sel:DWORD dst_unused:UNUSED_PAD src0_sel:WORD_1
	v_cvt_f32_f16_e32 v12, v6
	v_cvt_f32_f16_sdwa v15, v7 dst_sel:DWORD dst_unused:UNUSED_PAD src0_sel:WORD_1
	v_cvt_f32_f16_e32 v14, v7
	v_pk_fma_f32 v[12:13], v[4:5], v[12:13], 0 op_sel_hi:[0,1,0]
	s_waitcnt lgkmcnt(0)
	v_pk_fma_f32 v[6:7], v[8:9], v[14:15], v[12:13] op_sel_hi:[0,1,1]
	v_div_scale_f32 v1, s[24:25], v5, v5, v7
	v_rcp_f32_e32 v3, v1
	s_nop 0
	v_fma_f32 v4, -v1, v3, 1.0
	v_fmac_f32_e32 v3, v4, v3
	v_div_scale_f32 v4, vcc, v7, v5, v7
	v_mul_f32_e32 v8, v4, v3
	v_fma_f32 v9, -v1, v8, v4
	v_fmac_f32_e32 v8, v9, v3
	v_fma_f32 v1, -v1, v8, v4
	v_div_fmas_f32 v1, v1, v3, v8
	v_div_fixup_f32 v7, v1, v5, v7
	v_div_scale_f32 v1, s[24:25], v5, v5, v6
	v_rcp_f32_e32 v3, v1
	s_nop 0
	v_fma_f32 v4, -v1, v3, 1.0
	v_fmac_f32_e32 v3, v4, v3
	v_div_scale_f32 v4, vcc, v6, v5, v6
	v_mul_f32_e32 v8, v4, v3
	v_fma_f32 v9, -v1, v8, v4
	v_fmac_f32_e32 v8, v9, v3
	v_fma_f32 v1, -v1, v8, v4
	v_div_fmas_f32 v1, v1, v3, v8
	v_div_fixup_f32 v6, v1, v5, v6
	v_mov_b32_e32 v1, 0
	global_store_dwordx2 v[10:11], v[6:7], off
.LBB0_178:                              ;   in Loop: Header=BB0_14 Depth=1
	s_or_b64 exec, exec, s[30:31]
	s_movk_i32 s2, 0x47
	v_cmp_gt_i32_e32 vcc, s2, v1
	s_mov_b64 s[30:31], -1
	s_and_saveexec_b64 s[34:35], vcc
; %bb.179:                              ;   in Loop: Header=BB0_14 Depth=1
	v_cmp_eq_u32_e32 vcc, 0, v1
	s_orn2_b64 s[30:31], vcc, exec
; %bb.180:                              ;   in Loop: Header=BB0_14 Depth=1
	s_or_b64 exec, exec, s[34:35]
	s_and_b64 exec, exec, s[30:31]
	s_cbranch_execz .LBB0_12
; %bb.181:                              ;   in Loop: Header=BB0_14 Depth=1
	v_add_u32_e32 v3, s94, v109
	v_cmp_gt_i32_e32 vcc, s72, v3
	v_mov_b32_e32 v1, 0x47
	s_and_saveexec_b64 s[30:31], vcc
	s_cbranch_execz .LBB0_183
; %bb.182:                              ;   in Loop: Header=BB0_14 Depth=1
	v_readlane_b32 s2, v191, 42
	v_readlane_b32 s24, v191, 63
	;; [unrolled: 1-line block ×3, first 2 shown]
	v_mul_lo_u32 v1, s2, v3
	v_add_u32_e32 v3, 0, v127
	ds_read2_b32 v[4:5], v3 offset0:32 offset1:33
	ds_read2st64_b32 v[6:7], v128 offset1:9
	ds_read_b32 v8, v3 offset:2432
	v_or_b32_e32 v10, v1, v32
	v_ashrrev_i32_e32 v11, 31, v10
	v_lshl_add_u64 v[10:11], v[10:11], 3, s[24:25]
	s_waitcnt lgkmcnt(1)
	v_cvt_f32_f16_sdwa v13, v6 dst_sel:DWORD dst_unused:UNUSED_PAD src0_sel:WORD_1
	v_cvt_f32_f16_e32 v12, v6
	v_cvt_f32_f16_sdwa v15, v7 dst_sel:DWORD dst_unused:UNUSED_PAD src0_sel:WORD_1
	v_cvt_f32_f16_e32 v14, v7
	v_pk_fma_f32 v[12:13], v[4:5], v[12:13], 0 op_sel_hi:[0,1,0]
	s_waitcnt lgkmcnt(0)
	v_pk_fma_f32 v[6:7], v[8:9], v[14:15], v[12:13] op_sel_hi:[0,1,1]
	v_div_scale_f32 v1, s[24:25], v5, v5, v7
	v_rcp_f32_e32 v3, v1
	s_nop 0
	v_fma_f32 v4, -v1, v3, 1.0
	v_fmac_f32_e32 v3, v4, v3
	v_div_scale_f32 v4, vcc, v7, v5, v7
	v_mul_f32_e32 v8, v4, v3
	v_fma_f32 v9, -v1, v8, v4
	v_fmac_f32_e32 v8, v9, v3
	v_fma_f32 v1, -v1, v8, v4
	v_div_fmas_f32 v1, v1, v3, v8
	v_div_fixup_f32 v7, v1, v5, v7
	v_div_scale_f32 v1, s[24:25], v5, v5, v6
	v_rcp_f32_e32 v3, v1
	s_nop 0
	v_fma_f32 v4, -v1, v3, 1.0
	v_fmac_f32_e32 v3, v4, v3
	v_div_scale_f32 v4, vcc, v6, v5, v6
	v_mul_f32_e32 v8, v4, v3
	v_fma_f32 v9, -v1, v8, v4
	v_fmac_f32_e32 v8, v9, v3
	v_fma_f32 v1, -v1, v8, v4
	v_div_fmas_f32 v1, v1, v3, v8
	v_div_fixup_f32 v6, v1, v5, v6
	v_mov_b32_e32 v1, 0
	global_store_dwordx2 v[10:11], v[6:7], off
.LBB0_183:                              ;   in Loop: Header=BB0_14 Depth=1
	s_or_b64 exec, exec, s[30:31]
	s_movk_i32 s2, 0x47
	v_cmp_gt_i32_e32 vcc, s2, v1
	s_mov_b64 s[30:31], -1
	s_and_saveexec_b64 s[34:35], vcc
; %bb.184:                              ;   in Loop: Header=BB0_14 Depth=1
	v_cmp_eq_u32_e32 vcc, 0, v1
	s_orn2_b64 s[30:31], vcc, exec
; %bb.185:                              ;   in Loop: Header=BB0_14 Depth=1
	s_or_b64 exec, exec, s[34:35]
	s_and_b64 exec, exec, s[30:31]
	s_cbranch_execz .LBB0_12
; %bb.186:                              ;   in Loop: Header=BB0_14 Depth=1
	v_add_u32_e32 v3, s94, v110
	v_cmp_gt_i32_e32 vcc, s72, v3
	v_mov_b32_e32 v1, 0x47
	s_and_saveexec_b64 s[30:31], vcc
	s_cbranch_execz .LBB0_188
; %bb.187:                              ;   in Loop: Header=BB0_14 Depth=1
	v_readlane_b32 s2, v191, 42
	v_readlane_b32 s24, v191, 63
	;; [unrolled: 1-line block ×3, first 2 shown]
	v_mul_lo_u32 v1, s2, v3
	v_add_u32_e32 v3, 0, v129
	ds_read2_b32 v[4:5], v3 offset0:32 offset1:33
	ds_read2st64_b32 v[6:7], v130 offset1:9
	ds_read_b32 v8, v3 offset:2432
	v_or_b32_e32 v10, v1, v32
	v_ashrrev_i32_e32 v11, 31, v10
	v_lshl_add_u64 v[10:11], v[10:11], 3, s[24:25]
	s_waitcnt lgkmcnt(1)
	v_cvt_f32_f16_sdwa v13, v6 dst_sel:DWORD dst_unused:UNUSED_PAD src0_sel:WORD_1
	v_cvt_f32_f16_e32 v12, v6
	v_cvt_f32_f16_sdwa v15, v7 dst_sel:DWORD dst_unused:UNUSED_PAD src0_sel:WORD_1
	v_cvt_f32_f16_e32 v14, v7
	v_pk_fma_f32 v[12:13], v[4:5], v[12:13], 0 op_sel_hi:[0,1,0]
	s_waitcnt lgkmcnt(0)
	v_pk_fma_f32 v[6:7], v[8:9], v[14:15], v[12:13] op_sel_hi:[0,1,1]
	v_div_scale_f32 v1, s[24:25], v5, v5, v7
	v_rcp_f32_e32 v3, v1
	s_nop 0
	v_fma_f32 v4, -v1, v3, 1.0
	v_fmac_f32_e32 v3, v4, v3
	v_div_scale_f32 v4, vcc, v7, v5, v7
	v_mul_f32_e32 v8, v4, v3
	v_fma_f32 v9, -v1, v8, v4
	v_fmac_f32_e32 v8, v9, v3
	v_fma_f32 v1, -v1, v8, v4
	v_div_fmas_f32 v1, v1, v3, v8
	v_div_fixup_f32 v7, v1, v5, v7
	v_div_scale_f32 v1, s[24:25], v5, v5, v6
	v_rcp_f32_e32 v3, v1
	s_nop 0
	v_fma_f32 v4, -v1, v3, 1.0
	v_fmac_f32_e32 v3, v4, v3
	v_div_scale_f32 v4, vcc, v6, v5, v6
	v_mul_f32_e32 v8, v4, v3
	v_fma_f32 v9, -v1, v8, v4
	v_fmac_f32_e32 v8, v9, v3
	v_fma_f32 v1, -v1, v8, v4
	v_div_fmas_f32 v1, v1, v3, v8
	v_div_fixup_f32 v6, v1, v5, v6
	v_mov_b32_e32 v1, 0
	global_store_dwordx2 v[10:11], v[6:7], off
.LBB0_188:                              ;   in Loop: Header=BB0_14 Depth=1
	s_or_b64 exec, exec, s[30:31]
	s_movk_i32 s2, 0x47
	v_cmp_gt_i32_e32 vcc, s2, v1
	s_mov_b64 s[30:31], -1
	s_and_saveexec_b64 s[34:35], vcc
; %bb.189:                              ;   in Loop: Header=BB0_14 Depth=1
	v_cmp_eq_u32_e32 vcc, 0, v1
	s_orn2_b64 s[30:31], vcc, exec
; %bb.190:                              ;   in Loop: Header=BB0_14 Depth=1
	s_or_b64 exec, exec, s[34:35]
	s_and_b64 exec, exec, s[30:31]
	s_cbranch_execz .LBB0_12
; %bb.191:                              ;   in Loop: Header=BB0_14 Depth=1
	v_add_u32_e32 v3, s94, v111
	v_cmp_gt_i32_e32 vcc, s72, v3
	v_mov_b32_e32 v1, 0x47
	s_and_saveexec_b64 s[30:31], vcc
	s_cbranch_execz .LBB0_193
; %bb.192:                              ;   in Loop: Header=BB0_14 Depth=1
	v_readlane_b32 s2, v191, 42
	v_readlane_b32 s24, v191, 63
	;; [unrolled: 1-line block ×3, first 2 shown]
	v_mul_lo_u32 v1, s2, v3
	v_add_u32_e32 v3, 0, v131
	ds_read2_b32 v[4:5], v3 offset0:32 offset1:33
	ds_read2st64_b32 v[6:7], v132 offset1:9
	ds_read_b32 v8, v3 offset:2432
	v_or_b32_e32 v10, v1, v32
	v_ashrrev_i32_e32 v11, 31, v10
	v_lshl_add_u64 v[10:11], v[10:11], 3, s[24:25]
	s_waitcnt lgkmcnt(1)
	v_cvt_f32_f16_sdwa v13, v6 dst_sel:DWORD dst_unused:UNUSED_PAD src0_sel:WORD_1
	v_cvt_f32_f16_e32 v12, v6
	v_cvt_f32_f16_sdwa v15, v7 dst_sel:DWORD dst_unused:UNUSED_PAD src0_sel:WORD_1
	v_cvt_f32_f16_e32 v14, v7
	v_pk_fma_f32 v[12:13], v[4:5], v[12:13], 0 op_sel_hi:[0,1,0]
	s_waitcnt lgkmcnt(0)
	v_pk_fma_f32 v[6:7], v[8:9], v[14:15], v[12:13] op_sel_hi:[0,1,1]
	v_div_scale_f32 v1, s[24:25], v5, v5, v7
	v_rcp_f32_e32 v3, v1
	s_nop 0
	v_fma_f32 v4, -v1, v3, 1.0
	v_fmac_f32_e32 v3, v4, v3
	v_div_scale_f32 v4, vcc, v7, v5, v7
	v_mul_f32_e32 v8, v4, v3
	v_fma_f32 v9, -v1, v8, v4
	v_fmac_f32_e32 v8, v9, v3
	v_fma_f32 v1, -v1, v8, v4
	v_div_fmas_f32 v1, v1, v3, v8
	v_div_fixup_f32 v7, v1, v5, v7
	v_div_scale_f32 v1, s[24:25], v5, v5, v6
	v_rcp_f32_e32 v3, v1
	s_nop 0
	v_fma_f32 v4, -v1, v3, 1.0
	v_fmac_f32_e32 v3, v4, v3
	v_div_scale_f32 v4, vcc, v6, v5, v6
	v_mul_f32_e32 v8, v4, v3
	v_fma_f32 v9, -v1, v8, v4
	v_fmac_f32_e32 v8, v9, v3
	v_fma_f32 v1, -v1, v8, v4
	v_div_fmas_f32 v1, v1, v3, v8
	v_div_fixup_f32 v6, v1, v5, v6
	v_mov_b32_e32 v1, 0
	global_store_dwordx2 v[10:11], v[6:7], off
.LBB0_193:                              ;   in Loop: Header=BB0_14 Depth=1
	s_or_b64 exec, exec, s[30:31]
	s_movk_i32 s2, 0x47
	v_cmp_gt_i32_e32 vcc, s2, v1
	s_mov_b64 s[30:31], -1
	s_and_saveexec_b64 s[34:35], vcc
; %bb.194:                              ;   in Loop: Header=BB0_14 Depth=1
	v_cmp_eq_u32_e32 vcc, 0, v1
	s_orn2_b64 s[30:31], vcc, exec
; %bb.195:                              ;   in Loop: Header=BB0_14 Depth=1
	s_or_b64 exec, exec, s[34:35]
	s_and_b64 exec, exec, s[30:31]
	s_cbranch_execz .LBB0_12
; %bb.196:                              ;   in Loop: Header=BB0_14 Depth=1
	v_add_u32_e32 v3, s94, v112
	v_cmp_gt_i32_e32 vcc, s72, v3
	v_mov_b32_e32 v1, 0x47
	s_and_saveexec_b64 s[30:31], vcc
	s_cbranch_execz .LBB0_198
; %bb.197:                              ;   in Loop: Header=BB0_14 Depth=1
	v_readlane_b32 s2, v191, 42
	v_readlane_b32 s24, v191, 63
	;; [unrolled: 1-line block ×3, first 2 shown]
	v_mul_lo_u32 v1, s2, v3
	v_add_u32_e32 v3, 0, v133
	ds_read2_b32 v[4:5], v3 offset0:32 offset1:33
	ds_read2st64_b32 v[6:7], v134 offset1:9
	ds_read_b32 v8, v3 offset:2432
	v_or_b32_e32 v10, v1, v32
	v_ashrrev_i32_e32 v11, 31, v10
	v_lshl_add_u64 v[10:11], v[10:11], 3, s[24:25]
	s_waitcnt lgkmcnt(1)
	v_cvt_f32_f16_sdwa v13, v6 dst_sel:DWORD dst_unused:UNUSED_PAD src0_sel:WORD_1
	v_cvt_f32_f16_e32 v12, v6
	v_cvt_f32_f16_sdwa v15, v7 dst_sel:DWORD dst_unused:UNUSED_PAD src0_sel:WORD_1
	v_cvt_f32_f16_e32 v14, v7
	v_pk_fma_f32 v[12:13], v[4:5], v[12:13], 0 op_sel_hi:[0,1,0]
	s_waitcnt lgkmcnt(0)
	v_pk_fma_f32 v[6:7], v[8:9], v[14:15], v[12:13] op_sel_hi:[0,1,1]
	v_div_scale_f32 v1, s[24:25], v5, v5, v7
	v_rcp_f32_e32 v3, v1
	s_nop 0
	v_fma_f32 v4, -v1, v3, 1.0
	v_fmac_f32_e32 v3, v4, v3
	v_div_scale_f32 v4, vcc, v7, v5, v7
	v_mul_f32_e32 v8, v4, v3
	v_fma_f32 v9, -v1, v8, v4
	v_fmac_f32_e32 v8, v9, v3
	v_fma_f32 v1, -v1, v8, v4
	v_div_fmas_f32 v1, v1, v3, v8
	v_div_fixup_f32 v7, v1, v5, v7
	v_div_scale_f32 v1, s[24:25], v5, v5, v6
	v_rcp_f32_e32 v3, v1
	s_nop 0
	v_fma_f32 v4, -v1, v3, 1.0
	v_fmac_f32_e32 v3, v4, v3
	v_div_scale_f32 v4, vcc, v6, v5, v6
	v_mul_f32_e32 v8, v4, v3
	v_fma_f32 v9, -v1, v8, v4
	v_fmac_f32_e32 v8, v9, v3
	v_fma_f32 v1, -v1, v8, v4
	v_div_fmas_f32 v1, v1, v3, v8
	v_div_fixup_f32 v6, v1, v5, v6
	v_mov_b32_e32 v1, 0
	global_store_dwordx2 v[10:11], v[6:7], off
.LBB0_198:                              ;   in Loop: Header=BB0_14 Depth=1
	s_or_b64 exec, exec, s[30:31]
	s_movk_i32 s2, 0x47
	v_cmp_gt_i32_e32 vcc, s2, v1
	s_mov_b64 s[30:31], -1
	s_and_saveexec_b64 s[34:35], vcc
; %bb.199:                              ;   in Loop: Header=BB0_14 Depth=1
	v_cmp_eq_u32_e32 vcc, 0, v1
	s_orn2_b64 s[30:31], vcc, exec
; %bb.200:                              ;   in Loop: Header=BB0_14 Depth=1
	s_or_b64 exec, exec, s[34:35]
	s_and_b64 exec, exec, s[30:31]
	s_cbranch_execz .LBB0_12
; %bb.201:                              ;   in Loop: Header=BB0_14 Depth=1
	v_add_u32_e32 v1, s94, v113
	v_cmp_gt_i32_e32 vcc, s72, v1
	s_and_b64 exec, exec, vcc
	s_cbranch_execz .LBB0_12
; %bb.202:                              ;   in Loop: Header=BB0_14 Depth=1
	v_add_u32_e32 v3, 0, v135
	ds_read2_b32 v[4:5], v3 offset0:32 offset1:33
	ds_read2st64_b32 v[6:7], v136 offset1:9
	ds_read_b32 v8, v3 offset:2432
	v_readlane_b32 s2, v191, 42
	v_readlane_b32 s24, v191, 63
	v_readlane_b32 s25, v190, 0
	s_waitcnt lgkmcnt(1)
	v_cvt_f32_f16_sdwa v13, v6 dst_sel:DWORD dst_unused:UNUSED_PAD src0_sel:WORD_1
	v_cvt_f32_f16_e32 v12, v6
	v_cvt_f32_f16_sdwa v15, v7 dst_sel:DWORD dst_unused:UNUSED_PAD src0_sel:WORD_1
	v_cvt_f32_f16_e32 v14, v7
	v_mul_lo_u32 v1, s2, v1
	v_or_b32_e32 v10, v1, v32
	v_pk_fma_f32 v[12:13], v[4:5], v[12:13], 0 op_sel_hi:[0,1,0]
	v_ashrrev_i32_e32 v11, 31, v10
	s_waitcnt lgkmcnt(0)
	v_pk_fma_f32 v[6:7], v[8:9], v[14:15], v[12:13] op_sel_hi:[0,1,1]
	v_lshl_add_u64 v[10:11], v[10:11], 3, s[24:25]
	v_div_scale_f32 v1, s[24:25], v5, v5, v7
	v_rcp_f32_e32 v3, v1
	s_nop 0
	v_fma_f32 v4, -v1, v3, 1.0
	v_fmac_f32_e32 v3, v4, v3
	v_div_scale_f32 v4, vcc, v7, v5, v7
	v_mul_f32_e32 v8, v4, v3
	v_fma_f32 v9, -v1, v8, v4
	v_fmac_f32_e32 v8, v9, v3
	v_fma_f32 v1, -v1, v8, v4
	v_div_fmas_f32 v1, v1, v3, v8
	v_div_fixup_f32 v7, v1, v5, v7
	v_div_scale_f32 v1, s[24:25], v5, v5, v6
	v_rcp_f32_e32 v3, v1
	s_nop 0
	v_fma_f32 v4, -v1, v3, 1.0
	v_fmac_f32_e32 v3, v4, v3
	v_div_scale_f32 v4, vcc, v6, v5, v6
	v_mul_f32_e32 v8, v4, v3
	v_fma_f32 v9, -v1, v8, v4
	v_fmac_f32_e32 v8, v9, v3
	v_fma_f32 v1, -v1, v8, v4
	v_div_fmas_f32 v1, v1, v3, v8
	v_div_fixup_f32 v6, v1, v5, v6
	global_store_dwordx2 v[10:11], v[6:7], off
	s_branch .LBB0_12
.LBB0_203:
	v_readlane_b32 s16, v191, 30
	v_readlane_b32 s52, v191, 38
	;; [unrolled: 1-line block ×8, first 2 shown]
	s_andn2_b64 vcc, exec, s[24:25]
	s_cbranch_vccnz .LBB0_10
.LBB0_204:
	v_readlane_b32 s6, v191, 7
	s_abs_i32 s0, s6
	v_cvt_f32_u32_e32 v1, s0
	s_sub_i32 s3, 0, s0
	s_abs_i32 s2, s96
	s_xor_b32 s1, s96, s6
	v_rcp_iflag_f32_e32 v1, v1
	s_ashr_i32 s1, s1, 31
	v_readlane_b32 s10, v191, 6
	v_readlane_b32 s7, v191, 3
	v_mul_f32_e32 v1, 0x4f7ffffe, v1
	v_cvt_u32_f32_e32 v1, v1
	s_nop 0
	v_readfirstlane_b32 s4, v1
	s_mul_i32 s3, s3, s4
	s_mul_hi_u32 s3, s4, s3
	s_add_i32 s4, s4, s3
	s_mul_hi_u32 s3, s2, s4
	s_mul_i32 s4, s3, s0
	s_sub_i32 s2, s2, s4
	s_add_i32 s5, s3, 1
	s_sub_i32 s4, s2, s0
	s_cmp_ge_u32 s2, s0
	s_cselect_b32 s3, s5, s3
	s_cselect_b32 s2, s4, s2
	s_add_i32 s4, s3, 1
	s_cmp_ge_u32 s2, s0
	s_cselect_b32 s0, s4, s3
	s_abs_i32 s2, s10
	v_cvt_f32_u32_e32 v1, s2
	s_xor_b32 s0, s0, s1
	s_sub_i32 s3, 0, s2
	s_sub_i32 s8, s0, s1
	v_rcp_iflag_f32_e32 v1, v1
	s_mul_i32 s0, s8, s6
	s_sub_i32 s0, s96, s0
	s_abs_i32 s4, s0
	v_mul_f32_e32 v1, 0x4f7ffffe, v1
	v_cvt_u32_f32_e32 v1, v1
	s_xor_b32 s1, s0, s10
	s_ashr_i32 s1, s1, 31
	v_readfirstlane_b32 s5, v1
	s_mul_i32 s3, s3, s5
	s_mul_hi_u32 s3, s5, s3
	s_add_i32 s5, s5, s3
	s_mul_hi_u32 s3, s4, s5
	s_mul_i32 s5, s3, s2
	s_sub_i32 s4, s4, s5
	s_add_i32 s6, s3, 1
	s_sub_i32 s5, s4, s2
	s_cmp_ge_u32 s4, s2
	s_cselect_b32 s3, s6, s3
	s_cselect_b32 s4, s5, s4
	s_add_i32 s5, s3, 1
	s_cmp_ge_u32 s4, s2
	s_cselect_b32 s2, s5, s3
	s_abs_i32 s3, s7
	v_cvt_f32_u32_e32 v1, s3
	s_xor_b32 s2, s2, s1
	s_sub_i32 s4, 0, s3
	s_sub_i32 s9, s2, s1
	v_rcp_iflag_f32_e32 v1, v1
	s_mul_i32 s1, s9, s10
	s_sub_i32 s1, s0, s1
	s_abs_i32 s2, s1
	v_mul_f32_e32 v1, 0x4f7ffffe, v1
	v_cvt_u32_f32_e32 v1, v1
	s_xor_b32 s0, s1, s7
	s_ashr_i32 s0, s0, 31
	v_readfirstlane_b32 s5, v1
	s_mul_i32 s4, s4, s5
	s_mul_hi_u32 s4, s5, s4
	s_add_i32 s5, s5, s4
	s_mul_hi_u32 s4, s2, s5
	s_mul_i32 s5, s4, s3
	s_sub_i32 s2, s2, s5
	s_add_i32 s6, s4, 1
	s_sub_i32 s5, s2, s3
	s_cmp_ge_u32 s2, s3
	s_cselect_b32 s4, s6, s4
	s_cselect_b32 s2, s5, s2
	s_add_i32 s5, s4, 1
	s_cmp_ge_u32 s2, s3
	s_cselect_b32 s2, s5, s4
	s_xor_b32 s2, s2, s0
	s_sub_i32 s0, s2, s0
	s_mul_i32 s2, s0, s7
	s_sub_i32 s1, s1, s2
	s_abs_i32 s12, s1
	s_ashr_i32 s10, s8, 31
	s_mul_hi_u32 s11, s12, s41
	s_cmp_eq_u64 s[62:63], 0
	s_mov_b64 s[2:3], 0
	s_cbranch_scc1 .LBB0_206
; %bb.205:
	s_abs_i32 s2, s14
	v_cvt_f32_u32_e32 v1, s2
	s_sub_i32 s4, 0, s2
	s_abs_i32 s3, s8
	v_readlane_b32 s6, v191, 15
	v_rcp_iflag_f32_e32 v1, v1
	v_readlane_b32 s7, v191, 16
	v_mul_f32_e32 v1, 0x4f7ffffe, v1
	v_cvt_u32_f32_e32 v1, v1
	s_nop 0
	v_readfirstlane_b32 s5, v1
	s_mul_i32 s4, s4, s5
	s_mul_hi_u32 s4, s5, s4
	s_add_i32 s5, s5, s4
	s_mul_hi_u32 s4, s3, s5
	s_mul_i32 s4, s4, s2
	s_sub_i32 s3, s3, s4
	s_sub_i32 s4, s3, s2
	s_cmp_ge_u32 s3, s2
	s_cselect_b32 s3, s4, s3
	s_sub_i32 s4, s3, s2
	s_cmp_ge_u32 s3, s2
	s_cselect_b32 s2, s4, s3
	s_xor_b32 s2, s2, s10
	s_sub_i32 s2, s2, s10
	s_ashr_i32 s3, s2, 31
	s_mul_i32 s4, s2, s7
	s_mul_hi_u32 s5, s2, s6
	s_add_i32 s4, s5, s4
	s_mul_i32 s3, s3, s6
	s_add_i32 s4, s4, s3
	s_mul_i32 s2, s2, s6
	s_add_u32 s2, s62, s2
	s_addc_u32 s3, s63, s4
.LBB0_206:
	s_ashr_i32 s14, s1, 31
	v_readlane_b32 s1, v191, 2
	s_mul_i32 s13, s9, s1
	s_add_i32 s13, s13, s0
	v_cmp_le_f32_e64 s[0:1], s17, 0
	s_and_b64 vcc, exec, s[0:1]
	v_mov_b32_e32 v24, 1.0
	s_cbranch_vccnz .LBB0_208
; %bb.207:
	v_readlane_b32 s1, v191, 12
	s_sub_i32 s0, s13, s1
	s_lshl_b32 s0, s0, 1
	s_add_i32 s4, s13, 1
	s_or_b32 s5, s0, 1
	s_cmp_lt_u32 s13, s1
	s_cselect_b64 vcc, -1, 0
	s_and_b64 s[0:1], vcc, exec
	v_mov_b32_e32 v1, s19
	v_mov_b32_e32 v2, s18
	s_cselect_b32 s0, s4, s5
	v_cndmask_b32_e32 v18, v1, v2, vcc
	v_cvt_f32_i32_e32 v1, s0
	v_cmp_neq_f32_e32 vcc, 1.0, v18
	s_mov_b32 s0, 0x3f2aaaab
	s_movk_i32 s4, 0x204
	v_cndmask_b32_e32 v19, 1.0, v1, vcc
	v_cmp_eq_f32_e32 vcc, 0, v19
	s_mov_b32 s6, 0x42b17218
	s_mov_b32 s5, 0x7f800000
	v_cndmask_b32_e64 v20, |v18|, 1.0, vcc
	v_frexp_mant_f32_e32 v1, v20
	v_cmp_gt_f32_e64 s[0:1], s0, v1
	s_brev_b32 s15, -2
	s_nop 0
	v_cndmask_b32_e64 v2, 1.0, 2.0, s[0:1]
	v_mul_f32_e32 v1, v1, v2
	v_add_f32_e32 v2, 1.0, v1
	v_rcp_f32_e32 v10, v2
	v_add_f32_e32 v3, -1.0, v2
	v_sub_f32_e32 v5, v1, v3
	v_add_f32_e32 v3, -1.0, v1
	v_mul_f32_e32 v1, v3, v10
	v_mul_f32_e32 v4, v2, v1
	v_fma_f32 v6, v1, v2, -v4
	v_fmac_f32_e32 v6, v1, v5
	v_add_f32_e32 v2, v4, v6
	v_sub_f32_e32 v5, v3, v2
	v_pk_add_f32 v[8:9], v[2:3], v[4:5] neg_lo:[0,1] neg_hi:[0,1]
	v_mov_b32_e32 v7, v2
	v_pk_add_f32 v[2:3], v[8:9], v[6:7] neg_lo:[0,1] neg_hi:[0,1]
	v_mov_b32_e32 v6, 0x3e91f4c4
	v_add_f32_e32 v2, v2, v3
	v_add_f32_e32 v2, v5, v2
	v_mul_f32_e32 v3, v10, v2
	v_add_f32_e32 v2, v1, v3
	v_sub_f32_e32 v1, v2, v1
	v_sub_f32_e32 v1, v3, v1
	v_mul_f32_e32 v3, v2, v2
	v_fma_f32 v5, v2, v2, -v3
	v_add_f32_e32 v4, v1, v1
	v_fmac_f32_e32 v5, v2, v4
	v_add_f32_e32 v4, v3, v5
	v_fmac_f32_e32 v6, 0x3e76c4e1, v4
	v_fmaak_f32 v6, v4, v6, 0x3ecccdef
	v_sub_f32_e32 v3, v4, v3
	v_sub_f32_e32 v12, v5, v3
	v_mul_f32_e32 v3, v4, v6
	v_fma_f32 v5, v4, v6, -v3
	v_fmac_f32_e32 v5, v12, v6
	v_add_f32_e32 v6, v3, v5
	v_add_f32_e32 v7, 0x3f2aaaaa, v6
	v_sub_f32_e32 v3, v6, v3
	v_sub_f32_e32 v3, v5, v3
	v_add_f32_e32 v5, 0xbf2aaaaa, v7
	v_add_f32_e32 v3, 0x31739010, v3
	v_sub_f32_e32 v5, v6, v5
	v_pk_mul_f32 v[8:9], v[2:3], v[4:5]
	v_pk_add_f32 v[10:11], v[2:3], v[4:5]
	v_fma_f32 v6, v4, v2, -v8
	v_fmac_f32_e32 v6, v4, v1
	v_mov_b32_e32 v9, v11
	v_fmac_f32_e32 v6, v12, v2
	v_pk_add_f32 v[4:5], v[8:9], v[6:7]
	v_ldexp_f32 v1, v1, 1
	v_sub_f32_e32 v3, v4, v8
	v_sub_f32_e32 v3, v6, v3
	;; [unrolled: 1-line block ×3, first 2 shown]
	v_add_f32_e32 v9, v11, v6
	v_mov_b32_e32 v6, v5
	v_pk_mul_f32 v[6:7], v[4:5], v[6:7]
	v_cvt_f64_f32_e32 v[10:11], v20
	v_frexp_exp_i32_f64_e32 v7, v[10:11]
	v_subbrev_co_u32_e64 v7, s[0:1], 0, v7, s[0:1]
	v_cvt_f32_i32_e32 v7, v7
	v_fma_f32 v8, v4, v5, -v6
	v_fmac_f32_e32 v8, v4, v9
	s_mov_b32 s0, 0x3f317218
	v_mul_f32_e32 v4, 0x3f317218, v7
	v_fmac_f32_e32 v8, v3, v5
	v_fma_f32 v3, v7, s0, -v4
	v_fmamk_f32 v10, v7, 0xb102e308, v3
	v_ldexp_f32 v11, v2, 1
	v_add_f32_e32 v5, v6, v8
	v_pk_add_f32 v[2:3], v[4:5], v[10:11]
	v_mov_b32_e32 v12, v5
	v_mov_b32_e32 v13, v3
	;; [unrolled: 1-line block ×3, first 2 shown]
	v_pk_add_f32 v[6:7], v[12:13], v[6:7] neg_lo:[0,1] neg_hi:[0,1]
	v_mov_b32_e32 v9, v5
	v_pk_add_f32 v[6:7], v[8:9], v[6:7] neg_lo:[0,1] neg_hi:[0,1]
	v_mov_b32_e32 v11, v2
	v_add_f32_e32 v1, v1, v6
	v_add_f32_e32 v5, v1, v7
	v_pk_add_f32 v[6:7], v[2:3], v[4:5] neg_lo:[0,1] neg_hi:[0,1]
	v_pk_add_f32 v[8:9], v[2:3], v[4:5]
	v_mov_b32_e32 v12, v6
	v_mov_b32_e32 v13, v9
	v_pk_add_f32 v[12:13], v[10:11], v[12:13]
	v_pk_add_f32 v[6:7], v[10:11], v[6:7] neg_lo:[0,1] neg_hi:[0,1]
	v_mov_b32_e32 v4, v13
	v_pk_add_f32 v[14:15], v[4:5], v[2:3] neg_lo:[0,1] neg_hi:[0,1]
	v_mov_b32_e32 v12, v9
	v_mov_b32_e32 v1, v14
	;; [unrolled: 1-line block ×4, first 2 shown]
	v_pk_add_f32 v[16:17], v[8:9], v[0:1] neg_lo:[0,1] neg_hi:[0,1]
	v_pk_add_f32 v[2:3], v[12:13], v[2:3] neg_lo:[0,1] neg_hi:[0,1]
	v_mov_b32_e32 v10, v5
	v_pk_add_f32 v[2:3], v[10:11], v[2:3] neg_lo:[0,1] neg_hi:[0,1]
	v_mov_b32_e32 v16, v6
	v_pk_add_f32 v[8:9], v[16:17], v[2:3]
	v_mov_b32_e32 v7, v13
	v_mov_b32_e32 v10, v9
	v_pk_add_f32 v[10:11], v[8:9], v[10:11]
	s_nop 0
	v_pk_add_f32 v[4:5], v[4:5], v[10:11]
	v_mov_b32_e32 v3, v10
	v_mov_b32_e32 v9, v4
	v_pk_add_f32 v[12:13], v[8:9], v[6:7] neg_lo:[0,1] neg_hi:[0,1]
	s_nop 0
	v_sub_f32_e32 v1, v8, v12
	v_pk_add_f32 v[2:3], v[2:3], v[12:13] neg_lo:[0,1] neg_hi:[0,1]
	v_sub_f32_e32 v1, v6, v1
	v_add_f32_e32 v1, v2, v1
	v_add_f32_e32 v1, v1, v3
	;; [unrolled: 1-line block ×3, first 2 shown]
	v_sub_f32_e32 v3, v2, v4
	v_sub_f32_e32 v1, v1, v3
	v_mul_f32_e32 v3, v19, v2
	v_fma_f32 v2, v19, v2, -v3
	v_fmac_f32_e32 v2, v19, v1
	v_add_f32_e32 v1, v3, v2
	v_cmp_class_f32_e64 s[0:1], v3, s4
	v_sub_f32_e32 v4, v1, v3
	v_sub_f32_e32 v2, v2, v4
	v_cndmask_b32_e64 v1, v1, v3, s[0:1]
	v_mov_b32_e32 v3, 0x37000000
	v_cmp_eq_f32_e64 s[0:1], s6, v1
	s_nop 1
	v_cndmask_b32_e64 v3, 0, v3, s[0:1]
	v_sub_f32_e32 v4, v1, v3
	s_mov_b32 s0, 0x3fb8aa3b
	v_mul_f32_e32 v5, 0x3fb8aa3b, v4
	v_fma_f32 v6, v4, s0, -v5
	v_rndne_f32_e32 v7, v5
	v_fmamk_f32 v6, v4, 0x32a5705f, v6
	v_sub_f32_e32 v5, v5, v7
	v_add_f32_e32 v5, v5, v6
	v_exp_f32_e32 v5, v5
	v_cvt_i32_f32_e32 v6, v7
	v_cmp_neq_f32_e64 s[0:1], |v1|, s5
	s_nop 1
	v_cndmask_b32_e64 v1, 0, v2, s[0:1]
	s_mov_b32 s0, 0xc2ce8ed0
	v_ldexp_f32 v2, v5, v6
	v_cmp_ngt_f32_e64 s[0:1], s0, v4
	v_add_f32_e32 v1, v3, v1
	v_mov_b32_e32 v3, 0x7f800000
	v_cndmask_b32_e64 v2, 0, v2, s[0:1]
	v_cmp_nlt_f32_e64 s[0:1], s6, v4
	v_trunc_f32_e32 v4, v19
	v_mov_b32_e32 v5, 0x7fc00000
	v_cndmask_b32_e64 v2, v3, v2, s[0:1]
	v_fma_f32 v1, v2, v1, v2
	v_cmp_class_f32_e64 s[0:1], v2, s4
	v_cmp_gt_f32_e64 s[6:7], 0, v19
	s_nop 0
	v_cndmask_b32_e64 v1, v1, v2, s[0:1]
	v_cndmask_b32_e64 v2, v18, 1.0, vcc
	v_cmp_eq_f32_e32 vcc, v4, v19
	v_mul_f32_e32 v4, 0.5, v19
	v_trunc_f32_e32 v6, v4
	v_cmp_neq_f32_e64 s[0:1], v6, v4
	s_and_b64 s[0:1], vcc, s[0:1]
	s_nop 0
	v_cndmask_b32_e64 v4, 1.0, v2, s[0:1]
	v_bfi_b32 v1, s15, v1, v4
	v_cndmask_b32_e32 v4, v5, v1, vcc
	v_cmp_gt_f32_e32 vcc, 0, v2
	s_nop 1
	v_cndmask_b32_e32 v1, v1, v4, vcc
	v_cmp_eq_f32_e32 vcc, s5, v20
	v_cmp_eq_f32_e64 s[4:5], 0, v2
	s_xor_b64 s[6:7], s[6:7], s[4:5]
	v_cndmask_b32_e64 v3, v3, 0, s[6:7]
	v_cndmask_b32_e64 v4, 0, v2, s[0:1]
	v_bfi_b32 v3, s15, v3, v4
	s_or_b64 vcc, vcc, s[4:5]
	v_cndmask_b32_e32 v1, v1, v3, vcc
	v_cmp_o_f32_e32 vcc, v2, v2
	s_nop 1
	v_cndmask_b32_e32 v24, v5, v1, vcc
.LBB0_208:
	s_mul_i32 s1, s11, s97
	v_readlane_b32 s0, v191, 23
	s_sub_i32 s1, s12, s1
	s_xor_b32 s0, s14, s0
	s_add_i32 s4, s11, 1
	s_sub_i32 s5, s1, s97
	s_cmp_ge_u32 s1, s97
	s_cselect_b32 s4, s4, s11
	s_cselect_b32 s1, s5, s1
	s_add_i32 s5, s4, 1
	s_cmp_ge_u32 s1, s97
	s_cselect_b32 s1, s5, s4
	s_xor_b32 s1, s1, s0
	s_sub_i32 s4, s1, s0
	s_cmp_eq_u64 s[66:67], 0
	v_mov_b32_e32 v8, s92
	s_cbranch_scc1 .LBB0_210
; %bb.209:
	v_readlane_b32 s0, v191, 0
	s_mul_i32 s0, s8, s0
	s_add_i32 s0, s4, s0
	s_ashr_i32 s1, s0, 31
	s_lshl_b64 s[0:1], s[0:1], 2
	s_add_u32 s0, s66, s0
	s_addc_u32 s1, s67, s1
	v_mov_b32_e32 v1, 0
	global_load_dword v1, v1, s[0:1]
	s_waitcnt vmcnt(0)
	v_ashrrev_i32_e32 v2, 31, v1
	v_lshrrev_b32_e32 v2, 26, v2
	v_add_u32_e32 v1, v1, v2
	v_ashrrev_i32_e32 v1, 6, v1
	v_min_i32_e32 v8, s92, v1
.LBB0_210:
	v_readlane_b32 s6, v191, 8
	v_readlane_b32 s7, v191, 9
	s_mul_i32 s0, s8, s7
	s_ashr_i32 s1, s0, 31
	s_add_u32 s0, s56, s0
	s_mul_i32 s13, s13, s6
	s_addc_u32 s1, s57, s1
	s_ashr_i32 s5, s13, 31
	v_and_b32_e32 v56, 0x3ff, v0
	s_add_u32 s0, s0, s13
	v_lshrrev_b32_e32 v21, 5, v56
	s_addc_u32 s1, s1, s5
	s_lshl_b32 s37, s4, 5
	v_lshl_add_u32 v0, v80, 1, v21
	v_add_u32_e32 v1, s37, v0
	v_and_b32_e32 v20, 31, v56
	v_cmp_le_i32_e32 vcc, s72, v1
	s_and_saveexec_b64 s[4:5], vcc
	s_xor_b64 s[4:5], exec, s[4:5]
	s_cbranch_execz .LBB0_212
; %bb.211:
	v_mad_u32_u24 v1, v0, 36, v20
	v_lshl_add_u32 v1, v1, 2, 0
	v_mov_b32_e32 v2, 0
	ds_write_b32 v1, v2
                                        ; implicit-def: $vgpr1
.LBB0_212:
	s_andn2_saveexec_b64 s[4:5], s[4:5]
	s_cbranch_execz .LBB0_214
; %bb.213:
	v_mad_u64_u32 v[2:3], s[6:7], v1, s95, v[20:21]
	v_ashrrev_i32_e32 v3, 31, v2
	v_lshl_add_u64 v[2:3], v[2:3], 3, s[0:1]
	global_load_dwordx2 v[2:3], v[2:3], off
	s_waitcnt vmcnt(0)
	v_cvt_f16_f32_e32 v1, v2
	v_cvt_f16_f32_e32 v2, v3
	v_mad_u32_u24 v3, v0, 36, v20
	v_pack_b32_f16 v1, v1, v2
	v_pk_mul_f16 v1, v23, v1
	v_lshl_add_u32 v2, v3, 2, 0
	ds_write_b32 v2, v1
.LBB0_214:
	s_or_b64 exec, exec, s[4:5]
	v_add_u32_e32 v1, 8, v0
	v_add_u32_e32 v2, s37, v1
	v_cmp_le_i32_e32 vcc, s72, v2
	s_and_saveexec_b64 s[4:5], vcc
	s_xor_b64 s[4:5], exec, s[4:5]
	s_cbranch_execz .LBB0_216
; %bb.215:
	v_mad_u32_u24 v1, v1, 36, v20
	v_lshl_add_u32 v1, v1, 2, 0
	v_mov_b32_e32 v2, 0
	ds_write_b32 v1, v2
                                        ; implicit-def: $vgpr2
                                        ; implicit-def: $vgpr1
.LBB0_216:
	s_andn2_saveexec_b64 s[4:5], s[4:5]
	s_cbranch_execz .LBB0_218
; %bb.217:
	v_mad_u64_u32 v[2:3], s[6:7], v2, s95, v[20:21]
	v_ashrrev_i32_e32 v3, 31, v2
	v_lshl_add_u64 v[2:3], v[2:3], 3, s[0:1]
	global_load_dwordx2 v[2:3], v[2:3], off
	v_mad_u32_u24 v1, v1, 36, v20
	v_lshl_add_u32 v1, v1, 2, 0
	s_waitcnt vmcnt(0)
	v_cvt_f16_f32_e32 v2, v2
	v_cvt_f16_f32_e32 v3, v3
	v_pack_b32_f16 v2, v2, v3
	v_pk_mul_f16 v2, v23, v2
	ds_write_b32 v1, v2
.LBB0_218:
	s_or_b64 exec, exec, s[4:5]
	v_add_u32_e32 v1, 16, v0
	v_add_u32_e32 v2, s37, v1
	v_cmp_le_i32_e32 vcc, s72, v2
	s_and_saveexec_b64 s[4:5], vcc
	s_xor_b64 s[4:5], exec, s[4:5]
	s_cbranch_execz .LBB0_220
; %bb.219:
	v_mad_u32_u24 v1, v1, 36, v20
	v_lshl_add_u32 v1, v1, 2, 0
	v_mov_b32_e32 v2, 0
	ds_write_b32 v1, v2
                                        ; implicit-def: $vgpr2
                                        ; implicit-def: $vgpr1
.LBB0_220:
	s_andn2_saveexec_b64 s[4:5], s[4:5]
	s_cbranch_execz .LBB0_222
; %bb.221:
	v_mad_u64_u32 v[2:3], s[6:7], v2, s95, v[20:21]
	v_ashrrev_i32_e32 v3, 31, v2
	v_lshl_add_u64 v[2:3], v[2:3], 3, s[0:1]
	global_load_dwordx2 v[2:3], v[2:3], off
	v_mad_u32_u24 v1, v1, 36, v20
	v_lshl_add_u32 v1, v1, 2, 0
	s_waitcnt vmcnt(0)
	v_cvt_f16_f32_e32 v2, v2
	v_cvt_f16_f32_e32 v3, v3
	v_pack_b32_f16 v2, v2, v3
	v_pk_mul_f16 v2, v23, v2
	ds_write_b32 v1, v2
.LBB0_222:
	s_or_b64 exec, exec, s[4:5]
	v_add_u32_e32 v0, 24, v0
	v_add_u32_e32 v1, s37, v0
	v_cmp_le_i32_e32 vcc, s72, v1
	s_and_saveexec_b64 s[4:5], vcc
	s_xor_b64 s[4:5], exec, s[4:5]
	s_cbranch_execz .LBB0_224
; %bb.223:
	v_mad_u32_u24 v0, v0, 36, v20
	v_lshl_add_u32 v0, v0, 2, 0
	v_mov_b32_e32 v1, 0
	ds_write_b32 v0, v1
                                        ; implicit-def: $vgpr1
                                        ; implicit-def: $vgpr23
                                        ; implicit-def: $vgpr0
.LBB0_224:
	s_andn2_saveexec_b64 s[4:5], s[4:5]
	s_cbranch_execz .LBB0_226
; %bb.225:
	v_mad_u64_u32 v[2:3], s[6:7], v1, s95, v[20:21]
	v_ashrrev_i32_e32 v3, 31, v2
	v_lshl_add_u64 v[2:3], v[2:3], 3, s[0:1]
	global_load_dwordx2 v[2:3], v[2:3], off
	v_mad_u32_u24 v0, v0, 36, v20
	v_lshl_add_u32 v0, v0, 2, 0
	s_waitcnt vmcnt(0)
	v_cvt_f16_f32_e32 v1, v2
	v_cvt_f16_f32_e32 v2, v3
	v_pack_b32_f16 v1, v1, v2
	v_pk_mul_f16 v1, v23, v1
	ds_write_b32 v0, v1
.LBB0_226:
	s_or_b64 exec, exec, s[4:5]
	v_readlane_b32 s4, v191, 13
	v_readlane_b32 s5, v191, 14
	s_mul_i32 s0, s8, s5
	s_mul_hi_u32 s1, s8, s4
	s_add_i32 s0, s1, s0
	s_mul_i32 s1, s10, s4
	s_add_i32 s0, s0, s1
	s_mul_i32 s1, s8, s4
	v_readlane_b32 s4, v191, 19
	v_readlane_b32 s5, v191, 20
	;; [unrolled: 1-line block ×3, first 2 shown]
	s_add_u32 s1, s60, s1
	s_mov_b64 s[12:13], s[4:5]
	s_mul_i32 s4, s9, s7
	s_addc_u32 s0, s61, s0
	s_ashr_i32 s5, s4, 31
	v_lshrrev_b32_e32 v10, 3, v56
	s_add_u32 s33, s1, s4
	v_and_b32_e32 v9, 0x1ff0, v82
	s_movk_i32 s22, 0x90
	v_and_b32_e32 v57, 15, v56
	v_and_b32_e32 v58, 0x7e, v10
	s_addc_u32 s36, s0, s5
	s_mul_i32 s0, s8, s13
	s_mul_hi_u32 s1, s8, s12
	v_mad_u32_u24 v0, v9, s22, 0
	v_mul_u32_u24_e32 v71, 0x90, v57
	v_lshlrev_b32_e32 v72, 2, v58
	s_add_i32 s0, s1, s0
	s_mul_i32 s10, s10, s12
	v_readlane_b32 s4, v191, 17
	v_add3_u32 v0, v0, v71, v72
	s_add_i32 s0, s0, s10
	s_mul_i32 s8, s8, s12
	v_readlane_b32 s5, v191, 18
	s_waitcnt lgkmcnt(0)
	s_barrier
	ds_read2_b64 v[4:7], v0 offset1:4
	ds_read2_b64 v[0:3], v0 offset0:8 offset1:12
	s_add_u32 s1, s58, s8
	s_mul_i32 s9, s9, s5
	s_addc_u32 s0, s59, s0
	s_ashr_i32 s4, s9, 31
	v_add_u32_e32 v75, -1, v8
	s_add_u32 s38, s1, s9
	v_cmp_ge_i32_e32 vcc, s40, v75
	v_add_u32_e32 v73, v82, v10
	s_addc_u32 s39, s0, s4
	s_mov_b32 s41, 0
	s_and_b64 vcc, exec, vcc
	v_mov_b32_e32 v62, 0
	v_or_b32_e32 v70, v9, v57
	v_lshlrev_b32_e32 v28, 1, v56
	v_lshlrev_b32_e32 v74, 2, v56
	v_mul_lo_u32 v26, s74, v73
	v_lshrrev_b32_e32 v61, 2, v56
	v_mul_lo_u32 v22, s54, v73
	v_and_b32_e32 v60, 8, v82
	v_lshlrev_b32_e32 v59, 1, v57
	v_readlane_b32 s6, v191, 21
	s_waitcnt lgkmcnt(0)
	s_barrier
	s_cbranch_vccnz .LBB0_239
; %bb.227:
	v_add_u32_e32 v9, s37, v80
	v_mul_hi_u32 v10, s86, v9
	v_add_u32_e32 v10, v9, v10
	v_lshrrev_b32_e32 v10, s87, v10
	v_mul_lo_u32 v10, v10, s72
	v_mov_b32_e32 v8, 0
	v_sub_u32_e32 v10, v9, v10
	v_mov_b32_e32 v29, v8
	v_mad_i64_i32 v[32:33], s[4:5], v10, s88, 0
	v_mul_u32_u24_e32 v10, 0x90, v80
	v_lshl_add_u64 v[30:31], s[2:3], 0, v[28:29]
	v_add3_u32 v29, 0, v10, v28
	v_add_u32_e32 v10, 4, v9
	v_mul_hi_u32 v11, s86, v10
	v_add_u32_e32 v11, v10, v11
	v_lshrrev_b32_e32 v11, s87, v11
	v_mul_lo_u32 v11, v11, s72
	v_sub_u32_e32 v10, v10, v11
	v_mad_i64_i32 v[34:35], s[4:5], v10, s88, 0
	v_add_u32_e32 v10, 8, v9
	v_mul_hi_u32 v11, s86, v10
	v_add_u32_e32 v11, v10, v11
	v_lshrrev_b32_e32 v11, s87, v11
	v_mul_lo_u32 v11, v11, s72
	v_sub_u32_e32 v10, v10, v11
	v_mad_i64_i32 v[36:37], s[4:5], v10, s88, 0
	;; [unrolled: 7-line block ×5, first 2 shown]
	v_add_u32_e32 v10, 24, v9
	v_mul_hi_u32 v11, s86, v10
	v_add_u32_e32 v11, v10, v11
	v_lshrrev_b32_e32 v11, s87, v11
	v_mul_lo_u32 v11, v11, s72
	v_sub_u32_e32 v10, v10, v11
	v_add_u32_e32 v9, 28, v9
	v_mad_i64_i32 v[44:45], s[4:5], v10, s88, 0
	v_mul_hi_u32 v10, s86, v9
	v_add_u32_e32 v10, v9, v10
	v_lshrrev_b32_e32 v10, s87, v10
	v_mul_lo_u32 v10, v10, s72
	v_sub_u32_e32 v9, v9, v10
	v_mad_i64_i32 v[46:47], s[4:5], v9, s88, 0
	v_mbcnt_hi_u32_b32 v9, -1, v84
	v_and_b32_e32 v10, 64, v9
	v_add_u32_e32 v10, 64, v10
	v_xor_b32_e32 v11, 32, v9
	v_cmp_lt_i32_e32 vcc, v11, v10
	v_and_b32_e32 v13, 0xfc, v61
	v_mad_u32_u24 v15, v70, s22, 0
	v_cndmask_b32_e32 v11, v9, v11, vcc
	v_lshlrev_b32_e32 v88, 2, v11
	v_xor_b32_e32 v11, 16, v9
	v_cmp_lt_i32_e32 vcc, v11, v10
	v_and_b32_e32 v10, 28, v74
	s_movk_i32 s30, 0x120
	v_cndmask_b32_e32 v9, v9, v11, vcc
	v_lshlrev_b32_e32 v89, 2, v9
	v_mul_u32_u24_e32 v9, 0x90, v73
	v_lshlrev_b32_e32 v11, 2, v10
	v_add3_u32 v90, 0, v9, v11
	v_and_b32_e32 v9, 16, v81
	v_mul_u32_u24_e32 v12, 0x90, v9
	v_add_u32_e32 v14, v9, v13
	v_add_u16_e32 v9, v9, v13
	v_lshrrev_b16_e32 v9, 1, v9
	v_lshl_add_u32 v9, v9, 2, v15
	v_lshl_add_u32 v15, v14, 1, v15
	v_cmp_gt_u32_e64 s[6:7], 64, v14
	v_cmp_gt_u32_e64 s[8:9], 63, v14
	;; [unrolled: 1-line block ×8, first 2 shown]
	v_mul_u32_u24_e32 v14, 0x48, v13
	v_add_u32_e32 v92, 64, v15
	v_add_u32_e32 v93, 0x44, v15
	v_or_b32_e32 v14, v14, v57
	v_mul_u32_u24_e32 v15, 0x90, v13
	v_or_b32_e32 v16, 3, v61
	v_mul_u32_u24_e32 v17, 0x120, v60
	v_mad_u32_u24 v18, v60, s30, 0
	s_cmp_lg_u64 s[2:3], 0
	v_mul_u32_u24_e32 v16, 0x90, v16
	v_lshlrev_b32_e32 v14, 1, v14
	v_add3_u32 v95, v18, v15, v59
	v_add3_u32 v15, 0, 32, v17
	s_cselect_b64 s[26:27], -1, 0
	v_add_u32_e32 v94, v18, v14
	v_add3_u32 v96, v18, v16, v59
	v_add_u32_e32 v99, v15, v14
	v_mad_u32_u24 v18, v13, s22, v15
	v_add3_u32 v102, v15, v16, v59
	v_add3_u32 v15, 0, 64, v17
	s_add_i32 s31, 0, 0x60
	v_add_u32_e32 v104, v15, v14
	v_mad_u32_u24 v17, v13, s22, v15
	v_add3_u32 v107, v15, v16, v59
	v_mov_b32_e32 v15, s31
	v_mad_u32_u24 v15, v60, s30, v15
	s_mov_b64 s[28:29], src_private_base
	s_movk_i32 s23, 0x1200
	v_lshl_add_u32 v48, s74, 5, v26
	v_add3_u32 v11, 0, v71, v72
	v_lshl_add_u32 v50, s54, 5, v22
	v_add_u32_e32 v109, v15, v14
	v_mad_u32_u24 v13, v13, s22, v15
	v_cmp_lt_u32_e64 s[0:1], 63, v56
	v_add_u32_e32 v76, 0x240, v29
	v_add_u32_e32 v77, 0x480, v29
	;; [unrolled: 1-line block ×7, first 2 shown]
	s_mov_b32 s28, 0
	v_cmp_gt_u32_e64 s[24:25], 64, v73
	v_ashrrev_i32_e32 v27, 31, v26
	v_add_u32_e32 v91, 0x1200, v90
	v_cmp_gt_u32_e64 s[4:5], 32, v73
	v_ashrrev_i32_e32 v49, 31, v48
	v_ashrrev_i32_e32 v23, 31, v22
	;; [unrolled: 1-line block ×3, first 2 shown]
	v_add_u32_e32 v97, 0x1200, v95
	v_add_u32_e32 v98, 32, v95
	v_add3_u32 v100, v18, v59, s23
	v_add_u32_e32 v101, 0x1200, v99
	v_add_u32_e32 v103, 64, v95
	v_add3_u32 v105, v17, v59, s23
	v_add_u32_e32 v106, 0x1200, v104
	v_add_u32_e32 v108, 0x60, v95
	v_add3_u32 v110, v13, v59, s23
	v_add_u32_e32 v111, 0x1200, v109
	v_add3_u32 v112, v15, v16, v59
	v_mov_b32_e32 v52, v24
	v_mov_b32_e32 v53, v24
	s_lshl_b32 s30, s40, 6
	v_mov_b32_e32 v117, 0xfeffffff
	v_lshlrev_b32_e32 v54, 2, v10
	v_add_u32_e32 v113, v11, v12
	v_add_u32_e32 v114, 0x2400, v9
	s_mov_b32 s42, 0x3fb8aa3b
	s_mov_b32 s43, 0xc2ce8ed0
	;; [unrolled: 1-line block ×5, first 2 shown]
	v_mov_b32_e32 v115, 0x7f800000
	v_mov_b32_e32 v116, 0
	;; [unrolled: 1-line block ×10, first 2 shown]
.LBB0_228:                              ; =>This Inner Loop Header: Depth=1
	v_cndmask_b32_e64 v9, 0, 1, s[26:27]
	v_cmp_ne_u32_e64 s[22:23], 1, v9
	s_andn2_b64 vcc, exec, s[26:27]
	s_ashr_i32 s31, s30, 31
	s_cbranch_vccnz .LBB0_234
; %bb.229:                              ;   in Loop: Header=BB0_228 Depth=1
                                        ; implicit-def: $sgpr47
	s_and_saveexec_b64 s[34:35], s[0:1]
	s_xor_b64 s[34:35], exec, s[34:35]
	s_cbranch_execz .LBB0_231
; %bb.230:                              ;   in Loop: Header=BB0_228 Depth=1
	ds_write_b16 v29, v8 offset:9216
	ds_write_b16 v76, v8 offset:9216
	;; [unrolled: 1-line block ×4, first 2 shown]
	s_mov_b32 s47, 0
.LBB0_231:                              ;   in Loop: Header=BB0_228 Depth=1
	s_or_saveexec_b64 s[34:35], s[34:35]
	v_mov_b32_e32 v9, s47
	v_mov_b32_e32 v10, s47
	;; [unrolled: 1-line block ×4, first 2 shown]
	s_xor_b64 exec, exec, s[34:35]
	s_cbranch_execz .LBB0_233
; %bb.232:                              ;   in Loop: Header=BB0_228 Depth=1
	v_lshl_add_u64 v[10:11], s[30:31], 1, v[30:31]
	v_lshl_add_u64 v[12:13], v[32:33], 1, v[10:11]
	;; [unrolled: 1-line block ×5, first 2 shown]
	flat_load_ushort v9, v[12:13]
	flat_load_ushort v25, v[14:15]
	;; [unrolled: 1-line block ×4, first 2 shown]
	v_lshl_add_u64 v[12:13], v[40:41], 1, v[10:11]
	v_lshl_add_u64 v[14:15], v[42:43], 1, v[10:11]
	;; [unrolled: 1-line block ×4, first 2 shown]
	s_waitcnt vmcnt(0) lgkmcnt(0)
	ds_write_b16 v29, v9 offset:9216
	ds_write_b16 v76, v25 offset:9216
	;; [unrolled: 1-line block ×4, first 2 shown]
	flat_load_ushort v9, v[12:13]
	flat_load_ushort v10, v[14:15]
	;; [unrolled: 1-line block ×3, first 2 shown]
	s_nop 0
	flat_load_ushort v12, v[18:19]
.LBB0_233:                              ;   in Loop: Header=BB0_228 Depth=1
	s_or_b64 exec, exec, s[34:35]
	s_waitcnt vmcnt(0) lgkmcnt(0)
	ds_write_b16 v79, v9 offset:9216
	ds_write_b16 v85, v10 offset:9216
	;; [unrolled: 1-line block ×4, first 2 shown]
.LBB0_234:                              ;   in Loop: Header=BB0_228 Depth=1
	s_mul_hi_i32 s35, s30, s74
	s_mul_i32 s34, s30, s74
	s_lshl_b64 s[34:35], s[34:35], 2
	s_add_u32 s34, s38, s34
	s_addc_u32 s35, s39, s35
	v_lshl_add_u64 v[12:13], v[26:27], 2, s[34:35]
	v_mov_b32_e32 v55, v8
	v_mov_b32_e32 v9, v8
	;; [unrolled: 1-line block ×4, first 2 shown]
	v_lshl_add_u64 v[12:13], v[12:13], 0, v[54:55]
	v_mov_b32_e32 v18, s29
	v_mov_b32_e32 v19, s28
	scratch_store_dwordx4 off, v[8:11], off
	v_cndmask_b32_e64 v13, v18, v13, s[24:25]
	v_cndmask_b32_e64 v12, v19, v12, s[24:25]
	flat_load_dwordx4 v[12:15], v[12:13]
	v_lshl_add_u64 v[16:17], v[48:49], 2, s[34:35]
	v_lshl_add_u64 v[16:17], v[16:17], 0, v[54:55]
	v_cndmask_b32_e64 v17, v18, v17, s[4:5]
	v_cndmask_b32_e64 v16, v19, v16, s[4:5]
	v_add_u32_e32 v25, 0x1000, v113
	s_and_b64 vcc, exec, s[22:23]
	s_waitcnt vmcnt(0) lgkmcnt(0)
	ds_write_b128 v90, v[12:15]
	flat_load_dwordx4 v[12:15], v[16:17]
	s_waitcnt vmcnt(0) lgkmcnt(0)
	ds_write_b128 v91, v[12:15]
	s_waitcnt lgkmcnt(0)
	s_barrier
	ds_read2_b64 v[12:15], v113 offset1:4
	ds_read2_b64 v[118:121], v25 offset0:64 offset1:68
	s_waitcnt lgkmcnt(1)
	v_mfma_f32_16x16x16_f16 v[16:19], v[12:13], v[4:5], 0
	s_waitcnt lgkmcnt(0)
	v_mfma_f32_16x16x16_f16 v[122:125], v[118:119], v[4:5], 0
	v_mfma_f32_16x16x16_f16 v[12:15], v[14:15], v[6:7], v[16:19]
	;; [unrolled: 1-line block ×3, first 2 shown]
	ds_read2_b64 v[118:121], v113 offset0:8 offset1:12
	s_nop 3
	ds_read2_b64 v[122:125], v25 offset0:72 offset1:76
	s_waitcnt lgkmcnt(1)
	v_mfma_f32_16x16x16_f16 v[12:15], v[118:119], v[0:1], v[12:15]
	s_waitcnt lgkmcnt(0)
	s_barrier
	v_mfma_f32_16x16x16_f16 v[126:129], v[122:123], v[0:1], v[16:19]
	v_mfma_f32_16x16x16_f16 v[16:19], v[120:121], v[2:3], v[12:15]
	v_mfma_f32_16x16x16_f16 v[12:15], v[124:125], v[2:3], v[126:129]
	s_cbranch_vccnz .LBB0_236
; %bb.235:                              ;   in Loop: Header=BB0_228 Depth=1
	ds_read2_b32 v[118:119], v114 offset1:1
	ds_read_b32 v122, v92 offset:9216
	ds_read_b32 v124, v93 offset:9216
	v_mov_b32_e32 v25, v24
	s_waitcnt lgkmcnt(2)
	v_cvt_f32_f16_e32 v120, v118
	v_cvt_f32_f16_sdwa v121, v118 dst_sel:DWORD dst_unused:UNUSED_PAD src0_sel:WORD_1
	v_cvt_f32_f16_e32 v118, v119
	v_cvt_f32_f16_sdwa v119, v119 dst_sel:DWORD dst_unused:UNUSED_PAD src0_sel:WORD_1
	s_waitcnt lgkmcnt(1)
	v_cvt_f32_f16_sdwa v123, v122 dst_sel:DWORD dst_unused:UNUSED_PAD src0_sel:WORD_1
	s_waitcnt lgkmcnt(0)
	v_cvt_f32_f16_sdwa v125, v124 dst_sel:DWORD dst_unused:UNUSED_PAD src0_sel:WORD_1
	v_cvt_f32_f16_e32 v124, v124
	v_cvt_f32_f16_e32 v122, v122
	v_pk_fma_f32 v[18:19], v[24:25], v[118:119], v[18:19]
	v_pk_fma_f32 v[16:17], v[52:53], v[120:121], v[16:17]
	;; [unrolled: 1-line block ×4, first 2 shown]
.LBB0_236:                              ;   in Loop: Header=BB0_228 Depth=1
	s_nop 4
	v_add_f32_e32 v25, 0x40051340, v16
	v_max_f32_e32 v118, v117, v117
	v_max_f32_e32 v25, v118, v25
	v_cndmask_b32_e64 v25, v117, v25, s[6:7]
	v_add_f32_e32 v118, 0x40051340, v17
	v_max_f32_e32 v119, v25, v25
	v_max_f32_e32 v118, v119, v118
	v_cndmask_b32_e64 v25, v25, v118, s[8:9]
	;; [unrolled: 4-line block ×8, first 2 shown]
	ds_bpermute_b32 v118, v88, v25
	v_max_f32_e32 v25, v25, v25
	s_mul_hi_i32 s23, s30, s54
	s_mul_i32 s22, s30, s54
	s_lshl_b64 s[22:23], s[22:23], 2
	s_waitcnt lgkmcnt(0)
	v_max_f32_e32 v118, v118, v118
	v_max_f32_e32 v25, v25, v118
	ds_bpermute_b32 v118, v89, v25
	s_add_u32 s22, s33, s22
	s_addc_u32 s23, s36, s23
	v_mov_b32_e32 v126, s29
	v_mov_b32_e32 v127, s28
	s_waitcnt lgkmcnt(0)
	v_max_f32_e32 v118, v118, v118
	v_max_f32_e32 v25, v25, v118
	v_sub_f32_e32 v16, v16, v25
	v_mul_f32_e32 v118, 0x3fb8aa3b, v16
	v_fma_f32 v119, v16, s42, -v118
	v_rndne_f32_e32 v120, v118
	v_fmac_f32_e32 v119, 0x32a5705f, v16
	v_sub_f32_e32 v118, v118, v120
	v_add_f32_e32 v118, v118, v119
	v_exp_f32_e32 v118, v118
	v_cvt_i32_f32_e32 v119, v120
	v_cmp_ngt_f32_e32 vcc, s43, v16
	v_sub_f32_e32 v123, v17, v25
	scratch_store_dwordx4 off, v[8:11], off
	v_ldexp_f32 v118, v118, v119
	v_cndmask_b32_e32 v118, 0, v118, vcc
	v_cmp_nlt_f32_e32 vcc, s44, v16
	v_mul_f32_e32 v16, 0x3fb8aa3b, v123
	v_fma_f32 v17, v123, s42, -v16
	v_cndmask_b32_e32 v122, v115, v118, vcc
	v_rndne_f32_e32 v118, v16
	v_fmac_f32_e32 v17, 0x32a5705f, v123
	v_sub_f32_e32 v16, v16, v118
	v_add_f32_e32 v16, v16, v17
	v_exp_f32_e32 v124, v16
	v_lshl_add_u64 v[16:17], v[22:23], 2, s[22:23]
	v_lshl_add_u64 v[16:17], v[16:17], 0, v[54:55]
	v_cndmask_b32_e64 v17, v126, v17, s[24:25]
	v_cndmask_b32_e64 v16, v127, v16, s[24:25]
	v_cvt_i32_f32_e32 v125, v118
	flat_load_dwordx4 v[118:121], v[16:17]
	v_cndmask_b32_e64 v17, v18, v18, s[8:9]
	v_sub_f32_e32 v17, v17, v25
	v_ldexp_f32 v9, v124, v125
	v_cmp_ngt_f32_e32 vcc, s43, v123
	v_mul_f32_e32 v18, 0x3fb8aa3b, v17
	v_cndmask_b32_e64 v10, 0, v122, s[6:7]
	v_cndmask_b32_e32 v9, 0, v9, vcc
	v_cmp_nlt_f32_e32 vcc, s44, v123
	v_fma_f32 v122, v17, s42, -v18
	v_rndne_f32_e32 v123, v18
	v_fmac_f32_e32 v122, 0x32a5705f, v17
	v_sub_f32_e32 v18, v18, v123
	v_add_f32_e32 v18, v18, v122
	v_exp_f32_e32 v18, v18
	v_cvt_i32_f32_e32 v122, v123
	v_cndmask_b32_e32 v11, v115, v9, vcc
	v_add_f32_e32 v16, v11, v10
	v_mov_b32_e32 v9, s41
	v_cndmask_b32_e64 v19, v19, v19, s[8:9]
	v_cndmask_b32_e64 v11, v9, v11, s[8:9]
	v_cndmask_b32_e64 v9, v10, v16, s[8:9]
	v_ldexp_f32 v16, v18, v122
	v_cmp_ngt_f32_e32 vcc, s43, v17
	v_sub_f32_e32 v19, v19, v25
	v_sub_f32_e32 v12, v12, v25
	v_cndmask_b32_e32 v16, 0, v16, vcc
	v_cmp_nlt_f32_e32 vcc, s44, v17
	v_cndmask_b32_e64 v13, v13, v13, s[14:15]
	v_sub_f32_e32 v13, v13, v25
	v_cndmask_b32_e32 v17, v115, v16, vcc
	v_mul_f32_e32 v16, 0x3fb8aa3b, v19
	v_fma_f32 v122, v19, s42, -v16
	v_rndne_f32_e32 v123, v16
	v_fmac_f32_e32 v122, 0x32a5705f, v19
	v_sub_f32_e32 v16, v16, v123
	v_add_f32_e32 v16, v16, v122
	v_exp_f32_e32 v122, v16
	v_cvt_i32_f32_e32 v123, v123
	v_add_f32_e32 v18, v9, v17
	v_mov_b32_e32 v16, s41
	v_cndmask_b32_e64 v124, v16, v17, s[10:11]
	v_cndmask_b32_e64 v16, v9, v18, s[10:11]
	v_ldexp_f32 v9, v122, v123
	v_cmp_ngt_f32_e32 vcc, s43, v19
	v_cndmask_b32_e64 v14, v14, v14, s[14:15]
	v_sub_f32_e32 v14, v14, v25
	v_cndmask_b32_e32 v9, 0, v9, vcc
	v_cmp_nlt_f32_e32 vcc, s44, v19
	v_cndmask_b32_e64 v15, v15, v15, s[14:15]
	v_sub_f32_e32 v15, v15, v25
	v_cndmask_b32_e32 v17, v115, v9, vcc
	v_mul_f32_e32 v9, 0x3fb8aa3b, v12
	v_fma_f32 v19, v12, s42, -v9
	v_rndne_f32_e32 v122, v9
	v_fmac_f32_e32 v19, 0x32a5705f, v12
	v_sub_f32_e32 v9, v9, v122
	v_add_f32_e32 v9, v9, v19
	v_exp_f32_e32 v19, v9
	v_cvt_i32_f32_e32 v122, v122
	v_add_f32_e32 v18, v16, v17
	v_mov_b32_e32 v9, s41
	v_cndmask_b32_e64 v123, v9, v17, s[12:13]
	v_cndmask_b32_e64 v9, v16, v18, s[12:13]
	v_ldexp_f32 v16, v19, v122
	v_cmp_ngt_f32_e32 vcc, s43, v12
	v_cvt_f16_f32_e32 v10, v10
	v_cvt_f16_f32_e32 v11, v11
	v_cndmask_b32_e32 v16, 0, v16, vcc
	v_cmp_nlt_f32_e32 vcc, s44, v12
	v_mov_b32_e32 v12, s41
	v_pack_b32_f16 v10, v10, v11
	v_cndmask_b32_e32 v18, v115, v16, vcc
	v_mul_f32_e32 v16, 0x3fb8aa3b, v13
	v_fma_f32 v17, v13, s42, -v16
	v_rndne_f32_e32 v122, v16
	v_fmac_f32_e32 v17, 0x32a5705f, v13
	v_sub_f32_e32 v16, v16, v122
	v_add_f32_e32 v125, v16, v17
	v_lshl_add_u64 v[16:17], v[50:51], 2, s[22:23]
	v_lshl_add_u64 v[16:17], v[16:17], 0, v[54:55]
	v_cndmask_b32_e64 v17, v126, v17, s[4:5]
	v_cndmask_b32_e64 v16, v127, v16, s[4:5]
	s_waitcnt vmcnt(0) lgkmcnt(0)
	ds_write_b128 v90, v[118:121]
	flat_load_dwordx4 v[118:121], v[16:17]
	v_exp_f32_e32 v16, v125
	v_cvt_i32_f32_e32 v17, v122
	v_add_f32_e32 v19, v18, v9
	v_cndmask_b32_e64 v55, v12, v18, s[14:15]
	v_cndmask_b32_e64 v12, v9, v19, s[14:15]
	v_ldexp_f32 v9, v16, v17
	v_cmp_ngt_f32_e32 vcc, s43, v13
	v_cvt_f16_f32_e32 v55, v55
	s_add_i32 s40, s40, 1
	v_cndmask_b32_e32 v9, 0, v9, vcc
	v_cmp_nlt_f32_e32 vcc, s44, v13
	s_add_i32 s30, s30, 64
	s_waitcnt vmcnt(0) lgkmcnt(0)
	ds_write_b128 v91, v[118:121]
	v_cndmask_b32_e32 v13, v115, v9, vcc
	v_mul_f32_e32 v9, 0x3fb8aa3b, v14
	v_fma_f32 v17, v14, s42, -v9
	v_rndne_f32_e32 v18, v9
	v_fmac_f32_e32 v17, 0x32a5705f, v14
	v_sub_f32_e32 v9, v9, v18
	v_add_f32_e32 v9, v9, v17
	v_exp_f32_e32 v17, v9
	v_cvt_i32_f32_e32 v18, v18
	v_add_f32_e32 v16, v13, v12
	v_mov_b32_e32 v9, s41
	v_cndmask_b32_e64 v19, v9, v13, s[16:17]
	v_cndmask_b32_e64 v9, v12, v16, s[16:17]
	v_ldexp_f32 v12, v17, v18
	v_cmp_ngt_f32_e32 vcc, s43, v14
	s_waitcnt lgkmcnt(0)
	s_barrier
	v_cndmask_b32_e32 v12, 0, v12, vcc
	v_cmp_nlt_f32_e32 vcc, s44, v14
	v_cvt_f16_f32_e32 v19, v19
	s_nop 0
	v_cndmask_b32_e32 v13, v115, v12, vcc
	v_mul_f32_e32 v12, 0x3fb8aa3b, v15
	v_fma_f32 v16, v15, s42, -v12
	v_rndne_f32_e32 v17, v12
	v_fmac_f32_e32 v16, 0x32a5705f, v15
	v_sub_f32_e32 v12, v12, v17
	v_add_f32_e32 v12, v12, v16
	v_exp_f32_e32 v16, v12
	v_cvt_i32_f32_e32 v17, v17
	v_mov_b32_e32 v12, s41
	v_add_f32_e32 v14, v13, v9
	v_cndmask_b32_e64 v122, v12, v13, s[18:19]
	v_sub_f32_e32 v13, v117, v25
	v_cndmask_b32_e64 v12, v9, v14, s[18:19]
	v_mul_f32_e32 v14, 0x3fb8aa3b, v13
	v_ldexp_f32 v9, v16, v17
	v_fma_f32 v16, v13, s42, -v14
	v_rndne_f32_e32 v17, v14
	v_fmac_f32_e32 v16, 0x32a5705f, v13
	v_sub_f32_e32 v14, v14, v17
	v_add_f32_e32 v14, v14, v16
	v_exp_f32_e32 v14, v14
	v_cvt_i32_f32_e32 v16, v17
	v_cmp_ngt_f32_e32 vcc, s43, v15
	v_ldexp_f32 v14, v14, v16
	s_nop 0
	v_cndmask_b32_e32 v9, 0, v9, vcc
	v_cmp_nlt_f32_e32 vcc, s44, v15
	s_nop 1
	v_cndmask_b32_e32 v15, v115, v9, vcc
	v_cmp_ngt_f32_e32 vcc, s43, v13
	v_add_f32_e32 v17, v15, v12
	v_cndmask_b32_e64 v18, v12, v17, s[20:21]
	v_cndmask_b32_e32 v14, 0, v14, vcc
	v_cmp_nlt_f32_e32 vcc, s44, v13
	v_cvt_f16_f32_e32 v12, v124
	v_mov_b32_e32 v9, s41
	v_cndmask_b32_e32 v14, v115, v14, vcc
	v_cmp_le_f32_e32 vcc, s45, v13
	v_cndmask_b32_e64 v9, v9, v15, s[20:21]
	v_cvt_f16_f32_e32 v9, v9
	v_cndmask_b32_e32 v13, 0, v14, vcc
	v_cvt_f16_f32_e32 v117, v13
	v_fmac_f32_e32 v18, v116, v13
	v_cvt_f16_f32_e32 v14, v123
	v_cmp_lt_i32_e32 vcc, s40, v75
	v_pk_mul_f16 v13, v117, v68 op_sel_hi:[0,1]
	v_pk_mul_f16 v68, v117, v65 op_sel_hi:[0,1]
	ds_read_u16 v16, v95 offset:144
	ds_read_u16 v17, v95 offset:288
	ds_read_u16 v65, v96
	v_pk_mul_f16 v15, v117, v67 op_sel_hi:[0,1]
	v_pk_mul_f16 v67, v117, v69 op_sel_hi:[0,1]
	;; [unrolled: 1-line block ×3, first 2 shown]
	v_pack_b32_f16 v11, v12, v14
	s_waitcnt lgkmcnt(0)
	v_perm_b32 v17, v65, v17, s46
	ds_read_u16 v65, v94
	ds_read_u16 v116, v94 offset:32
	ds_read_u16 v118, v94 offset:64
	;; [unrolled: 1-line block ×4, first 2 shown]
	s_waitcnt lgkmcnt(4)
	v_perm_b32 v16, v16, v65, s46
	v_cvt_f32_f16_e32 v12, v13
	v_cvt_f32_f16_sdwa v13, v13 dst_sel:DWORD dst_unused:UNUSED_PAD src0_sel:WORD_1
	v_cvt_f32_f16_e32 v14, v15
	v_cvt_f32_f16_sdwa v15, v15 dst_sel:DWORD dst_unused:UNUSED_PAD src0_sel:WORD_1
	v_cvt_f16_f32_e32 v65, v122
	v_pk_mul_f16 v127, v117, v64 op_sel_hi:[0,1]
	v_mfma_f32_16x16x16_f16 v[12:15], v[16:17], v[10:11], v[12:15]
	ds_read_u16 v16, v97 offset:288
	ds_read_u16 v122, v98 offset:144
	;; [unrolled: 1-line block ×8, first 2 shown]
	v_pack_b32_f16 v121, v65, v9
	v_cvt_f16_f32_e32 v12, v12
	v_cvt_f16_f32_e32 v13, v13
	;; [unrolled: 1-line block ×4, first 2 shown]
	s_waitcnt lgkmcnt(3)
	v_perm_b32 v17, v17, v16, s46
	v_perm_b32 v16, v120, v66, s46
	v_cvt_f32_f16_e32 v12, v12
	v_cvt_f32_f16_e32 v13, v13
	;; [unrolled: 1-line block ×4, first 2 shown]
	v_pack_b32_f16 v120, v55, v19
	v_cvt_f32_f16_e32 v64, v67
	v_cvt_f32_f16_sdwa v65, v67 dst_sel:DWORD dst_unused:UNUSED_PAD src0_sel:WORD_1
	v_mfma_f32_16x16x16_f16 v[12:15], v[16:17], v[120:121], v[12:15]
	s_waitcnt lgkmcnt(2)
	v_perm_b32 v17, v124, v123, s46
	v_perm_b32 v16, v122, v116, s46
	v_cvt_f32_f16_e32 v66, v68
	v_cvt_f32_f16_sdwa v67, v68 dst_sel:DWORD dst_unused:UNUSED_PAD src0_sel:WORD_1
	v_pk_mul_f16 v9, v117, v63 op_sel_hi:[0,1]
	v_pk_mul_f16 v19, v117, v62 op_sel_hi:[0,1]
	v_mfma_f32_16x16x16_f16 v[62:65], v[16:17], v[10:11], v[64:67]
	v_cvt_f16_f32_e32 v55, v12
	v_cvt_f16_f32_e32 v122, v14
	;; [unrolled: 1-line block ×3, first 2 shown]
	s_and_b64 vcc, exec, vcc
	s_nop 2
	v_cvt_f16_f32_e32 v12, v62
	v_cvt_f16_f32_e32 v16, v63
	;; [unrolled: 1-line block ×4, first 2 shown]
	v_cvt_f32_f16_e32 v62, v12
	v_cvt_f32_f16_e32 v63, v16
	;; [unrolled: 1-line block ×3, first 2 shown]
	ds_read_u16 v12, v99 offset:4608
	ds_read_u16 v16, v100 offset:144
	;; [unrolled: 1-line block ×8, first 2 shown]
	s_waitcnt lgkmcnt(4)
	v_perm_b32 v17, v66, v17, s46
	v_perm_b32 v16, v16, v12, s46
	v_cvt_f32_f16_e32 v65, v65
	v_cvt_f16_f32_e32 v66, v13
	s_nop 0
	v_mfma_f32_16x16x16_f16 v[12:15], v[16:17], v[120:121], v[62:65]
	s_waitcnt lgkmcnt(2)
	v_perm_b32 v17, v125, v68, s46
	v_perm_b32 v16, v67, v118, s46
	v_cvt_f32_f16_e32 v62, v69
	v_cvt_f32_f16_sdwa v63, v69 dst_sel:DWORD dst_unused:UNUSED_PAD src0_sel:WORD_1
	v_cvt_f32_f16_e32 v64, v127
	v_cvt_f32_f16_sdwa v65, v127 dst_sel:DWORD dst_unused:UNUSED_PAD src0_sel:WORD_1
	v_pack_b32_f16 v68, v55, v66
	v_cvt_f16_f32_e32 v55, v12
	v_mfma_f32_16x16x16_f16 v[62:65], v[16:17], v[10:11], v[62:65]
	v_pack_b32_f16 v67, v122, v123
	v_cvt_f16_f32_e32 v127, v13
	v_cvt_f16_f32_e32 v128, v14
	;; [unrolled: 1-line block ×3, first 2 shown]
	s_nop 2
	v_cvt_f16_f32_e32 v12, v62
	v_cvt_f16_f32_e32 v16, v63
	;; [unrolled: 1-line block ×4, first 2 shown]
	v_cvt_f32_f16_e32 v62, v12
	v_cvt_f32_f16_e32 v63, v16
	ds_read_u16 v12, v106 offset:288
	ds_read_u16 v16, v107 offset:4608
	;; [unrolled: 1-line block ×8, first 2 shown]
	v_cvt_f32_f16_e32 v64, v17
	s_waitcnt lgkmcnt(6)
	v_perm_b32 v17, v16, v12, s46
	v_perm_b32 v16, v117, v116, s46
	v_cvt_f32_f16_e32 v65, v65
	v_cvt_f32_f16_e32 v116, v9
	v_cvt_f32_f16_sdwa v117, v9 dst_sel:DWORD dst_unused:UNUSED_PAD src0_sel:WORD_1
	v_mfma_f32_16x16x16_f16 v[12:15], v[16:17], v[120:121], v[62:65]
	s_waitcnt lgkmcnt(4)
	v_perm_b32 v17, v126, v69, s46
	v_perm_b32 v16, v66, v119, s46
	v_cvt_f32_f16_e32 v118, v19
	v_cvt_f32_f16_sdwa v119, v19 dst_sel:DWORD dst_unused:UNUSED_PAD src0_sel:WORD_1
	s_nop 1
	v_cvt_f16_f32_e32 v9, v12
	v_cvt_f16_f32_e32 v14, v14
	v_mfma_f32_16x16x16_f16 v[116:119], v[16:17], v[10:11], v[116:119]
	v_cvt_f16_f32_e32 v15, v15
	v_pack_b32_f16 v69, v55, v127
	v_pack_b32_f16 v65, v128, v129
	s_waitcnt lgkmcnt(0)
	s_nop 2
	v_cvt_f16_f32_e32 v10, v116
	v_cvt_f16_f32_e32 v11, v117
	;; [unrolled: 1-line block ×4, first 2 shown]
	v_cvt_f32_f16_e32 v116, v10
	v_cvt_f32_f16_e32 v117, v11
	v_perm_b32 v11, v125, v124, s46
	v_perm_b32 v10, v123, v122, s46
	v_cvt_f32_f16_e32 v118, v12
	v_cvt_f32_f16_e32 v119, v16
	v_cvt_f16_f32_e32 v16, v13
	v_pack_b32_f16 v64, v14, v15
	v_mfma_f32_16x16x16_f16 v[10:13], v[10:11], v[120:121], v[116:119]
	v_pack_b32_f16 v66, v9, v16
	s_barrier
	s_nop 4
	v_cvt_f16_f32_e32 v10, v10
	v_cvt_f16_f32_e32 v11, v11
	;; [unrolled: 1-line block ×4, first 2 shown]
	v_pack_b32_f16 v63, v10, v11
	v_pack_b32_f16 v62, v12, v13
	s_cbranch_vccz .LBB0_240
; %bb.237:                              ;   in Loop: Header=BB0_228 Depth=1
	v_mov_b32_e32 v116, v18
	v_mov_b32_e32 v117, v25
	s_branch .LBB0_228
.LBB0_238:
                                        ; implicit-def: $sgpr6_sgpr7
                                        ; kill: killed $sgpr6_sgpr7
	s_load_dwordx2 s[86:87], s[0:1], 0x5c
	s_branch .LBB0_7
.LBB0_239:
	v_mov_b32_e32 v18, 0
	v_mov_b32_e32 v25, 0xfeffffff
	v_mov_b32_e32 v63, 0
	v_mov_b32_e32 v64, 0
	v_mov_b32_e32 v66, 0
	v_mov_b32_e32 v65, 0
	v_mov_b32_e32 v69, 0
	v_mov_b32_e32 v67, 0
	v_mov_b32_e32 v68, 0
.LBB0_240:
	s_lshl_b32 s22, s40, 6
	v_readlane_b32 s0, v191, 4
	s_sub_i32 s20, s0, s22
	v_readlane_b32 s1, v191, 5
	s_cmp_lg_u64 s[2:3], 0
	s_cselect_b64 s[0:1], -1, 0
	s_ashr_i32 s23, s22, 31
	s_cmp_eq_u64 s[2:3], 0
	s_cbranch_scc1 .LBB0_258
; %bb.241:
	s_lshl_b64 s[4:5], s[22:23], 1
	s_add_u32 s2, s2, s4
	s_addc_u32 s3, s3, s5
	v_mov_b32_e32 v29, 0
	v_cmp_gt_i32_e32 vcc, s20, v56
	v_lshl_add_u64 v[8:9], s[2:3], 0, v[28:29]
	v_mov_b32_e32 v11, 0
	s_and_saveexec_b64 s[2:3], vcc
	s_cbranch_execz .LBB0_243
; %bb.242:
	v_add_u32_e32 v10, s37, v80
	v_mul_hi_u32 v11, s86, v10
	v_add_u32_e32 v11, v10, v11
	v_lshrrev_b32_e32 v11, s87, v11
	v_mul_lo_u32 v11, v11, s72
	v_sub_u32_e32 v10, v10, v11
	v_mad_i64_i32 v[10:11], s[4:5], v10, s88, 0
	v_lshl_add_u64 v[10:11], v[10:11], 1, v[8:9]
	flat_load_ushort v11, v[10:11]
.LBB0_243:
	s_or_b64 exec, exec, s[2:3]
	s_movk_i32 s2, 0x90
	v_mad_u32_u24 v10, v80, s2, 0
	v_lshl_add_u32 v12, v56, 1, v10
	s_waitcnt vmcnt(0) lgkmcnt(0)
	ds_write_b16 v12, v11 offset:9216
	s_and_saveexec_b64 s[2:3], vcc
	s_cbranch_execz .LBB0_245
; %bb.244:
	v_add3_u32 v11, v80, s37, 4
	v_mul_hi_u32 v12, s86, v11
	v_add_u32_e32 v12, v11, v12
	v_lshrrev_b32_e32 v12, s87, v12
	v_mul_lo_u32 v12, v12, s72
	v_sub_u32_e32 v11, v11, v12
	v_mad_i64_i32 v[12:13], s[4:5], v11, s88, 0
	v_lshl_add_u64 v[12:13], v[12:13], 1, v[8:9]
	flat_load_ushort v29, v[12:13]
.LBB0_245:
	s_or_b64 exec, exec, s[2:3]
	v_add_u32_e32 v11, 0x240, v10
	v_lshl_add_u32 v10, v56, 1, v11
	s_waitcnt vmcnt(0) lgkmcnt(0)
	ds_write_b16 v10, v29 offset:9216
	v_mov_b32_e32 v10, 0
	v_mov_b32_e32 v12, 0
	s_and_saveexec_b64 s[2:3], vcc
	s_cbranch_execz .LBB0_247
; %bb.246:
	v_add3_u32 v12, v80, s37, 8
	v_mul_hi_u32 v13, s86, v12
	v_add_u32_e32 v13, v12, v13
	v_lshrrev_b32_e32 v13, s87, v13
	v_mul_lo_u32 v13, v13, s72
	v_sub_u32_e32 v12, v12, v13
	v_mad_i64_i32 v[12:13], s[4:5], v12, s88, 0
	v_lshl_add_u64 v[12:13], v[12:13], 1, v[8:9]
	flat_load_ushort v12, v[12:13]
.LBB0_247:
	s_or_b64 exec, exec, s[2:3]
	v_add_u32_e32 v11, 0x240, v11
	v_lshl_add_u32 v13, v56, 1, v11
	s_waitcnt vmcnt(0) lgkmcnt(0)
	ds_write_b16 v13, v12 offset:9216
	s_and_saveexec_b64 s[2:3], vcc
	s_cbranch_execz .LBB0_249
; %bb.248:
	v_add3_u32 v10, v80, s37, 12
	v_mul_hi_u32 v12, s86, v10
	v_add_u32_e32 v12, v10, v12
	v_lshrrev_b32_e32 v12, s87, v12
	v_mul_lo_u32 v12, v12, s72
	v_sub_u32_e32 v10, v10, v12
	v_mad_i64_i32 v[12:13], s[4:5], v10, s88, 0
	v_lshl_add_u64 v[12:13], v[12:13], 1, v[8:9]
	flat_load_ushort v10, v[12:13]
.LBB0_249:
	s_or_b64 exec, exec, s[2:3]
	v_add_u32_e32 v11, 0x240, v11
	v_lshl_add_u32 v12, v56, 1, v11
	s_waitcnt vmcnt(0) lgkmcnt(0)
	ds_write_b16 v12, v10 offset:9216
	v_mov_b32_e32 v10, 0
	v_mov_b32_e32 v12, 0
	s_and_saveexec_b64 s[2:3], vcc
	s_cbranch_execz .LBB0_251
; %bb.250:
	v_add3_u32 v12, v80, s37, 16
	v_mul_hi_u32 v13, s86, v12
	v_add_u32_e32 v13, v12, v13
	v_lshrrev_b32_e32 v13, s87, v13
	v_mul_lo_u32 v13, v13, s72
	v_sub_u32_e32 v12, v12, v13
	v_mad_i64_i32 v[12:13], s[4:5], v12, s88, 0
	v_lshl_add_u64 v[12:13], v[12:13], 1, v[8:9]
	flat_load_ushort v12, v[12:13]
.LBB0_251:
	s_or_b64 exec, exec, s[2:3]
	v_add_u32_e32 v11, 0x240, v11
	;; [unrolled: 38-line block ×3, first 2 shown]
	v_lshl_add_u32 v11, v56, 1, v11
	s_waitcnt vmcnt(0) lgkmcnt(0)
	ds_write_b16 v11, v12 offset:9216
	s_and_saveexec_b64 s[2:3], vcc
	s_cbranch_execz .LBB0_257
; %bb.256:
	v_add3_u32 v10, v80, s37, 28
	v_mul_hi_u32 v12, s86, v10
	v_add_u32_e32 v12, v10, v12
	v_lshrrev_b32_e32 v12, s87, v12
	v_mul_lo_u32 v12, v12, s72
	v_sub_u32_e32 v10, v10, v12
	v_mad_i64_i32 v[12:13], s[4:5], v10, s88, 0
	v_lshl_add_u64 v[8:9], v[12:13], 1, v[8:9]
	flat_load_ushort v10, v[8:9]
.LBB0_257:
	s_or_b64 exec, exec, s[2:3]
	s_waitcnt vmcnt(0) lgkmcnt(0)
	ds_write_b16 v11, v10 offset:9792
.LBB0_258:
	s_mul_hi_i32 s3, s22, s74
	s_mul_i32 s2, s22, s74
	s_lshl_b64 s[2:3], s[2:3], 2
	s_add_u32 s2, s38, s2
	v_mov_b32_e32 v10, 0
	s_addc_u32 s3, s39, s3
	v_mov_b32_e32 v11, v10
	v_mov_b32_e32 v12, v10
	v_mov_b32_e32 v13, v10
	v_and_b32_e32 v8, 28, v74
	v_ashrrev_i32_e32 v27, 31, v26
	s_mov_b64 s[4:5], src_private_base
	scratch_store_dwordx4 off, v[10:13], off
	v_lshlrev_b32_e32 v8, 2, v8
	v_mov_b32_e32 v9, v10
	v_lshl_add_u64 v[12:13], v[26:27], 2, s[2:3]
	v_lshl_add_u64 v[10:11], v[12:13], 0, v[8:9]
	v_mov_b32_e32 v16, s5
	v_cmp_gt_i32_e64 s[10:11], s20, v73
	v_mov_b32_e32 v17, 0
	v_lshl_add_u32 v14, s74, 5, v26
	v_cndmask_b32_e64 v11, v16, v11, s[10:11]
	v_cndmask_b32_e64 v10, v17, v10, s[10:11]
	flat_load_dwordx4 v[10:13], v[10:11]
	v_ashrrev_i32_e32 v15, 31, v14
	v_mul_u32_u24_e32 v19, 0x90, v73
	v_add_u32_e32 v23, 32, v73
	v_lshl_add_u64 v[14:15], v[14:15], 2, s[2:3]
	v_add3_u32 v26, 0, v19, v8
	v_lshl_add_u64 v[14:15], v[14:15], 0, v[8:9]
	v_cmp_gt_i32_e64 s[8:9], s20, v23
	v_and_b32_e32 v9, 16, v81
	s_movk_i32 s2, 0x90
	v_cndmask_b32_e64 v15, v16, v15, s[8:9]
	v_cndmask_b32_e64 v14, v17, v14, s[8:9]
	s_and_b64 vcc, exec, s[0:1]
	s_waitcnt vmcnt(0) lgkmcnt(0)
	ds_write_b128 v26, v[10:13]
	flat_load_dwordx4 v[10:13], v[14:15]
	v_add_u32_e32 v14, 0, v71
	v_mul_u32_u24_e32 v15, 0x90, v9
	v_add3_u32 v19, v14, v72, v15
	v_add_u32_e32 v23, 0x1000, v19
	s_waitcnt vmcnt(0) lgkmcnt(0)
	ds_write_b128 v26, v[10:13] offset:4608
	s_waitcnt lgkmcnt(0)
	s_barrier
	ds_read2_b64 v[10:13], v19 offset1:4
	ds_read2_b64 v[28:31], v23 offset0:64 offset1:68
	s_waitcnt lgkmcnt(1)
	v_mfma_f32_16x16x16_f16 v[14:17], v[10:11], v[4:5], 0
	s_waitcnt lgkmcnt(0)
	v_mfma_f32_16x16x16_f16 v[32:35], v[28:29], v[4:5], 0
	v_mfma_f32_16x16x16_f16 v[10:13], v[12:13], v[6:7], v[14:17]
	;; [unrolled: 1-line block ×3, first 2 shown]
	s_nop 2
	ds_read2_b64 v[14:17], v19 offset0:8 offset1:12
	ds_read2_b64 v[28:31], v23 offset0:72 offset1:76
	v_and_b32_e32 v19, 0xfc, v61
	s_waitcnt lgkmcnt(1)
	v_mfma_f32_16x16x16_f16 v[10:13], v[14:15], v[0:1], v[10:13]
	v_add_u32_e32 v9, v9, v19
	v_add_u32_e32 v27, 32, v9
	s_waitcnt lgkmcnt(0)
	v_mfma_f32_16x16x16_f16 v[4:7], v[28:29], v[0:1], v[4:7]
	v_add_u32_e32 v29, 34, v9
	s_barrier
	v_mfma_f32_16x16x16_f16 v[10:13], v[16:17], v[2:3], v[10:13]
	v_mfma_f32_16x16x16_f16 v[14:17], v[30:31], v[2:3], v[4:7]
	s_cbranch_vccz .LBB0_274
; %bb.259:
	v_mad_u32_u24 v2, v70, s2, 0
	v_lshlrev_b32_e32 v0, 1, v9
	s_movk_i32 s0, 0x2400
	v_add_u32_e32 v28, 32, v9
	v_add3_u32 v0, v2, v0, s0
	v_lshl_add_u32 v3, v28, 1, v2
	v_add_u32_e32 v23, 34, v9
	ds_read2_b32 v[0:1], v0 offset1:1
	v_lshl_add_u32 v2, v23, 1, v2
	ds_read_b32 v4, v3 offset:9216
	ds_read_b32 v5, v2 offset:9216
	s_waitcnt lgkmcnt(2)
	v_cvt_f32_f16_e32 v2, v0
	v_cvt_f32_f16_sdwa v3, v0 dst_sel:DWORD dst_unused:UNUSED_PAD src0_sel:WORD_1
	v_cvt_f32_f16_e32 v0, v1
	v_cvt_f32_f16_sdwa v1, v1 dst_sel:DWORD dst_unused:UNUSED_PAD src0_sel:WORD_1
	s_waitcnt lgkmcnt(1)
	v_cvt_f32_f16_e32 v30, v4
	s_waitcnt lgkmcnt(0)
	v_cvt_f32_f16_e32 v32, v5
	v_cvt_f32_f16_sdwa v33, v5 dst_sel:DWORD dst_unused:UNUSED_PAD src0_sel:WORD_1
	v_cvt_f32_f16_sdwa v31, v4 dst_sel:DWORD dst_unused:UNUSED_PAD src0_sel:WORD_1
	v_pk_fma_f32 v[6:7], v[24:25], v[0:1], v[12:13] op_sel_hi:[0,1,1]
	v_pk_fma_f32 v[4:5], v[24:25], v[2:3], v[10:11] op_sel_hi:[0,1,1]
	;; [unrolled: 1-line block ×4, first 2 shown]
	v_add_u32_e32 v24, 0x1200, v26
	s_cbranch_execnz .LBB0_261
.LBB0_260:
	s_nop 3
	v_mov_b64_e32 v[0:1], v[14:15]
	v_mov_b64_e32 v[4:5], v[10:11]
	v_mov_b32_e32 v23, v29
	v_mov_b32_e32 v28, v27
	v_mov_b64_e32 v[2:3], v[16:17]
	v_mov_b64_e32 v[6:7], v[12:13]
.LBB0_261:
	v_add_f32_e32 v10, 0x40051340, v4
	v_max_f32_e32 v11, v25, v25
	v_max_f32_e32 v10, v11, v10
	v_cmp_gt_u32_e64 s[16:17], s20, v9
	v_or_b32_e32 v11, 1, v9
	v_add_f32_e32 v12, 0x40051340, v5
	v_cndmask_b32_e64 v10, v25, v10, s[16:17]
	v_max_f32_e32 v13, v10, v10
	v_max_f32_e32 v12, v13, v12
	v_cmp_gt_u32_e64 s[14:15], s20, v11
	v_or_b32_e32 v11, 2, v9
	v_cmp_gt_u32_e64 s[12:13], s20, v11
	v_cndmask_b32_e64 v10, v10, v12, s[14:15]
	v_add_f32_e32 v12, 0x40051340, v6
	v_max_f32_e32 v13, v10, v10
	v_max_f32_e32 v12, v13, v12
	v_cndmask_b32_e64 v10, v10, v12, s[12:13]
	v_or_b32_e32 v11, 3, v9
	v_add_f32_e32 v12, 0x40051340, v7
	v_max_f32_e32 v13, v10, v10
	v_max_f32_e32 v12, v13, v12
	v_cmp_gt_u32_e64 s[6:7], s20, v11
	v_add_f32_e32 v11, 0x40051340, v0
	v_cmp_gt_u32_e64 s[4:5], s20, v28
	v_cndmask_b32_e64 v10, v10, v12, s[6:7]
	v_max_f32_e32 v12, v10, v10
	v_max_f32_e32 v11, v12, v11
	v_cndmask_b32_e64 v10, v10, v11, s[4:5]
	v_add_u32_e32 v11, 33, v9
	v_add_f32_e32 v12, 0x40051340, v1
	v_max_f32_e32 v13, v10, v10
	v_max_f32_e32 v12, v13, v12
	v_cmp_gt_u32_e64 s[18:19], s20, v11
	v_add_f32_e32 v11, 0x40051340, v2
	v_cmp_gt_u32_e64 s[0:1], s20, v23
	v_cndmask_b32_e64 v10, v10, v12, s[18:19]
	v_max_f32_e32 v12, v10, v10
	v_max_f32_e32 v11, v12, v11
	v_cndmask_b32_e64 v10, v10, v11, s[0:1]
	v_add_u32_e32 v9, 35, v9
	v_add_f32_e32 v11, 0x40051340, v3
	v_max_f32_e32 v12, v10, v10
	v_max_f32_e32 v11, v12, v11
	v_cmp_gt_u32_e32 vcc, s20, v9
	s_mov_b32 s23, 0x3fb8aa3b
	s_mov_b32 s24, 0xc2ce8ed0
	v_cndmask_b32_e32 v9, v10, v11, vcc
	v_mbcnt_hi_u32_b32 v10, -1, v84
	v_and_b32_e32 v11, 64, v10
	v_add_u32_e32 v11, 64, v11
	v_xor_b32_e32 v12, 32, v10
	v_cmp_lt_i32_e64 s[20:21], v12, v11
	v_ashrrev_i32_e32 v23, 31, v22
	s_mov_b64 s[26:27], src_private_base
	v_cndmask_b32_e64 v12, v10, v12, s[20:21]
	v_lshlrev_b32_e32 v14, 2, v12
	ds_bpermute_b32 v12, v14, v9
	v_max_f32_e32 v9, v9, v9
	v_mov_b32_e32 v31, 0
	s_mov_b32 s3, 0x42b17218
	v_cndmask_b32_e64 v6, v6, v6, s[14:15]
	s_waitcnt lgkmcnt(0)
	v_max_f32_e32 v12, v12, v12
	v_max_f32_e32 v9, v9, v12
	v_xor_b32_e32 v12, 16, v10
	v_cmp_lt_i32_e64 s[20:21], v12, v11
	v_mov_b32_e32 v28, 0x7f800000
	s_mov_b32 s2, 0
	v_cndmask_b32_e64 v10, v10, v12, s[20:21]
	v_lshlrev_b32_e32 v17, 2, v10
	ds_bpermute_b32 v10, v17, v9
	v_cndmask_b32_e64 v7, v7, v7, s[14:15]
	v_cndmask_b32_e64 v1, v1, v1, s[4:5]
	;; [unrolled: 1-line block ×4, first 2 shown]
	s_waitcnt lgkmcnt(0)
	v_max_f32_e32 v10, v10, v10
	v_max_f32_e32 v16, v9, v10
	v_sub_f32_e32 v15, v4, v16
	v_mul_f32_e32 v4, 0x3fb8aa3b, v15
	v_fma_f32 v9, v15, s23, -v4
	v_rndne_f32_e32 v10, v4
	v_fmac_f32_e32 v9, 0x32a5705f, v15
	v_sub_f32_e32 v4, v4, v10
	v_add_f32_e32 v4, v4, v9
	v_exp_f32_e32 v4, v4
	v_cvt_i32_f32_e32 v9, v10
	v_cmp_ngt_f32_e64 s[20:21], s24, v15
	v_lshl_add_u32 v10, s54, 5, v22
	v_ashrrev_i32_e32 v11, 31, v10
	v_ldexp_f32 v4, v4, v9
	v_cndmask_b32_e64 v27, 0, v4, s[20:21]
	s_mul_hi_i32 s21, s22, s54
	s_mul_i32 s20, s22, s54
	s_lshl_b64 s[20:21], s[20:21], 2
	s_add_u32 s20, s33, s20
	s_addc_u32 s21, s36, s21
	v_sub_f32_e32 v29, v5, v16
	v_lshl_add_u64 v[4:5], v[22:23], 2, s[20:21]
	v_mov_b32_e32 v9, 0
	v_lshl_add_u64 v[10:11], v[10:11], 2, s[20:21]
	v_lshl_add_u64 v[4:5], v[4:5], 0, v[8:9]
	v_mov_b32_e32 v23, s27
	v_lshl_add_u64 v[12:13], v[10:11], 0, v[8:9]
	v_mov_b32_e32 v8, v9
	v_mov_b32_e32 v10, v9
	;; [unrolled: 1-line block ×3, first 2 shown]
	v_cndmask_b32_e64 v5, v23, v5, s[10:11]
	v_cndmask_b32_e64 v4, v31, v4, s[10:11]
	scratch_store_dwordx4 off, v[8:11], off
	flat_load_dwordx4 v[8:11], v[4:5]
	v_mul_f32_e32 v30, 0x3fb8aa3b, v29
	v_fma_f32 v4, v29, s23, -v30
	v_rndne_f32_e32 v5, v30
	v_fmac_f32_e32 v4, 0x32a5705f, v29
	v_sub_f32_e32 v22, v30, v5
	v_add_f32_e32 v4, v22, v4
	v_exp_f32_e32 v22, v4
	v_cvt_i32_f32_e32 v5, v5
	v_cmp_nlt_f32_e64 s[10:11], s3, v15
	v_sub_f32_e32 v6, v6, v16
	v_sub_f32_e32 v7, v7, v16
	v_cndmask_b32_e64 v4, v28, v27, s[10:11]
	v_ldexp_f32 v5, v22, v5
	v_cmp_ngt_f32_e64 s[10:11], s24, v29
	v_mul_f32_e32 v27, 0x3fb8aa3b, v6
	v_rndne_f32_e32 v30, v27
	v_cndmask_b32_e64 v5, 0, v5, s[10:11]
	v_cmp_nlt_f32_e64 s[10:11], s3, v29
	v_fma_f32 v29, v6, s23, -v27
	v_fmac_f32_e32 v29, 0x32a5705f, v6
	v_sub_f32_e32 v27, v27, v30
	v_add_f32_e32 v27, v27, v29
	v_exp_f32_e32 v27, v27
	v_cvt_i32_f32_e32 v29, v30
	v_cndmask_b32_e64 v4, 0, v4, s[16:17]
	v_cndmask_b32_e64 v15, v28, v5, s[10:11]
	v_add_f32_e32 v22, v15, v4
	v_mov_b32_e32 v5, s2
	v_cndmask_b32_e64 v15, v5, v15, s[14:15]
	v_cndmask_b32_e64 v5, v4, v22, s[14:15]
	v_ldexp_f32 v22, v27, v29
	v_cmp_ngt_f32_e64 s[10:11], s24, v6
	v_sub_f32_e32 v0, v0, v16
	v_sub_f32_e32 v1, v1, v16
	v_cndmask_b32_e64 v22, 0, v22, s[10:11]
	v_cmp_nlt_f32_e64 s[10:11], s3, v6
	v_mul_f32_e32 v6, 0x3fb8aa3b, v7
	v_fma_f32 v29, v7, s23, -v6
	v_rndne_f32_e32 v30, v6
	v_fmac_f32_e32 v29, 0x32a5705f, v7
	v_sub_f32_e32 v6, v6, v30
	v_add_f32_e32 v6, v6, v29
	v_exp_f32_e32 v29, v6
	v_cvt_i32_f32_e32 v30, v30
	v_cndmask_b32_e64 v22, v28, v22, s[10:11]
	v_mov_b32_e32 v6, s2
	v_add_f32_e32 v27, v5, v22
	v_cndmask_b32_e64 v22, v6, v22, s[12:13]
	v_mul_f32_e32 v6, 0x3fb8aa3b, v0
	v_cndmask_b32_e64 v32, v5, v27, s[12:13]
	v_ldexp_f32 v5, v29, v30
	v_fma_f32 v27, v0, s23, -v6
	v_rndne_f32_e32 v29, v6
	v_fmac_f32_e32 v27, 0x32a5705f, v0
	v_sub_f32_e32 v6, v6, v29
	v_add_f32_e32 v6, v6, v27
	v_exp_f32_e32 v6, v6
	v_cvt_i32_f32_e32 v27, v29
	v_cmp_ngt_f32_e64 s[10:11], s24, v7
	v_sub_f32_e32 v2, v2, v16
	v_ldexp_f32 v6, v6, v27
	v_cndmask_b32_e64 v5, 0, v5, s[10:11]
	v_cmp_nlt_f32_e64 s[10:11], s3, v7
	v_cndmask_b32_e64 v7, v23, v13, s[8:9]
	s_waitcnt vmcnt(0) lgkmcnt(0)
	ds_write_b128 v26, v[8:11]
	v_cndmask_b32_e64 v29, v28, v5, s[10:11]
	v_cmp_ngt_f32_e64 s[10:11], s24, v0
	v_mov_b32_e32 v5, s2
	v_cndmask_b32_e64 v5, v5, v29, s[6:7]
	v_cndmask_b32_e64 v6, 0, v6, s[10:11]
	v_cmp_nlt_f32_e64 s[10:11], s3, v0
	v_mov_b32_e32 v0, s2
	v_cvt_f16_f32_e32 v5, v5
	v_cndmask_b32_e64 v30, v28, v6, s[10:11]
	v_mul_f32_e32 v6, 0x3fb8aa3b, v1
	v_rndne_f32_e32 v33, v6
	v_fma_f32 v27, v1, s23, -v6
	v_sub_f32_e32 v34, v6, v33
	v_cndmask_b32_e64 v6, v31, v12, s[8:9]
	flat_load_dwordx4 v[6:9], v[6:7]
	v_fmac_f32_e32 v27, 0x32a5705f, v1
	v_add_f32_e32 v10, v34, v27
	v_exp_f32_e32 v10, v10
	v_cvt_i32_f32_e32 v11, v33
	v_cmp_ngt_f32_e64 s[8:9], s24, v1
	v_cndmask_b32_e64 v0, v0, v30, s[4:5]
	v_ldexp_f32 v10, v10, v11
	v_mul_f32_e32 v11, 0x3fb8aa3b, v2
	v_fma_f32 v12, v2, s23, -v11
	v_rndne_f32_e32 v13, v11
	v_fmac_f32_e32 v12, 0x32a5705f, v2
	v_sub_f32_e32 v11, v11, v13
	v_add_f32_e32 v11, v11, v12
	v_exp_f32_e32 v11, v11
	v_cvt_i32_f32_e32 v12, v13
	v_cndmask_b32_e64 v10, 0, v10, s[8:9]
	v_cmp_nlt_f32_e64 s[8:9], s3, v1
	v_mov_b32_e32 v1, s2
	s_waitcnt vmcnt(0) lgkmcnt(0)
	ds_write_b128 v24, v[6:9]
	v_cndmask_b32_e64 v31, v28, v10, s[8:9]
	v_ldexp_f32 v10, v11, v12
	v_cmp_ngt_f32_e64 s[8:9], s24, v2
	v_cndmask_b32_e64 v1, v1, v31, s[18:19]
	v_cvt_f16_f32_e32 v26, v1
	v_cndmask_b32_e64 v10, 0, v10, s[8:9]
	v_cmp_nlt_f32_e64 s[8:9], s3, v2
	v_mov_b32_e32 v2, s2
	v_or_b32_e32 v1, 3, v61
	v_cndmask_b32_e64 v33, v28, v10, s[8:9]
	v_cndmask_b32_e64 v10, v2, v33, s[0:1]
	v_sub_f32_e32 v2, v3, v16
	v_mul_f32_e32 v3, 0x3fb8aa3b, v2
	v_fma_f32 v11, v2, s23, -v3
	v_rndne_f32_e32 v12, v3
	v_fmac_f32_e32 v11, 0x32a5705f, v2
	v_sub_f32_e32 v3, v3, v12
	v_add_f32_e32 v3, v3, v11
	v_cvt_i32_f32_e32 v11, v12
	v_sub_f32_e32 v12, v25, v16
	v_mul_f32_e32 v13, 0x3fb8aa3b, v12
	v_fma_f32 v23, v12, s23, -v13
	v_rndne_f32_e32 v25, v13
	v_fmac_f32_e32 v23, 0x32a5705f, v12
	v_sub_f32_e32 v13, v13, v25
	v_exp_f32_e32 v3, v3
	v_add_f32_e32 v13, v13, v23
	v_exp_f32_e32 v13, v13
	v_cvt_i32_f32_e32 v23, v25
	v_ldexp_f32 v3, v3, v11
	v_cmp_ngt_f32_e64 s[8:9], s24, v2
	s_waitcnt lgkmcnt(0)
	v_ldexp_f32 v11, v13, v23
	v_cndmask_b32_e64 v3, 0, v3, s[8:9]
	v_cmp_ngt_f32_e64 s[8:9], s24, v12
	v_cvt_f16_f32_e32 v13, v22
	v_cvt_f16_f32_e32 v23, v0
	v_cndmask_b32_e64 v11, 0, v11, s[8:9]
	v_cmp_nlt_f32_e64 s[8:9], s3, v12
	v_mul_u32_u24_e32 v0, 0x48, v19
	v_or_b32_e32 v0, v0, v57
	v_cndmask_b32_e64 v11, v28, v11, s[8:9]
	s_mov_b32 s8, 0xc1a00000
	v_cmp_le_f32_e64 s[8:9], s8, v12
	v_mul_u32_u24_e32 v19, 0x90, v19
	v_lshlrev_b32_e32 v24, 1, v0
	v_cndmask_b32_e64 v34, 0, v11, s[8:9]
	v_cmp_nlt_f32_e64 s[8:9], s3, v2
	s_movk_i32 s3, 0x120
	v_cvt_f16_f32_e32 v25, v34
	v_cndmask_b32_e64 v35, v28, v3, s[8:9]
	v_mov_b32_e32 v3, s2
	v_cndmask_b32_e32 v11, v3, v35, vcc
	v_cvt_f16_f32_e32 v3, v4
	v_cvt_f16_f32_e32 v4, v15
	v_mul_u32_u24_e32 v28, 0x90, v1
	v_mad_u32_u24 v1, v60, s3, 0
	v_add3_u32 v6, v1, v28, v59
	v_pack_b32_f16 v12, v3, v4
	v_pack_b32_f16 v13, v13, v5
	s_barrier
	v_add_u32_e32 v3, v1, v24
	v_add3_u32 v4, v1, v19, v59
	s_mov_b32 s2, 0x5040100
	ds_read_u16 v5, v6
	ds_read_u16 v7, v4 offset:4896
	ds_read_u16 v8, v4 offset:288
	;; [unrolled: 1-line block ×7, first 2 shown]
	s_waitcnt lgkmcnt(5)
	v_perm_b32 v5, v5, v8, s2
	ds_read_u16 v8, v3
	ds_read_u16 v39, v3 offset:32
	ds_read_u16 v40, v3 offset:64
	;; [unrolled: 1-line block ×7, first 2 shown]
	v_pk_mul_f16 v2, v25, v68 op_sel_hi:[0,1]
	v_pk_mul_f16 v15, v25, v67 op_sel_hi:[0,1]
	s_waitcnt lgkmcnt(4)
	v_perm_b32 v4, v41, v8, s2
	v_cvt_f32_f16_e32 v0, v2
	v_cvt_f32_f16_sdwa v1, v2 dst_sel:DWORD dst_unused:UNUSED_PAD src0_sel:WORD_1
	v_cvt_f32_f16_e32 v2, v15
	v_cvt_f32_f16_sdwa v3, v15 dst_sel:DWORD dst_unused:UNUSED_PAD src0_sel:WORD_1
	v_mul_u32_u24_e32 v15, 0x120, v60
	v_cvt_f16_f32_e32 v8, v10
	v_mfma_f32_16x16x16_f16 v[0:3], v[4:5], v[12:13], v[0:3]
	v_add3_u32 v4, 0, 32, v15
	v_cvt_f16_f32_e32 v10, v11
	v_add_u32_e32 v5, v4, v24
	v_add3_u32 v11, v4, v19, v59
	s_nop 2
	v_cvt_f16_f32_e32 v0, v0
	v_cvt_f16_f32_e32 v1, v1
	v_cvt_f16_f32_e32 v2, v2
	v_cvt_f16_f32_e32 v3, v3
	v_add3_u32 v4, v4, v28, v59
	ds_read_u16 v41, v6 offset:4608
	ds_read_u16 v46, v5 offset:4608
	;; [unrolled: 1-line block ×8, first 2 shown]
	s_waitcnt lgkmcnt(7)
	v_perm_b32 v5, v41, v7, s2
	v_perm_b32 v4, v27, v44, s2
	v_cvt_f32_f16_e32 v0, v0
	v_cvt_f32_f16_e32 v1, v1
	;; [unrolled: 1-line block ×4, first 2 shown]
	v_pk_mul_f16 v22, v25, v69 op_sel_hi:[0,1]
	v_pk_mul_f16 v7, v25, v65 op_sel_hi:[0,1]
	v_pack_b32_f16 v26, v23, v26
	v_pack_b32_f16 v27, v8, v10
	s_waitcnt lgkmcnt(2)
	v_perm_b32 v9, v49, v9, s2
	v_perm_b32 v8, v42, v39, s2
	v_mfma_f32_16x16x16_f16 v[0:3], v[4:5], v[26:27], v[0:3]
	v_cvt_f32_f16_e32 v4, v22
	v_cvt_f32_f16_sdwa v5, v22 dst_sel:DWORD dst_unused:UNUSED_PAD src0_sel:WORD_1
	v_cvt_f32_f16_e32 v6, v7
	v_cvt_f32_f16_sdwa v7, v7 dst_sel:DWORD dst_unused:UNUSED_PAD src0_sel:WORD_1
	v_add_f32_e32 v10, v32, v29
	v_cndmask_b32_e64 v10, v32, v10, s[6:7]
	v_mfma_f32_16x16x16_f16 v[4:7], v[8:9], v[12:13], v[4:7]
	v_perm_b32 v9, v48, v11, s2
	v_perm_b32 v8, v47, v46, s2
	v_add_f32_e32 v22, v30, v10
	v_cndmask_b32_e64 v29, v10, v22, s[4:5]
	s_nop 2
	v_cvt_f16_f32_e32 v4, v4
	v_cvt_f16_f32_e32 v5, v5
	;; [unrolled: 1-line block ×4, first 2 shown]
	v_cvt_f32_f16_e32 v4, v4
	v_cvt_f32_f16_e32 v5, v5
	v_cvt_f32_f16_e32 v6, v6
	v_cvt_f32_f16_e32 v7, v7
	v_pk_mul_f16 v10, v25, v66 op_sel_hi:[0,1]
	v_pk_mul_f16 v11, v25, v64 op_sel_hi:[0,1]
	s_waitcnt lgkmcnt(1)
	v_perm_b32 v23, v50, v36, s2
	v_perm_b32 v22, v43, v40, s2
	v_mfma_f32_16x16x16_f16 v[4:7], v[8:9], v[26:27], v[4:7]
	v_cvt_f32_f16_e32 v8, v10
	v_cvt_f32_f16_sdwa v9, v10 dst_sel:DWORD dst_unused:UNUSED_PAD src0_sel:WORD_1
	v_cvt_f32_f16_e32 v10, v11
	v_cvt_f32_f16_sdwa v11, v11 dst_sel:DWORD dst_unused:UNUSED_PAD src0_sel:WORD_1
	s_add_i32 s4, 0, 0x60
	v_add_f32_e32 v30, v31, v29
	v_mfma_f32_16x16x16_f16 v[8:11], v[22:23], v[12:13], v[8:11]
	v_mov_b32_e32 v31, s4
	v_add3_u32 v15, 0, 64, v15
	v_mad_u32_u24 v31, v60, s3, v31
	v_cndmask_b32_e64 v29, v29, v30, s[18:19]
	s_nop 2
	v_cvt_f16_f32_e32 v8, v8
	v_cvt_f16_f32_e32 v9, v9
	;; [unrolled: 1-line block ×4, first 2 shown]
	v_add_u32_e32 v22, v15, v24
	v_add3_u32 v23, v15, v19, v59
	v_add3_u32 v15, v15, v28, v59
	;; [unrolled: 1-line block ×3, first 2 shown]
	v_add_f32_e32 v30, v33, v29
	v_add_u32_e32 v24, v31, v24
	v_add3_u32 v28, v31, v28, v59
	ds_read_u16 v22, v22 offset:4608
	ds_read_u16 v31, v23 offset:4752
	;; [unrolled: 1-line block ×8, first 2 shown]
	s_waitcnt lgkmcnt(4)
	v_perm_b32 v23, v15, v23, s2
	v_perm_b32 v22, v31, v22, s2
	v_cvt_f32_f16_e32 v8, v8
	v_cvt_f32_f16_e32 v9, v9
	;; [unrolled: 1-line block ×4, first 2 shown]
	v_cndmask_b32_e64 v15, v29, v30, s[0:1]
	v_pk_mul_f16 v24, v25, v63 op_sel_hi:[0,1]
	v_pk_mul_f16 v25, v25, v62 op_sel_hi:[0,1]
	v_perm_b32 v29, v51, v37, s2
	v_perm_b32 v28, v38, v45, s2
	v_mfma_f32_16x16x16_f16 v[8:11], v[22:23], v[26:27], v[8:11]
	v_cvt_f32_f16_e32 v22, v24
	v_cvt_f32_f16_sdwa v23, v24 dst_sel:DWORD dst_unused:UNUSED_PAD src0_sel:WORD_1
	v_cvt_f32_f16_e32 v24, v25
	v_cvt_f32_f16_sdwa v25, v25 dst_sel:DWORD dst_unused:UNUSED_PAD src0_sel:WORD_1
	v_add_f32_e32 v30, v35, v15
	v_cndmask_b32_e32 v30, v15, v30, vcc
	v_mfma_f32_16x16x16_f16 v[22:25], v[28:29], v[12:13], v[22:25]
	v_fmac_f32_e32 v30, v18, v34
	s_waitcnt lgkmcnt(0)
	v_perm_b32 v19, v36, v19, s2
	ds_bpermute_b32 v28, v14, v30
	s_movk_i32 s4, 0x90
	s_nop 1
	v_cvt_f16_f32_e32 v18, v25
	v_cvt_f16_f32_e32 v12, v22
	;; [unrolled: 1-line block ×4, first 2 shown]
	v_cvt_f32_f16_e32 v25, v18
	v_perm_b32 v18, v33, v32, s2
	v_cvt_f32_f16_e32 v22, v12
	v_cvt_f32_f16_e32 v23, v13
	;; [unrolled: 1-line block ×3, first 2 shown]
	v_cmp_gt_u32_e64 s[0:1], 16, v56
	s_waitcnt lgkmcnt(0)
	v_mfma_f32_16x16x16_f16 v[12:15], v[18:19], v[26:27], v[22:25]
	v_add_f32_e32 v18, v30, v28
	ds_bpermute_b32 v19, v17, v18
	s_barrier
	s_waitcnt lgkmcnt(0)
	s_and_saveexec_b64 s[2:3], s[0:1]
	s_cbranch_execz .LBB0_263
; %bb.262:
	v_add_f32_e32 v18, v18, v19
	v_or_b32_e32 v19, v81, v56
	v_mad_u32_u24 v19, v19, s4, 0
	ds_write2_b32 v19, v16, v18 offset0:32 offset1:33
.LBB0_263:
	s_or_b64 exec, exec, s[2:3]
	v_cmp_eq_u32_e32 vcc, 0, v83
	v_cmp_eq_u32_e64 s[4:5], 1, v83
	s_waitcnt lgkmcnt(0)
	s_barrier
	s_and_saveexec_b64 s[2:3], s[4:5]
	s_xor_b64 s[2:3], exec, s[2:3]
	s_cbranch_execz .LBB0_265
; %bb.264:
	s_barrier
	s_waitcnt lgkmcnt(0)
                                        ; implicit-def: $vgpr82
                                        ; implicit-def: $vgpr56
                                        ; implicit-def: $vgpr17
.LBB0_265:
	s_andn2_saveexec_b64 s[2:3], s[2:3]
	s_cbranch_execz .LBB0_271
; %bb.266:
	v_or_b32_e32 v22, v81, v20
	s_movk_i32 s4, 0x90
	v_mad_u32_u24 v16, v22, s4, 0
	ds_read_b64 v[24:25], v16 offset:128
	s_mov_b32 s4, 0x3fb8aa3b
	s_mov_b32 s6, 0x42b17218
	s_waitcnt lgkmcnt(0)
	s_barrier
	ds_bpermute_b32 v16, v17, v24
	v_max_f32_e32 v18, v24, v24
	s_waitcnt lgkmcnt(0)
	v_max_f32_e32 v16, v16, v16
	v_max_f32_e32 v16, v18, v16
	v_sub_f32_e32 v18, v24, v16
	v_mul_f32_e32 v19, 0x3fb8aa3b, v18
	v_fma_f32 v23, v18, s4, -v19
	v_rndne_f32_e32 v24, v19
	v_fmamk_f32 v23, v18, 0x32a5705f, v23
	v_sub_f32_e32 v19, v19, v24
	v_add_f32_e32 v19, v19, v23
	v_cvt_i32_f32_e32 v24, v24
	v_exp_f32_e32 v19, v19
	s_mov_b32 s4, 0xc2ce8ed0
	v_cmp_ngt_f32_e64 s[4:5], s4, v18
	v_mov_b32_e32 v23, 0x7f800000
	v_ldexp_f32 v19, v19, v24
	v_cndmask_b32_e64 v19, 0, v19, s[4:5]
	v_cmp_nlt_f32_e64 s[4:5], s6, v18
	s_nop 1
	v_cndmask_b32_e64 v18, v23, v19, s[4:5]
	v_mul_f32_e32 v19, v25, v18
	ds_bpermute_b32 v19, v17, v19
	v_cmp_gt_u32_e64 s[4:5], 32, v56
	s_waitcnt lgkmcnt(0)
	v_fmac_f32_e32 v19, v25, v18
	s_and_saveexec_b64 s[6:7], s[4:5]
	s_cbranch_execz .LBB0_268
; %bb.267:
	v_mul_u32_u24_e32 v17, 0x90, v22
	v_add_u32_e32 v17, 0, v17
	ds_write_b64 v17, v[18:19] offset:128
.LBB0_268:
	s_or_b64 exec, exec, s[6:7]
	s_and_saveexec_b64 s[4:5], s[0:1]
	s_cbranch_execz .LBB0_270
; %bb.269:
	s_add_i32 s0, s50, s52
	s_lshl_b32 s0, s0, 5
	s_mov_b32 s1, 0
	s_lshl_b64 s[0:1], s[0:1], 3
	s_add_u32 s0, s70, s0
	v_or_b32_e32 v17, v82, v56
	s_addc_u32 s1, s71, s1
	v_lshlrev_b32_e32 v18, 3, v17
	v_mov_b32_e32 v17, v19
	global_store_dwordx2 v18, v[16:17], s[0:1]
.LBB0_270:
	s_or_b64 exec, exec, s[4:5]
.LBB0_271:
	s_or_b64 exec, exec, s[2:3]
	v_cvt_f16_f32_e32 v0, v0
	v_cvt_f16_f32_e32 v1, v1
	v_cvt_f16_f32_e32 v2, v2
	v_cvt_f16_f32_e32 v3, v3
	v_cvt_f16_f32_e32 v4, v4
	v_cvt_f16_f32_e32 v6, v6
	v_cvt_f16_f32_e32 v7, v7
	v_cvt_f16_f32_e32 v5, v5
	v_pack_b32_f16 v2, v2, v3
	v_pack_b32_f16 v0, v0, v1
	;; [unrolled: 1-line block ×4, first 2 shown]
	v_cvt_f16_f32_e32 v4, v8
	v_cvt_f16_f32_e32 v6, v10
	;; [unrolled: 1-line block ×8, first 2 shown]
	v_pack_b32_f16 v6, v6, v7
	v_pack_b32_f16 v7, v8, v11
	v_or_b32_e32 v8, v81, v57
	v_mad_u32_u24 v8, v8, 36, v58
	s_mov_b32 s3, 0
	v_lshl_add_u32 v8, v8, 2, 0
	v_pack_b32_f16 v4, v4, v5
	v_pack_b32_f16 v5, v9, v10
	ds_write2_b32 v8, v0, v2 offset1:1
	ds_write2_b32 v8, v3, v1 offset0:8 offset1:9
	ds_write2_b32 v8, v4, v6 offset0:16 offset1:17
	;; [unrolled: 1-line block ×3, first 2 shown]
	s_waitcnt lgkmcnt(0)
	s_barrier
	s_and_saveexec_b64 s[0:1], vcc
	s_cbranch_execz .LBB0_273
; %bb.272:
	s_lshl_b32 s2, s50, 6
	s_lshl_b64 s[4:5], s[2:3], 3
	v_add_u32_e32 v12, v21, v80
	s_add_u32 s6, s70, s4
	v_lshlrev_b32_e32 v0, 1, v12
	v_and_b32_e32 v13, 15, v12
	s_movk_i32 s4, 0xfe0
	v_and_or_b32 v0, v0, s4, v13
	s_movk_i32 s4, 0x90
	v_mad_u32_u24 v2, v0, s4, 0
	v_lshlrev_b32_e32 v14, 2, v20
	v_add_u32_e32 v0, v2, v14
	ds_read2st64_b32 v[0:1], v0 offset1:9
	v_add_u32_e32 v2, 0x80, v2
	ds_read2st64_b32 v[2:3], v2 offset1:9
	s_addc_u32 s5, s71, s5
	s_lshl_b32 s2, s52, 10
	s_waitcnt lgkmcnt(1)
	v_cvt_f32_f16_e32 v4, v0
	v_cvt_f32_f16_sdwa v5, v0 dst_sel:DWORD dst_unused:UNUSED_PAD src0_sel:WORD_1
	s_lshl_b64 s[2:3], s[2:3], 3
	s_add_u32 s2, s6, s2
	v_add_u32_e32 v17, 4, v12
	s_addc_u32 s3, s5, s3
	s_waitcnt lgkmcnt(0)
	v_pk_fma_f32 v[4:5], v[2:3], v[4:5], 0 op_sel_hi:[0,1,0]
	v_lshlrev_b32_e32 v2, 1, v17
	v_and_b32_e32 v6, 15, v17
	s_movk_i32 s5, 0x1fe0
	v_and_or_b32 v2, v2, s5, v6
	v_mad_u32_u24 v8, v2, s4, 0
	v_add_u32_e32 v2, v8, v14
	ds_read2st64_b32 v[6:7], v2 offset1:9
	v_cvt_f32_f16_e32 v0, v1
	v_cvt_f32_f16_sdwa v1, v1 dst_sel:DWORD dst_unused:UNUSED_PAD src0_sel:WORD_1
	v_mov_b32_e32 v2, v3
	v_add_u32_e32 v3, 0x80, v8
	v_lshlrev_b32_e32 v15, 3, v20
	ds_read2st64_b32 v[8:9], v3 offset1:9
	v_lshl_or_b32 v16, v12, 8, v15
	s_waitcnt lgkmcnt(1)
	v_cvt_f32_f16_e32 v10, v6
	v_cvt_f32_f16_sdwa v11, v6 dst_sel:DWORD dst_unused:UNUSED_PAD src0_sel:WORD_1
	v_pk_fma_f32 v[0:1], v[2:3], v[0:1], v[4:5] op_sel_hi:[0,1,1]
	global_store_dwordx2 v16, v[0:1], s[2:3]
	v_lshl_or_b32 v16, v17, 8, v15
	v_add_u32_e32 v17, 8, v12
	v_lshlrev_b32_e32 v3, 1, v17
	v_and_b32_e32 v4, 15, v17
	v_and_or_b32 v3, v3, s5, v4
	s_waitcnt lgkmcnt(0)
	v_pk_fma_f32 v[0:1], v[8:9], v[10:11], 0 op_sel_hi:[0,1,0]
	v_mad_u32_u24 v8, v3, s4, 0
	v_add_u32_e32 v3, v8, v14
	ds_read2st64_b32 v[4:5], v3 offset1:9
	v_cvt_f32_f16_e32 v2, v7
	v_cvt_f32_f16_sdwa v3, v7 dst_sel:DWORD dst_unused:UNUSED_PAD src0_sel:WORD_1
	v_add_u32_e32 v7, 0x80, v8
	v_mov_b32_e32 v6, v9
	ds_read2st64_b32 v[8:9], v7 offset1:9
	s_waitcnt lgkmcnt(1)
	v_cvt_f32_f16_e32 v10, v4
	v_cvt_f32_f16_sdwa v11, v4 dst_sel:DWORD dst_unused:UNUSED_PAD src0_sel:WORD_1
	v_pk_fma_f32 v[0:1], v[6:7], v[2:3], v[0:1] op_sel_hi:[0,1,1]
	global_store_dwordx2 v16, v[0:1], s[2:3]
	v_lshl_or_b32 v16, v17, 8, v15
	v_add_u32_e32 v17, 12, v12
	v_lshlrev_b32_e32 v3, 1, v17
	v_and_b32_e32 v4, 15, v17
	v_and_or_b32 v3, v3, s5, v4
	s_waitcnt lgkmcnt(0)
	v_pk_fma_f32 v[0:1], v[8:9], v[10:11], 0 op_sel_hi:[0,1,0]
	v_mad_u32_u24 v8, v3, s4, 0
	v_add_u32_e32 v3, v8, v14
	ds_read2st64_b32 v[6:7], v3 offset1:9
	v_cvt_f32_f16_e32 v2, v5
	v_cvt_f32_f16_sdwa v3, v5 dst_sel:DWORD dst_unused:UNUSED_PAD src0_sel:WORD_1
	v_add_u32_e32 v5, 0x80, v8
	v_mov_b32_e32 v4, v9
	ds_read2st64_b32 v[8:9], v5 offset1:9
	s_waitcnt lgkmcnt(1)
	v_cvt_f32_f16_e32 v10, v6
	v_cvt_f32_f16_sdwa v11, v6 dst_sel:DWORD dst_unused:UNUSED_PAD src0_sel:WORD_1
	v_pk_fma_f32 v[0:1], v[4:5], v[2:3], v[0:1] op_sel_hi:[0,1,1]
	global_store_dwordx2 v16, v[0:1], s[2:3]
	v_lshl_or_b32 v16, v17, 8, v15
	v_add_u32_e32 v17, 16, v12
	v_lshlrev_b32_e32 v3, 1, v17
	v_and_or_b32 v3, v3, s5, v13
	s_waitcnt lgkmcnt(0)
	v_pk_fma_f32 v[0:1], v[8:9], v[10:11], 0 op_sel_hi:[0,1,0]
	v_mad_u32_u24 v8, v3, s4, 0
	v_add_u32_e32 v3, v8, v14
	ds_read2st64_b32 v[4:5], v3 offset1:9
	v_cvt_f32_f16_e32 v2, v7
	v_cvt_f32_f16_sdwa v3, v7 dst_sel:DWORD dst_unused:UNUSED_PAD src0_sel:WORD_1
	v_add_u32_e32 v7, 0x80, v8
	v_mov_b32_e32 v6, v9
	ds_read2st64_b32 v[8:9], v7 offset1:9
	s_waitcnt lgkmcnt(1)
	v_cvt_f32_f16_e32 v10, v4
	v_cvt_f32_f16_sdwa v11, v4 dst_sel:DWORD dst_unused:UNUSED_PAD src0_sel:WORD_1
	v_pk_fma_f32 v[0:1], v[6:7], v[2:3], v[0:1] op_sel_hi:[0,1,1]
	global_store_dwordx2 v16, v[0:1], s[2:3]
	v_add_u32_e32 v16, 20, v12
	v_lshlrev_b32_e32 v3, 1, v16
	v_and_b32_e32 v4, 15, v16
	v_and_or_b32 v3, v3, s5, v4
	s_waitcnt lgkmcnt(0)
	v_pk_fma_f32 v[0:1], v[8:9], v[10:11], 0 op_sel_hi:[0,1,0]
	v_mad_u32_u24 v8, v3, s4, 0
	v_add_u32_e32 v3, v8, v14
	ds_read2st64_b32 v[6:7], v3 offset1:9
	v_cvt_f32_f16_e32 v2, v5
	v_cvt_f32_f16_sdwa v3, v5 dst_sel:DWORD dst_unused:UNUSED_PAD src0_sel:WORD_1
	v_add_u32_e32 v5, 0x80, v8
	v_mov_b32_e32 v4, v9
	ds_read2st64_b32 v[8:9], v5 offset1:9
	v_lshl_or_b32 v13, v17, 8, v15
	s_waitcnt lgkmcnt(1)
	v_cvt_f32_f16_e32 v10, v6
	v_cvt_f32_f16_sdwa v11, v6 dst_sel:DWORD dst_unused:UNUSED_PAD src0_sel:WORD_1
	v_pk_fma_f32 v[0:1], v[4:5], v[2:3], v[0:1] op_sel_hi:[0,1,1]
	global_store_dwordx2 v13, v[0:1], s[2:3]
	v_lshl_or_b32 v13, v16, 8, v15
	v_add_u32_e32 v16, 24, v12
	v_lshlrev_b32_e32 v3, 1, v16
	v_and_b32_e32 v4, 15, v16
	v_and_or_b32 v3, v3, s5, v4
	s_waitcnt lgkmcnt(0)
	v_pk_fma_f32 v[0:1], v[8:9], v[10:11], 0 op_sel_hi:[0,1,0]
	v_mad_u32_u24 v8, v3, s4, 0
	v_add_u32_e32 v3, v8, v14
	ds_read2st64_b32 v[4:5], v3 offset1:9
	v_cvt_f32_f16_e32 v2, v7
	v_cvt_f32_f16_sdwa v3, v7 dst_sel:DWORD dst_unused:UNUSED_PAD src0_sel:WORD_1
	v_add_u32_e32 v7, 0x80, v8
	v_mov_b32_e32 v6, v9
	ds_read2st64_b32 v[8:9], v7 offset1:9
	s_waitcnt lgkmcnt(1)
	v_cvt_f32_f16_e32 v10, v4
	v_cvt_f32_f16_sdwa v11, v4 dst_sel:DWORD dst_unused:UNUSED_PAD src0_sel:WORD_1
	v_pk_fma_f32 v[0:1], v[6:7], v[2:3], v[0:1] op_sel_hi:[0,1,1]
	global_store_dwordx2 v13, v[0:1], s[2:3]
	v_cvt_f32_f16_e32 v2, v5
	s_waitcnt lgkmcnt(0)
	v_pk_fma_f32 v[0:1], v[8:9], v[10:11], 0 op_sel_hi:[0,1,0]
	v_add_u32_e32 v8, 28, v12
	v_cvt_f32_f16_sdwa v3, v5 dst_sel:DWORD dst_unused:UNUSED_PAD src0_sel:WORD_1
	v_lshlrev_b32_e32 v5, 1, v8
	v_and_b32_e32 v6, 15, v8
	v_and_or_b32 v5, v5, s5, v6
	v_mad_u32_u24 v5, v5, s4, 0
	v_add_u32_e32 v6, v5, v14
	ds_read2st64_b32 v[6:7], v6 offset1:9
	v_mov_b32_e32 v4, v9
	v_lshl_or_b32 v13, v16, 8, v15
	v_pk_fma_f32 v[0:1], v[4:5], v[2:3], v[0:1] op_sel_hi:[0,1,1]
	global_store_dwordx2 v13, v[0:1], s[2:3]
	v_add_u32_e32 v0, 0x80, v5
	ds_read2st64_b32 v[0:1], v0 offset1:9
	s_waitcnt lgkmcnt(1)
	v_cvt_f32_f16_e32 v2, v6
	v_cvt_f32_f16_sdwa v3, v6 dst_sel:DWORD dst_unused:UNUSED_PAD src0_sel:WORD_1
	v_cvt_f32_f16_e32 v4, v7
	v_cvt_f32_f16_sdwa v5, v7 dst_sel:DWORD dst_unused:UNUSED_PAD src0_sel:WORD_1
	v_lshl_or_b32 v6, v8, 8, v15
	s_waitcnt lgkmcnt(0)
	v_pk_fma_f32 v[2:3], v[0:1], v[2:3], 0 op_sel_hi:[0,1,0]
	v_mov_b32_e32 v0, v1
	v_pk_fma_f32 v[0:1], v[0:1], v[4:5], v[2:3] op_sel_hi:[0,1,1]
	global_store_dwordx2 v6, v[0:1], s[2:3]
.LBB0_273:
	s_or_b64 exec, exec, s[0:1]
	s_barrier
	s_endpgm
.LBB0_274:
                                        ; implicit-def: $vgpr4_vgpr5_vgpr6_vgpr7
                                        ; implicit-def: $vgpr0_vgpr1_vgpr2_vgpr3
                                        ; implicit-def: $vgpr28
                                        ; implicit-def: $vgpr23
	v_add_u32_e32 v24, 0x1200, v26
	s_branch .LBB0_260
	.section	.rodata,"a",@progbits
	.p2align	6, 0x0
	.amdhsa_kernel _ZL18flash_attn_ext_f16ILi64ELi64ELi32ELi1ELb0ELb0EEvPKcS1_S1_S1_S1_PKiPfP15HIP_vector_typeIfLj2EEffffjfiS5_IjLj3EEiiiiiiiiiiiliiliiiiil
		.amdhsa_group_segment_fixed_size 0
		.amdhsa_private_segment_fixed_size 32
		.amdhsa_kernarg_size 464
		.amdhsa_user_sgpr_count 2
		.amdhsa_user_sgpr_dispatch_ptr 0
		.amdhsa_user_sgpr_queue_ptr 0
		.amdhsa_user_sgpr_kernarg_segment_ptr 1
		.amdhsa_user_sgpr_dispatch_id 0
		.amdhsa_user_sgpr_kernarg_preload_length 0
		.amdhsa_user_sgpr_kernarg_preload_offset 0
		.amdhsa_user_sgpr_private_segment_size 0
		.amdhsa_uses_dynamic_stack 0
		.amdhsa_enable_private_segment 1
		.amdhsa_system_sgpr_workgroup_id_x 1
		.amdhsa_system_sgpr_workgroup_id_y 0
		.amdhsa_system_sgpr_workgroup_id_z 0
		.amdhsa_system_sgpr_workgroup_info 0
		.amdhsa_system_vgpr_workitem_id 1
		.amdhsa_next_free_vgpr 192
		.amdhsa_next_free_sgpr 100
		.amdhsa_accum_offset 192
		.amdhsa_reserve_vcc 1
		.amdhsa_float_round_mode_32 0
		.amdhsa_float_round_mode_16_64 0
		.amdhsa_float_denorm_mode_32 3
		.amdhsa_float_denorm_mode_16_64 3
		.amdhsa_dx10_clamp 1
		.amdhsa_ieee_mode 1
		.amdhsa_fp16_overflow 0
		.amdhsa_tg_split 0
		.amdhsa_exception_fp_ieee_invalid_op 0
		.amdhsa_exception_fp_denorm_src 0
		.amdhsa_exception_fp_ieee_div_zero 0
		.amdhsa_exception_fp_ieee_overflow 0
		.amdhsa_exception_fp_ieee_underflow 0
		.amdhsa_exception_fp_ieee_inexact 0
		.amdhsa_exception_int_div_zero 0
	.end_amdhsa_kernel
	.section	.text._ZL18flash_attn_ext_f16ILi64ELi64ELi32ELi1ELb0ELb0EEvPKcS1_S1_S1_S1_PKiPfP15HIP_vector_typeIfLj2EEffffjfiS5_IjLj3EEiiiiiiiiiiiliiliiiiil,"axG",@progbits,_ZL18flash_attn_ext_f16ILi64ELi64ELi32ELi1ELb0ELb0EEvPKcS1_S1_S1_S1_PKiPfP15HIP_vector_typeIfLj2EEffffjfiS5_IjLj3EEiiiiiiiiiiiliiliiiiil,comdat
.Lfunc_end0:
	.size	_ZL18flash_attn_ext_f16ILi64ELi64ELi32ELi1ELb0ELb0EEvPKcS1_S1_S1_S1_PKiPfP15HIP_vector_typeIfLj2EEffffjfiS5_IjLj3EEiiiiiiiiiiiliiliiiiil, .Lfunc_end0-_ZL18flash_attn_ext_f16ILi64ELi64ELi32ELi1ELb0ELb0EEvPKcS1_S1_S1_S1_PKiPfP15HIP_vector_typeIfLj2EEffffjfiS5_IjLj3EEiiiiiiiiiiiliiliiiiil
                                        ; -- End function
	.section	.AMDGPU.csdata,"",@progbits
; Kernel info:
; codeLenInByte = 40720
; NumSgprs: 106
; NumVgprs: 192
; NumAgprs: 0
; TotalNumVgprs: 192
; ScratchSize: 32
; MemoryBound: 0
; FloatMode: 240
; IeeeMode: 1
; LDSByteSize: 0 bytes/workgroup (compile time only)
; SGPRBlocks: 13
; VGPRBlocks: 23
; NumSGPRsForWavesPerEU: 106
; NumVGPRsForWavesPerEU: 192
; AccumOffset: 192
; Occupancy: 2
; WaveLimiterHint : 0
; COMPUTE_PGM_RSRC2:SCRATCH_EN: 1
; COMPUTE_PGM_RSRC2:USER_SGPR: 2
; COMPUTE_PGM_RSRC2:TRAP_HANDLER: 0
; COMPUTE_PGM_RSRC2:TGID_X_EN: 1
; COMPUTE_PGM_RSRC2:TGID_Y_EN: 0
; COMPUTE_PGM_RSRC2:TGID_Z_EN: 0
; COMPUTE_PGM_RSRC2:TIDIG_COMP_CNT: 1
; COMPUTE_PGM_RSRC3_GFX90A:ACCUM_OFFSET: 47
; COMPUTE_PGM_RSRC3_GFX90A:TG_SPLIT: 0
	.text
	.p2align	2                               ; -- Begin function __ockl_printf_append_string_n
	.type	__ockl_printf_append_string_n,@function
__ockl_printf_append_string_n:          ; @__ockl_printf_append_string_n
; %bb.0:
	s_waitcnt vmcnt(0) expcnt(0) lgkmcnt(0)
	v_mov_b32_e32 v7, v3
	v_mov_b32_e32 v6, v2
	;; [unrolled: 1-line block ×3, first 2 shown]
	s_mov_b64 s[2:3], 0
	v_cmp_ne_u64_e32 vcc, 0, v[6:7]
	v_mbcnt_lo_u32_b32 v3, -1, 0
	s_and_saveexec_b64 s[0:1], vcc
	s_xor_b64 s[4:5], exec, s[0:1]
	s_cbranch_execz .LBB1_86
; %bb.1:
	s_load_dwordx2 s[6:7], s[8:9], 0x50
	v_and_b32_e32 v28, 2, v2
	s_mov_b32 s18, 0
	v_mov_b32_e32 v31, 0
	v_and_b32_e32 v0, -3, v2
	v_mbcnt_hi_u32_b32 v32, -1, v3
	s_movk_i32 s19, 0xff1f
	v_mov_b32_e32 v10, 2
	v_mov_b32_e32 v11, 1
	s_branch .LBB1_3
.LBB1_2:                                ;   in Loop: Header=BB1_3 Depth=1
	s_or_b64 exec, exec, s[12:13]
	v_sub_co_u32_e32 v4, vcc, v4, v34
	v_lshl_add_u64 v[6:7], v[6:7], 0, v[34:35]
	s_nop 0
	v_subb_co_u32_e32 v5, vcc, v5, v35, vcc
	v_cmp_eq_u64_e32 vcc, 0, v[4:5]
	s_or_b64 s[2:3], vcc, s[2:3]
	s_andn2_b64 exec, exec, s[2:3]
	s_cbranch_execz .LBB1_85
.LBB1_3:                                ; =>This Loop Header: Depth=1
                                        ;     Child Loop BB1_6 Depth 2
                                        ;     Child Loop BB1_14 Depth 2
	;; [unrolled: 1-line block ×11, first 2 shown]
	v_cmp_gt_u64_e32 vcc, 56, v[4:5]
                                        ; implicit-def: $vgpr2_vgpr3
                                        ; implicit-def: $sgpr10
	s_nop 1
	v_cndmask_b32_e32 v35, 0, v5, vcc
	v_cndmask_b32_e32 v34, 56, v4, vcc
	v_cmp_gt_u64_e32 vcc, 8, v[4:5]
	s_and_saveexec_b64 s[0:1], vcc
	s_xor_b64 s[0:1], exec, s[0:1]
	s_cbranch_execz .LBB1_9
; %bb.4:                                ;   in Loop: Header=BB1_3 Depth=1
	s_mov_b64 s[12:13], 0
	v_cmp_ne_u64_e32 vcc, 0, v[4:5]
	s_waitcnt vmcnt(0)
	v_mov_b64_e32 v[2:3], 0
	s_and_saveexec_b64 s[10:11], vcc
	s_cbranch_execz .LBB1_8
; %bb.5:                                ;   in Loop: Header=BB1_3 Depth=1
	v_lshlrev_b64 v[8:9], 3, v[34:35]
	v_mov_b64_e32 v[2:3], 0
	v_mov_b64_e32 v[12:13], v[6:7]
	s_mov_b64 s[14:15], 0
.LBB1_6:                                ;   Parent Loop BB1_3 Depth=1
                                        ; =>  This Inner Loop Header: Depth=2
	flat_load_ubyte v9, v[12:13]
	v_mov_b32_e32 v15, s18
	v_lshl_add_u64 v[12:13], v[12:13], 0, 1
	s_waitcnt vmcnt(0) lgkmcnt(0)
	v_and_b32_e32 v14, 0xffff, v9
	v_lshlrev_b64 v[14:15], s14, v[14:15]
	s_add_u32 s14, s14, 8
	s_addc_u32 s15, s15, 0
	v_cmp_eq_u32_e32 vcc, s14, v8
	v_or_b32_e32 v3, v15, v3
	s_or_b64 s[12:13], vcc, s[12:13]
	v_or_b32_e32 v2, v14, v2
	s_andn2_b64 exec, exec, s[12:13]
	s_cbranch_execnz .LBB1_6
; %bb.7:                                ;   in Loop: Header=BB1_3 Depth=1
	s_or_b64 exec, exec, s[12:13]
.LBB1_8:                                ;   in Loop: Header=BB1_3 Depth=1
	s_or_b64 exec, exec, s[10:11]
	s_mov_b32 s10, 0
.LBB1_9:                                ;   in Loop: Header=BB1_3 Depth=1
	s_or_saveexec_b64 s[0:1], s[0:1]
	v_mov_b32_e32 v14, s10
	v_mov_b64_e32 v[8:9], v[6:7]
	s_xor_b64 exec, exec, s[0:1]
	s_cbranch_execz .LBB1_11
; %bb.10:                               ;   in Loop: Header=BB1_3 Depth=1
	s_waitcnt vmcnt(0)
	flat_load_dwordx2 v[2:3], v[6:7]
	v_add_u32_e32 v14, -8, v34
	s_waitcnt vmcnt(0) lgkmcnt(0)
	v_and_b32_e32 v8, 0xff, v3
	v_and_b32_e32 v9, 0xff00, v3
	;; [unrolled: 1-line block ×4, first 2 shown]
	v_or_b32_e32 v8, v8, v9
	v_or3_b32 v2, v2, 0, 0
	v_or3_b32 v3, v8, v12, v3
	v_lshl_add_u64 v[8:9], v[6:7], 0, 8
.LBB1_11:                               ;   in Loop: Header=BB1_3 Depth=1
	s_or_b64 exec, exec, s[0:1]
	v_cmp_gt_u32_e32 vcc, 8, v14
                                        ; implicit-def: $vgpr12_vgpr13
                                        ; implicit-def: $sgpr10
	s_and_saveexec_b64 s[0:1], vcc
	s_xor_b64 s[0:1], exec, s[0:1]
	s_cbranch_execz .LBB1_17
; %bb.12:                               ;   in Loop: Header=BB1_3 Depth=1
	v_cmp_ne_u32_e32 vcc, 0, v14
	v_mov_b64_e32 v[12:13], 0
	s_and_saveexec_b64 s[10:11], vcc
	s_cbranch_execz .LBB1_16
; %bb.13:                               ;   in Loop: Header=BB1_3 Depth=1
	s_mov_b64 s[12:13], 0
	v_mov_b64_e32 v[12:13], 0
	s_mov_b64 s[14:15], 0
	s_mov_b64 s[16:17], 0
.LBB1_14:                               ;   Parent Loop BB1_3 Depth=1
                                        ; =>  This Inner Loop Header: Depth=2
	v_lshl_add_u64 v[16:17], v[8:9], 0, s[16:17]
	flat_load_ubyte v15, v[16:17]
	s_add_u32 s16, s16, 1
	v_mov_b32_e32 v17, s18
	s_addc_u32 s17, s17, 0
	v_cmp_eq_u32_e32 vcc, s16, v14
	s_waitcnt vmcnt(0) lgkmcnt(0)
	v_and_b32_e32 v16, 0xffff, v15
	v_lshlrev_b64 v[16:17], s14, v[16:17]
	s_add_u32 s14, s14, 8
	s_addc_u32 s15, s15, 0
	v_or_b32_e32 v13, v17, v13
	s_or_b64 s[12:13], vcc, s[12:13]
	v_or_b32_e32 v12, v16, v12
	s_andn2_b64 exec, exec, s[12:13]
	s_cbranch_execnz .LBB1_14
; %bb.15:                               ;   in Loop: Header=BB1_3 Depth=1
	s_or_b64 exec, exec, s[12:13]
.LBB1_16:                               ;   in Loop: Header=BB1_3 Depth=1
	s_or_b64 exec, exec, s[10:11]
	s_mov_b32 s10, 0
                                        ; implicit-def: $vgpr14
.LBB1_17:                               ;   in Loop: Header=BB1_3 Depth=1
	s_or_saveexec_b64 s[0:1], s[0:1]
	v_mov_b32_e32 v16, s10
	s_xor_b64 exec, exec, s[0:1]
	s_cbranch_execz .LBB1_19
; %bb.18:                               ;   in Loop: Header=BB1_3 Depth=1
	flat_load_dwordx2 v[12:13], v[8:9]
	v_add_u32_e32 v16, -8, v14
	v_lshl_add_u64 v[8:9], v[8:9], 0, 8
	s_waitcnt vmcnt(0) lgkmcnt(0)
	v_and_b32_e32 v14, 0xff, v13
	v_and_b32_e32 v15, 0xff00, v13
	;; [unrolled: 1-line block ×4, first 2 shown]
	v_or_b32_e32 v14, v14, v15
	v_or3_b32 v12, v12, 0, 0
	v_or3_b32 v13, v14, v17, v13
.LBB1_19:                               ;   in Loop: Header=BB1_3 Depth=1
	s_or_b64 exec, exec, s[0:1]
	v_cmp_gt_u32_e32 vcc, 8, v16
                                        ; implicit-def: $sgpr10
	s_and_saveexec_b64 s[0:1], vcc
	s_xor_b64 s[0:1], exec, s[0:1]
	s_cbranch_execz .LBB1_25
; %bb.20:                               ;   in Loop: Header=BB1_3 Depth=1
	v_cmp_ne_u32_e32 vcc, 0, v16
	v_mov_b64_e32 v[14:15], 0
	s_and_saveexec_b64 s[10:11], vcc
	s_cbranch_execz .LBB1_24
; %bb.21:                               ;   in Loop: Header=BB1_3 Depth=1
	s_mov_b64 s[12:13], 0
	v_mov_b64_e32 v[14:15], 0
	s_mov_b64 s[14:15], 0
	s_mov_b64 s[16:17], 0
.LBB1_22:                               ;   Parent Loop BB1_3 Depth=1
                                        ; =>  This Inner Loop Header: Depth=2
	v_lshl_add_u64 v[18:19], v[8:9], 0, s[16:17]
	flat_load_ubyte v17, v[18:19]
	s_add_u32 s16, s16, 1
	v_mov_b32_e32 v19, s18
	s_addc_u32 s17, s17, 0
	v_cmp_eq_u32_e32 vcc, s16, v16
	s_waitcnt vmcnt(0) lgkmcnt(0)
	v_and_b32_e32 v18, 0xffff, v17
	v_lshlrev_b64 v[18:19], s14, v[18:19]
	s_add_u32 s14, s14, 8
	s_addc_u32 s15, s15, 0
	v_or_b32_e32 v15, v19, v15
	s_or_b64 s[12:13], vcc, s[12:13]
	v_or_b32_e32 v14, v18, v14
	s_andn2_b64 exec, exec, s[12:13]
	s_cbranch_execnz .LBB1_22
; %bb.23:                               ;   in Loop: Header=BB1_3 Depth=1
	s_or_b64 exec, exec, s[12:13]
.LBB1_24:                               ;   in Loop: Header=BB1_3 Depth=1
	s_or_b64 exec, exec, s[10:11]
	s_mov_b32 s10, 0
                                        ; implicit-def: $vgpr16
.LBB1_25:                               ;   in Loop: Header=BB1_3 Depth=1
	s_or_saveexec_b64 s[0:1], s[0:1]
	v_mov_b32_e32 v18, s10
	s_xor_b64 exec, exec, s[0:1]
	s_cbranch_execz .LBB1_27
; %bb.26:                               ;   in Loop: Header=BB1_3 Depth=1
	flat_load_dwordx2 v[14:15], v[8:9]
	v_add_u32_e32 v18, -8, v16
	v_lshl_add_u64 v[8:9], v[8:9], 0, 8
	s_waitcnt vmcnt(0) lgkmcnt(0)
	v_and_b32_e32 v16, 0xff, v15
	v_and_b32_e32 v17, 0xff00, v15
	;; [unrolled: 1-line block ×4, first 2 shown]
	v_or_b32_e32 v16, v16, v17
	v_or3_b32 v14, v14, 0, 0
	v_or3_b32 v15, v16, v19, v15
.LBB1_27:                               ;   in Loop: Header=BB1_3 Depth=1
	s_or_b64 exec, exec, s[0:1]
	v_cmp_gt_u32_e32 vcc, 8, v18
                                        ; implicit-def: $vgpr16_vgpr17
                                        ; implicit-def: $sgpr10
	s_and_saveexec_b64 s[0:1], vcc
	s_xor_b64 s[0:1], exec, s[0:1]
	s_cbranch_execz .LBB1_33
; %bb.28:                               ;   in Loop: Header=BB1_3 Depth=1
	v_cmp_ne_u32_e32 vcc, 0, v18
	v_mov_b64_e32 v[16:17], 0
	s_and_saveexec_b64 s[10:11], vcc
	s_cbranch_execz .LBB1_32
; %bb.29:                               ;   in Loop: Header=BB1_3 Depth=1
	s_mov_b64 s[12:13], 0
	v_mov_b64_e32 v[16:17], 0
	s_mov_b64 s[14:15], 0
	s_mov_b64 s[16:17], 0
.LBB1_30:                               ;   Parent Loop BB1_3 Depth=1
                                        ; =>  This Inner Loop Header: Depth=2
	v_lshl_add_u64 v[20:21], v[8:9], 0, s[16:17]
	flat_load_ubyte v19, v[20:21]
	s_add_u32 s16, s16, 1
	v_mov_b32_e32 v21, s18
	s_addc_u32 s17, s17, 0
	v_cmp_eq_u32_e32 vcc, s16, v18
	s_waitcnt vmcnt(0) lgkmcnt(0)
	v_and_b32_e32 v20, 0xffff, v19
	v_lshlrev_b64 v[20:21], s14, v[20:21]
	s_add_u32 s14, s14, 8
	s_addc_u32 s15, s15, 0
	v_or_b32_e32 v17, v21, v17
	s_or_b64 s[12:13], vcc, s[12:13]
	v_or_b32_e32 v16, v20, v16
	s_andn2_b64 exec, exec, s[12:13]
	s_cbranch_execnz .LBB1_30
; %bb.31:                               ;   in Loop: Header=BB1_3 Depth=1
	s_or_b64 exec, exec, s[12:13]
.LBB1_32:                               ;   in Loop: Header=BB1_3 Depth=1
	s_or_b64 exec, exec, s[10:11]
	s_mov_b32 s10, 0
                                        ; implicit-def: $vgpr18
.LBB1_33:                               ;   in Loop: Header=BB1_3 Depth=1
	s_or_saveexec_b64 s[0:1], s[0:1]
	v_mov_b32_e32 v20, s10
	s_xor_b64 exec, exec, s[0:1]
	s_cbranch_execz .LBB1_35
; %bb.34:                               ;   in Loop: Header=BB1_3 Depth=1
	flat_load_dwordx2 v[16:17], v[8:9]
	v_add_u32_e32 v20, -8, v18
	v_lshl_add_u64 v[8:9], v[8:9], 0, 8
	s_waitcnt vmcnt(0) lgkmcnt(0)
	v_and_b32_e32 v18, 0xff, v17
	v_and_b32_e32 v19, 0xff00, v17
	;; [unrolled: 1-line block ×4, first 2 shown]
	v_or_b32_e32 v18, v18, v19
	v_or3_b32 v16, v16, 0, 0
	v_or3_b32 v17, v18, v21, v17
.LBB1_35:                               ;   in Loop: Header=BB1_3 Depth=1
	s_or_b64 exec, exec, s[0:1]
	v_cmp_gt_u32_e32 vcc, 8, v20
                                        ; implicit-def: $sgpr10
	s_and_saveexec_b64 s[0:1], vcc
	s_xor_b64 s[0:1], exec, s[0:1]
	s_cbranch_execz .LBB1_41
; %bb.36:                               ;   in Loop: Header=BB1_3 Depth=1
	v_cmp_ne_u32_e32 vcc, 0, v20
	v_mov_b64_e32 v[18:19], 0
	s_and_saveexec_b64 s[10:11], vcc
	s_cbranch_execz .LBB1_40
; %bb.37:                               ;   in Loop: Header=BB1_3 Depth=1
	s_mov_b64 s[12:13], 0
	v_mov_b64_e32 v[18:19], 0
	s_mov_b64 s[14:15], 0
	s_mov_b64 s[16:17], 0
.LBB1_38:                               ;   Parent Loop BB1_3 Depth=1
                                        ; =>  This Inner Loop Header: Depth=2
	v_lshl_add_u64 v[22:23], v[8:9], 0, s[16:17]
	flat_load_ubyte v21, v[22:23]
	s_add_u32 s16, s16, 1
	v_mov_b32_e32 v23, s18
	s_addc_u32 s17, s17, 0
	v_cmp_eq_u32_e32 vcc, s16, v20
	s_waitcnt vmcnt(0) lgkmcnt(0)
	v_and_b32_e32 v22, 0xffff, v21
	v_lshlrev_b64 v[22:23], s14, v[22:23]
	s_add_u32 s14, s14, 8
	s_addc_u32 s15, s15, 0
	v_or_b32_e32 v19, v23, v19
	s_or_b64 s[12:13], vcc, s[12:13]
	v_or_b32_e32 v18, v22, v18
	s_andn2_b64 exec, exec, s[12:13]
	s_cbranch_execnz .LBB1_38
; %bb.39:                               ;   in Loop: Header=BB1_3 Depth=1
	s_or_b64 exec, exec, s[12:13]
.LBB1_40:                               ;   in Loop: Header=BB1_3 Depth=1
	s_or_b64 exec, exec, s[10:11]
	s_mov_b32 s10, 0
                                        ; implicit-def: $vgpr20
.LBB1_41:                               ;   in Loop: Header=BB1_3 Depth=1
	s_or_saveexec_b64 s[0:1], s[0:1]
	v_mov_b32_e32 v22, s10
	s_xor_b64 exec, exec, s[0:1]
	s_cbranch_execz .LBB1_43
; %bb.42:                               ;   in Loop: Header=BB1_3 Depth=1
	flat_load_dwordx2 v[18:19], v[8:9]
	v_add_u32_e32 v22, -8, v20
	v_lshl_add_u64 v[8:9], v[8:9], 0, 8
	s_waitcnt vmcnt(0) lgkmcnt(0)
	v_and_b32_e32 v20, 0xff, v19
	v_and_b32_e32 v21, 0xff00, v19
	;; [unrolled: 1-line block ×4, first 2 shown]
	v_or_b32_e32 v20, v20, v21
	v_or3_b32 v18, v18, 0, 0
	v_or3_b32 v19, v20, v23, v19
.LBB1_43:                               ;   in Loop: Header=BB1_3 Depth=1
	s_or_b64 exec, exec, s[0:1]
	v_cmp_gt_u32_e32 vcc, 8, v22
                                        ; implicit-def: $vgpr20_vgpr21
                                        ; implicit-def: $sgpr10
	s_and_saveexec_b64 s[0:1], vcc
	s_xor_b64 s[0:1], exec, s[0:1]
	s_cbranch_execz .LBB1_49
; %bb.44:                               ;   in Loop: Header=BB1_3 Depth=1
	v_cmp_ne_u32_e32 vcc, 0, v22
	v_mov_b64_e32 v[20:21], 0
	s_and_saveexec_b64 s[10:11], vcc
	s_cbranch_execz .LBB1_48
; %bb.45:                               ;   in Loop: Header=BB1_3 Depth=1
	s_mov_b64 s[12:13], 0
	v_mov_b64_e32 v[20:21], 0
	s_mov_b64 s[14:15], 0
	s_mov_b64 s[16:17], 0
.LBB1_46:                               ;   Parent Loop BB1_3 Depth=1
                                        ; =>  This Inner Loop Header: Depth=2
	v_lshl_add_u64 v[24:25], v[8:9], 0, s[16:17]
	flat_load_ubyte v23, v[24:25]
	s_add_u32 s16, s16, 1
	v_mov_b32_e32 v25, s18
	s_addc_u32 s17, s17, 0
	v_cmp_eq_u32_e32 vcc, s16, v22
	s_waitcnt vmcnt(0) lgkmcnt(0)
	v_and_b32_e32 v24, 0xffff, v23
	v_lshlrev_b64 v[24:25], s14, v[24:25]
	s_add_u32 s14, s14, 8
	s_addc_u32 s15, s15, 0
	v_or_b32_e32 v21, v25, v21
	s_or_b64 s[12:13], vcc, s[12:13]
	v_or_b32_e32 v20, v24, v20
	s_andn2_b64 exec, exec, s[12:13]
	s_cbranch_execnz .LBB1_46
; %bb.47:                               ;   in Loop: Header=BB1_3 Depth=1
	s_or_b64 exec, exec, s[12:13]
.LBB1_48:                               ;   in Loop: Header=BB1_3 Depth=1
	s_or_b64 exec, exec, s[10:11]
	s_mov_b32 s10, 0
                                        ; implicit-def: $vgpr22
.LBB1_49:                               ;   in Loop: Header=BB1_3 Depth=1
	s_or_saveexec_b64 s[0:1], s[0:1]
	v_mov_b32_e32 v24, s10
	s_xor_b64 exec, exec, s[0:1]
	s_cbranch_execz .LBB1_51
; %bb.50:                               ;   in Loop: Header=BB1_3 Depth=1
	flat_load_dwordx2 v[20:21], v[8:9]
	v_add_u32_e32 v24, -8, v22
	v_lshl_add_u64 v[8:9], v[8:9], 0, 8
	s_waitcnt vmcnt(0) lgkmcnt(0)
	v_and_b32_e32 v22, 0xff, v21
	v_and_b32_e32 v23, 0xff00, v21
	;; [unrolled: 1-line block ×4, first 2 shown]
	v_or_b32_e32 v22, v22, v23
	v_or3_b32 v20, v20, 0, 0
	v_or3_b32 v21, v22, v25, v21
.LBB1_51:                               ;   in Loop: Header=BB1_3 Depth=1
	s_or_b64 exec, exec, s[0:1]
	v_cmp_gt_u32_e32 vcc, 8, v24
	s_and_saveexec_b64 s[0:1], vcc
	s_xor_b64 s[0:1], exec, s[0:1]
	s_cbranch_execz .LBB1_57
; %bb.52:                               ;   in Loop: Header=BB1_3 Depth=1
	v_cmp_ne_u32_e32 vcc, 0, v24
	v_mov_b64_e32 v[22:23], 0
	s_and_saveexec_b64 s[10:11], vcc
	s_cbranch_execz .LBB1_56
; %bb.53:                               ;   in Loop: Header=BB1_3 Depth=1
	s_mov_b64 s[12:13], 0
	v_mov_b64_e32 v[22:23], 0
	s_mov_b64 s[14:15], 0
.LBB1_54:                               ;   Parent Loop BB1_3 Depth=1
                                        ; =>  This Inner Loop Header: Depth=2
	flat_load_ubyte v25, v[8:9]
	v_mov_b32_e32 v27, s18
	v_add_u32_e32 v24, -1, v24
	v_cmp_eq_u32_e32 vcc, 0, v24
	v_lshl_add_u64 v[8:9], v[8:9], 0, 1
	s_waitcnt vmcnt(0) lgkmcnt(0)
	v_and_b32_e32 v26, 0xffff, v25
	v_lshlrev_b64 v[26:27], s14, v[26:27]
	s_add_u32 s14, s14, 8
	s_addc_u32 s15, s15, 0
	v_or_b32_e32 v23, v27, v23
	s_or_b64 s[12:13], vcc, s[12:13]
	v_or_b32_e32 v22, v26, v22
	s_andn2_b64 exec, exec, s[12:13]
	s_cbranch_execnz .LBB1_54
; %bb.55:                               ;   in Loop: Header=BB1_3 Depth=1
	s_or_b64 exec, exec, s[12:13]
.LBB1_56:                               ;   in Loop: Header=BB1_3 Depth=1
	s_or_b64 exec, exec, s[10:11]
                                        ; implicit-def: $vgpr8_vgpr9
.LBB1_57:                               ;   in Loop: Header=BB1_3 Depth=1
	s_andn2_saveexec_b64 s[0:1], s[0:1]
	s_cbranch_execz .LBB1_59
; %bb.58:                               ;   in Loop: Header=BB1_3 Depth=1
	flat_load_dwordx2 v[8:9], v[8:9]
	s_waitcnt vmcnt(0) lgkmcnt(0)
	v_and_b32_e32 v22, 0xff, v9
	v_and_b32_e32 v23, 0xff00, v9
	;; [unrolled: 1-line block ×4, first 2 shown]
	v_or_b32_e32 v22, v22, v23
	v_or3_b32 v23, v22, v24, v9
	v_or3_b32 v22, v8, 0, 0
.LBB1_59:                               ;   in Loop: Header=BB1_3 Depth=1
	s_or_b64 exec, exec, s[0:1]
	v_readfirstlane_b32 s0, v32
	v_mov_b64_e32 v[8:9], 0
	s_nop 0
	v_cmp_eq_u32_e64 s[0:1], s0, v32
	s_and_saveexec_b64 s[10:11], s[0:1]
	s_cbranch_execz .LBB1_65
; %bb.60:                               ;   in Loop: Header=BB1_3 Depth=1
	s_waitcnt lgkmcnt(0)
	global_load_dwordx2 v[26:27], v31, s[6:7] offset:24 sc0 sc1
	s_waitcnt vmcnt(0)
	buffer_inv sc0 sc1
	global_load_dwordx2 v[8:9], v31, s[6:7] offset:40
	global_load_dwordx2 v[24:25], v31, s[6:7]
	s_waitcnt vmcnt(1)
	v_and_b32_e32 v8, v8, v26
	v_and_b32_e32 v9, v9, v27
	v_mul_lo_u32 v9, v9, 24
	v_mul_hi_u32 v29, v8, 24
	v_add_u32_e32 v9, v29, v9
	v_mul_lo_u32 v8, v8, 24
	s_waitcnt vmcnt(0)
	v_lshl_add_u64 v[8:9], v[24:25], 0, v[8:9]
	global_load_dwordx2 v[24:25], v[8:9], off sc0 sc1
	s_waitcnt vmcnt(0)
	global_atomic_cmpswap_x2 v[8:9], v31, v[24:27], s[6:7] offset:24 sc0 sc1
	s_waitcnt vmcnt(0)
	buffer_inv sc0 sc1
	v_cmp_ne_u64_e32 vcc, v[8:9], v[26:27]
	s_and_saveexec_b64 s[12:13], vcc
	s_cbranch_execz .LBB1_64
; %bb.61:                               ;   in Loop: Header=BB1_3 Depth=1
	s_mov_b64 s[14:15], 0
.LBB1_62:                               ;   Parent Loop BB1_3 Depth=1
                                        ; =>  This Inner Loop Header: Depth=2
	s_sleep 1
	global_load_dwordx2 v[24:25], v31, s[6:7] offset:40
	global_load_dwordx2 v[36:37], v31, s[6:7]
	v_mov_b64_e32 v[26:27], v[8:9]
	s_waitcnt vmcnt(1)
	v_and_b32_e32 v8, v24, v26
	s_waitcnt vmcnt(0)
	v_mad_u64_u32 v[8:9], s[16:17], v8, 24, v[36:37]
	v_and_b32_e32 v25, v25, v27
	v_mov_b32_e32 v24, v9
	v_mad_u64_u32 v[24:25], s[16:17], v25, 24, v[24:25]
	v_mov_b32_e32 v9, v24
	global_load_dwordx2 v[24:25], v[8:9], off sc0 sc1
	s_waitcnt vmcnt(0)
	global_atomic_cmpswap_x2 v[8:9], v31, v[24:27], s[6:7] offset:24 sc0 sc1
	s_waitcnt vmcnt(0)
	buffer_inv sc0 sc1
	v_cmp_eq_u64_e32 vcc, v[8:9], v[26:27]
	s_or_b64 s[14:15], vcc, s[14:15]
	s_andn2_b64 exec, exec, s[14:15]
	s_cbranch_execnz .LBB1_62
; %bb.63:                               ;   in Loop: Header=BB1_3 Depth=1
	s_or_b64 exec, exec, s[14:15]
.LBB1_64:                               ;   in Loop: Header=BB1_3 Depth=1
	s_or_b64 exec, exec, s[12:13]
.LBB1_65:                               ;   in Loop: Header=BB1_3 Depth=1
	s_or_b64 exec, exec, s[10:11]
	s_waitcnt lgkmcnt(0)
	global_load_dwordx2 v[36:37], v31, s[6:7] offset:40
	global_load_dwordx4 v[24:27], v31, s[6:7]
	v_readfirstlane_b32 s10, v8
	v_readfirstlane_b32 s11, v9
	s_mov_b64 s[12:13], exec
	s_waitcnt vmcnt(1)
	v_readfirstlane_b32 s14, v36
	v_readfirstlane_b32 s15, v37
	s_and_b64 s[14:15], s[10:11], s[14:15]
	s_mul_i32 s16, s15, 24
	s_mul_hi_u32 s17, s14, 24
	s_add_i32 s17, s17, s16
	s_mul_i32 s16, s14, 24
	s_waitcnt vmcnt(0)
	v_lshl_add_u64 v[36:37], v[24:25], 0, s[16:17]
	s_and_saveexec_b64 s[16:17], s[0:1]
	s_cbranch_execz .LBB1_67
; %bb.66:                               ;   in Loop: Header=BB1_3 Depth=1
	v_mov_b64_e32 v[8:9], s[12:13]
	global_store_dwordx4 v[36:37], v[8:11], off offset:8
.LBB1_67:                               ;   in Loop: Header=BB1_3 Depth=1
	s_or_b64 exec, exec, s[16:17]
	s_lshl_b64 s[12:13], s[14:15], 12
	v_lshl_add_u64 v[8:9], v[26:27], 0, s[12:13]
	v_or_b32_e32 v26, 0, v1
	v_cmp_lt_u64_e32 vcc, 56, v[4:5]
	v_or_b32_e32 v27, v0, v28
	v_lshlrev_b32_e32 v30, 6, v32
	v_cndmask_b32_e32 v1, v26, v1, vcc
	v_lshl_add_u32 v26, v34, 2, 28
	v_cndmask_b32_e32 v0, v27, v0, vcc
	v_and_b32_e32 v26, 0x1e0, v26
	v_and_or_b32 v0, v0, s19, v26
	v_readfirstlane_b32 s12, v8
	v_readfirstlane_b32 s13, v9
	s_nop 4
	global_store_dwordx4 v30, v[0:3], s[12:13]
	global_store_dwordx4 v30, v[12:15], s[12:13] offset:16
	global_store_dwordx4 v30, v[16:19], s[12:13] offset:32
	global_store_dwordx4 v30, v[20:23], s[12:13] offset:48
	s_and_saveexec_b64 s[12:13], s[0:1]
	s_cbranch_execz .LBB1_75
; %bb.68:                               ;   in Loop: Header=BB1_3 Depth=1
	global_load_dwordx2 v[16:17], v31, s[6:7] offset:32 sc0 sc1
	global_load_dwordx2 v[0:1], v31, s[6:7] offset:40
	v_mov_b32_e32 v14, s10
	v_mov_b32_e32 v15, s11
	s_waitcnt vmcnt(0)
	v_readfirstlane_b32 s14, v0
	v_readfirstlane_b32 s15, v1
	s_and_b64 s[14:15], s[14:15], s[10:11]
	s_mul_i32 s15, s15, 24
	s_mul_hi_u32 s16, s14, 24
	s_mul_i32 s14, s14, 24
	s_add_i32 s15, s16, s15
	v_lshl_add_u64 v[12:13], v[24:25], 0, s[14:15]
	global_store_dwordx2 v[12:13], v[16:17], off
	buffer_wbl2 sc0 sc1
	s_waitcnt vmcnt(0)
	global_atomic_cmpswap_x2 v[2:3], v31, v[14:17], s[6:7] offset:32 sc0 sc1
	s_waitcnt vmcnt(0)
	v_cmp_ne_u64_e32 vcc, v[2:3], v[16:17]
	s_and_saveexec_b64 s[14:15], vcc
	s_cbranch_execz .LBB1_71
; %bb.69:                               ;   in Loop: Header=BB1_3 Depth=1
	s_mov_b64 s[16:17], 0
.LBB1_70:                               ;   Parent Loop BB1_3 Depth=1
                                        ; =>  This Inner Loop Header: Depth=2
	s_sleep 1
	global_store_dwordx2 v[12:13], v[2:3], off
	v_mov_b32_e32 v0, s10
	v_mov_b32_e32 v1, s11
	buffer_wbl2 sc0 sc1
	s_waitcnt vmcnt(0)
	global_atomic_cmpswap_x2 v[0:1], v31, v[0:3], s[6:7] offset:32 sc0 sc1
	s_waitcnt vmcnt(0)
	v_cmp_eq_u64_e32 vcc, v[0:1], v[2:3]
	s_or_b64 s[16:17], vcc, s[16:17]
	v_mov_b64_e32 v[2:3], v[0:1]
	s_andn2_b64 exec, exec, s[16:17]
	s_cbranch_execnz .LBB1_70
.LBB1_71:                               ;   in Loop: Header=BB1_3 Depth=1
	s_or_b64 exec, exec, s[14:15]
	global_load_dwordx2 v[0:1], v31, s[6:7] offset:16
	s_mov_b64 s[16:17], exec
	v_mbcnt_lo_u32_b32 v2, s16, 0
	v_mbcnt_hi_u32_b32 v2, s17, v2
	v_cmp_eq_u32_e32 vcc, 0, v2
	s_and_saveexec_b64 s[14:15], vcc
	s_cbranch_execz .LBB1_73
; %bb.72:                               ;   in Loop: Header=BB1_3 Depth=1
	s_bcnt1_i32_b64 s16, s[16:17]
	v_mov_b32_e32 v2, s16
	v_mov_b32_e32 v3, v31
	buffer_wbl2 sc0 sc1
	s_waitcnt vmcnt(0)
	global_atomic_add_x2 v[0:1], v[2:3], off offset:8 sc1
.LBB1_73:                               ;   in Loop: Header=BB1_3 Depth=1
	s_or_b64 exec, exec, s[14:15]
	s_waitcnt vmcnt(0)
	global_load_dwordx2 v[2:3], v[0:1], off offset:16
	s_waitcnt vmcnt(0)
	v_cmp_eq_u64_e32 vcc, 0, v[2:3]
	s_cbranch_vccnz .LBB1_75
; %bb.74:                               ;   in Loop: Header=BB1_3 Depth=1
	global_load_dword v0, v[0:1], off offset:24
	v_mov_b32_e32 v1, v31
	buffer_wbl2 sc0 sc1
	s_waitcnt vmcnt(0)
	global_store_dwordx2 v[2:3], v[0:1], off sc0 sc1
	v_and_b32_e32 v0, 0xffffff, v0
	s_nop 0
	v_readfirstlane_b32 m0, v0
	s_sendmsg sendmsg(MSG_INTERRUPT)
.LBB1_75:                               ;   in Loop: Header=BB1_3 Depth=1
	s_or_b64 exec, exec, s[12:13]
	v_lshl_add_u64 v[0:1], v[8:9], 0, v[30:31]
	s_branch .LBB1_79
.LBB1_76:                               ;   in Loop: Header=BB1_79 Depth=2
	s_or_b64 exec, exec, s[12:13]
	v_readfirstlane_b32 s12, v2
	s_cmp_eq_u32 s12, 0
	s_cbranch_scc1 .LBB1_78
; %bb.77:                               ;   in Loop: Header=BB1_79 Depth=2
	s_sleep 1
	s_cbranch_execnz .LBB1_79
	s_branch .LBB1_81
.LBB1_78:                               ;   in Loop: Header=BB1_3 Depth=1
	s_branch .LBB1_81
.LBB1_79:                               ;   Parent Loop BB1_3 Depth=1
                                        ; =>  This Inner Loop Header: Depth=2
	v_mov_b32_e32 v2, 1
	s_and_saveexec_b64 s[12:13], s[0:1]
	s_cbranch_execz .LBB1_76
; %bb.80:                               ;   in Loop: Header=BB1_79 Depth=2
	global_load_dword v2, v[36:37], off offset:20 sc0 sc1
	s_waitcnt vmcnt(0)
	buffer_inv sc0 sc1
	v_and_b32_e32 v2, 1, v2
	s_branch .LBB1_76
.LBB1_81:                               ;   in Loop: Header=BB1_3 Depth=1
	global_load_dwordx4 v[0:3], v[0:1], off
	s_and_saveexec_b64 s[12:13], s[0:1]
	s_cbranch_execz .LBB1_2
; %bb.82:                               ;   in Loop: Header=BB1_3 Depth=1
	global_load_dwordx2 v[2:3], v31, s[6:7] offset:40
	global_load_dwordx2 v[8:9], v31, s[6:7] offset:24 sc0 sc1
	global_load_dwordx2 v[16:17], v31, s[6:7]
	s_waitcnt vmcnt(2)
	v_lshl_add_u64 v[12:13], v[2:3], 0, 1
	v_lshl_add_u64 v[18:19], v[12:13], 0, s[10:11]
	v_cmp_eq_u64_e32 vcc, 0, v[18:19]
	s_waitcnt vmcnt(1)
	v_mov_b32_e32 v14, v8
	v_cndmask_b32_e32 v13, v19, v13, vcc
	v_cndmask_b32_e32 v12, v18, v12, vcc
	v_and_b32_e32 v3, v13, v3
	v_and_b32_e32 v2, v12, v2
	v_mul_lo_u32 v3, v3, 24
	v_mul_hi_u32 v15, v2, 24
	v_mul_lo_u32 v2, v2, 24
	v_add_u32_e32 v3, v15, v3
	s_waitcnt vmcnt(0)
	v_lshl_add_u64 v[2:3], v[16:17], 0, v[2:3]
	global_store_dwordx2 v[2:3], v[8:9], off
	v_mov_b32_e32 v15, v9
	buffer_wbl2 sc0 sc1
	s_waitcnt vmcnt(0)
	global_atomic_cmpswap_x2 v[14:15], v31, v[12:15], s[6:7] offset:24 sc0 sc1
	s_waitcnt vmcnt(0)
	v_cmp_ne_u64_e32 vcc, v[14:15], v[8:9]
	s_and_b64 exec, exec, vcc
	s_cbranch_execz .LBB1_2
; %bb.83:                               ;   in Loop: Header=BB1_3 Depth=1
	s_mov_b64 s[0:1], 0
.LBB1_84:                               ;   Parent Loop BB1_3 Depth=1
                                        ; =>  This Inner Loop Header: Depth=2
	s_sleep 1
	global_store_dwordx2 v[2:3], v[14:15], off
	buffer_wbl2 sc0 sc1
	s_waitcnt vmcnt(0)
	global_atomic_cmpswap_x2 v[8:9], v31, v[12:15], s[6:7] offset:24 sc0 sc1
	s_waitcnt vmcnt(0)
	v_cmp_eq_u64_e32 vcc, v[8:9], v[14:15]
	s_or_b64 s[0:1], vcc, s[0:1]
	v_mov_b64_e32 v[14:15], v[8:9]
	s_andn2_b64 exec, exec, s[0:1]
	s_cbranch_execnz .LBB1_84
	s_branch .LBB1_2
.LBB1_85:
	s_or_b64 exec, exec, s[2:3]
                                        ; implicit-def: $vgpr2
                                        ; implicit-def: $vgpr3
.LBB1_86:
	s_andn2_saveexec_b64 s[2:3], s[4:5]
	s_cbranch_execz .LBB1_109
; %bb.87:
	s_load_dwordx2 s[4:5], s[8:9], 0x50
	s_waitcnt vmcnt(0)
	v_mbcnt_hi_u32_b32 v3, -1, v3
	v_mov_b64_e32 v[8:9], 0
	v_readfirstlane_b32 s0, v3
	s_nop 1
	v_cmp_eq_u32_e64 s[0:1], s0, v3
	s_and_saveexec_b64 s[6:7], s[0:1]
	s_cbranch_execz .LBB1_93
; %bb.88:
	v_mov_b32_e32 v0, 0
	s_waitcnt lgkmcnt(0)
	global_load_dwordx2 v[6:7], v0, s[4:5] offset:24 sc0 sc1
	s_waitcnt vmcnt(0)
	buffer_inv sc0 sc1
	global_load_dwordx2 v[4:5], v0, s[4:5] offset:40
	global_load_dwordx2 v[8:9], v0, s[4:5]
	s_waitcnt vmcnt(1)
	v_and_b32_e32 v4, v4, v6
	v_and_b32_e32 v5, v5, v7
	v_mul_lo_u32 v5, v5, 24
	v_mul_hi_u32 v10, v4, 24
	v_add_u32_e32 v5, v10, v5
	v_mul_lo_u32 v4, v4, 24
	s_waitcnt vmcnt(0)
	v_lshl_add_u64 v[4:5], v[8:9], 0, v[4:5]
	global_load_dwordx2 v[4:5], v[4:5], off sc0 sc1
	s_waitcnt vmcnt(0)
	global_atomic_cmpswap_x2 v[8:9], v0, v[4:7], s[4:5] offset:24 sc0 sc1
	s_waitcnt vmcnt(0)
	buffer_inv sc0 sc1
	v_cmp_ne_u64_e32 vcc, v[8:9], v[6:7]
	s_and_saveexec_b64 s[8:9], vcc
	s_cbranch_execz .LBB1_92
; %bb.89:
	s_mov_b64 s[10:11], 0
.LBB1_90:                               ; =>This Inner Loop Header: Depth=1
	s_sleep 1
	global_load_dwordx2 v[4:5], v0, s[4:5] offset:40
	global_load_dwordx2 v[10:11], v0, s[4:5]
	v_mov_b64_e32 v[6:7], v[8:9]
	s_waitcnt vmcnt(1)
	v_and_b32_e32 v4, v4, v6
	v_and_b32_e32 v9, v5, v7
	s_waitcnt vmcnt(0)
	v_mad_u64_u32 v[4:5], s[12:13], v4, 24, v[10:11]
	v_mov_b32_e32 v8, v5
	v_mad_u64_u32 v[8:9], s[12:13], v9, 24, v[8:9]
	v_mov_b32_e32 v5, v8
	global_load_dwordx2 v[4:5], v[4:5], off sc0 sc1
	s_waitcnt vmcnt(0)
	global_atomic_cmpswap_x2 v[8:9], v0, v[4:7], s[4:5] offset:24 sc0 sc1
	s_waitcnt vmcnt(0)
	buffer_inv sc0 sc1
	v_cmp_eq_u64_e32 vcc, v[8:9], v[6:7]
	s_or_b64 s[10:11], vcc, s[10:11]
	s_andn2_b64 exec, exec, s[10:11]
	s_cbranch_execnz .LBB1_90
; %bb.91:
	s_or_b64 exec, exec, s[10:11]
.LBB1_92:
	s_or_b64 exec, exec, s[8:9]
.LBB1_93:
	s_or_b64 exec, exec, s[6:7]
	v_mov_b32_e32 v11, 0
	s_waitcnt lgkmcnt(0)
	global_load_dwordx2 v[12:13], v11, s[4:5] offset:40
	global_load_dwordx4 v[4:7], v11, s[4:5]
	v_readfirstlane_b32 s6, v8
	v_readfirstlane_b32 s7, v9
	s_mov_b64 s[8:9], exec
	s_waitcnt vmcnt(1)
	v_readfirstlane_b32 s10, v12
	v_readfirstlane_b32 s11, v13
	s_and_b64 s[10:11], s[6:7], s[10:11]
	s_mul_i32 s12, s11, 24
	s_mul_hi_u32 s13, s10, 24
	s_add_i32 s13, s13, s12
	s_mul_i32 s12, s10, 24
	s_waitcnt vmcnt(0)
	v_lshl_add_u64 v[8:9], v[4:5], 0, s[12:13]
	s_and_saveexec_b64 s[12:13], s[0:1]
	s_cbranch_execz .LBB1_95
; %bb.94:
	v_mov_b64_e32 v[12:13], s[8:9]
	v_mov_b32_e32 v14, 2
	v_mov_b32_e32 v15, 1
	global_store_dwordx4 v[8:9], v[12:15], off offset:8
.LBB1_95:
	s_or_b64 exec, exec, s[12:13]
	s_lshl_b64 s[8:9], s[10:11], 12
	v_lshl_add_u64 v[6:7], v[6:7], 0, s[8:9]
	s_movk_i32 s8, 0xff1f
	v_and_or_b32 v0, v2, s8, 32
	s_mov_b32 s8, 0
	v_lshlrev_b32_e32 v10, 6, v3
	v_mov_b32_e32 v2, v11
	v_mov_b32_e32 v3, v11
	v_readfirstlane_b32 s12, v6
	v_readfirstlane_b32 s13, v7
	s_mov_b32 s9, s8
	s_mov_b32 s10, s8
	;; [unrolled: 1-line block ×3, first 2 shown]
	s_nop 1
	global_store_dwordx4 v10, v[0:3], s[12:13]
	s_nop 1
	v_mov_b64_e32 v[0:1], s[8:9]
	v_mov_b64_e32 v[2:3], s[10:11]
	global_store_dwordx4 v10, v[0:3], s[12:13] offset:16
	global_store_dwordx4 v10, v[0:3], s[12:13] offset:32
	;; [unrolled: 1-line block ×3, first 2 shown]
	s_and_saveexec_b64 s[8:9], s[0:1]
	s_cbranch_execz .LBB1_103
; %bb.96:
	v_mov_b32_e32 v12, 0
	global_load_dwordx2 v[16:17], v12, s[4:5] offset:32 sc0 sc1
	global_load_dwordx2 v[0:1], v12, s[4:5] offset:40
	v_mov_b32_e32 v14, s6
	v_mov_b32_e32 v15, s7
	s_waitcnt vmcnt(0)
	v_and_b32_e32 v0, s6, v0
	v_and_b32_e32 v1, s7, v1
	v_mul_lo_u32 v1, v1, 24
	v_mul_hi_u32 v2, v0, 24
	v_mul_lo_u32 v0, v0, 24
	v_add_u32_e32 v1, v2, v1
	v_lshl_add_u64 v[4:5], v[4:5], 0, v[0:1]
	global_store_dwordx2 v[4:5], v[16:17], off
	buffer_wbl2 sc0 sc1
	s_waitcnt vmcnt(0)
	global_atomic_cmpswap_x2 v[2:3], v12, v[14:17], s[4:5] offset:32 sc0 sc1
	s_waitcnt vmcnt(0)
	v_cmp_ne_u64_e32 vcc, v[2:3], v[16:17]
	s_and_saveexec_b64 s[10:11], vcc
	s_cbranch_execz .LBB1_99
; %bb.97:
	s_mov_b64 s[12:13], 0
.LBB1_98:                               ; =>This Inner Loop Header: Depth=1
	s_sleep 1
	global_store_dwordx2 v[4:5], v[2:3], off
	v_mov_b32_e32 v0, s6
	v_mov_b32_e32 v1, s7
	buffer_wbl2 sc0 sc1
	s_waitcnt vmcnt(0)
	global_atomic_cmpswap_x2 v[0:1], v12, v[0:3], s[4:5] offset:32 sc0 sc1
	s_waitcnt vmcnt(0)
	v_cmp_eq_u64_e32 vcc, v[0:1], v[2:3]
	s_or_b64 s[12:13], vcc, s[12:13]
	v_mov_b64_e32 v[2:3], v[0:1]
	s_andn2_b64 exec, exec, s[12:13]
	s_cbranch_execnz .LBB1_98
.LBB1_99:
	s_or_b64 exec, exec, s[10:11]
	v_mov_b32_e32 v3, 0
	global_load_dwordx2 v[0:1], v3, s[4:5] offset:16
	s_mov_b64 s[10:11], exec
	v_mbcnt_lo_u32_b32 v2, s10, 0
	v_mbcnt_hi_u32_b32 v2, s11, v2
	v_cmp_eq_u32_e32 vcc, 0, v2
	s_and_saveexec_b64 s[12:13], vcc
	s_cbranch_execz .LBB1_101
; %bb.100:
	s_bcnt1_i32_b64 s10, s[10:11]
	v_mov_b32_e32 v2, s10
	buffer_wbl2 sc0 sc1
	s_waitcnt vmcnt(0)
	global_atomic_add_x2 v[0:1], v[2:3], off offset:8 sc1
.LBB1_101:
	s_or_b64 exec, exec, s[12:13]
	s_waitcnt vmcnt(0)
	global_load_dwordx2 v[2:3], v[0:1], off offset:16
	s_waitcnt vmcnt(0)
	v_cmp_eq_u64_e32 vcc, 0, v[2:3]
	s_cbranch_vccnz .LBB1_103
; %bb.102:
	global_load_dword v0, v[0:1], off offset:24
	v_mov_b32_e32 v1, 0
	buffer_wbl2 sc0 sc1
	s_waitcnt vmcnt(0)
	global_store_dwordx2 v[2:3], v[0:1], off sc0 sc1
	v_and_b32_e32 v0, 0xffffff, v0
	s_nop 0
	v_readfirstlane_b32 m0, v0
	s_sendmsg sendmsg(MSG_INTERRUPT)
.LBB1_103:
	s_or_b64 exec, exec, s[8:9]
	v_lshl_add_u64 v[0:1], v[6:7], 0, v[10:11]
	s_branch .LBB1_107
.LBB1_104:                              ;   in Loop: Header=BB1_107 Depth=1
	s_or_b64 exec, exec, s[8:9]
	v_readfirstlane_b32 s8, v2
	s_cmp_eq_u32 s8, 0
	s_cbranch_scc1 .LBB1_106
; %bb.105:                              ;   in Loop: Header=BB1_107 Depth=1
	s_sleep 1
	s_cbranch_execnz .LBB1_107
	s_branch .LBB1_110
.LBB1_106:
	s_branch .LBB1_110
.LBB1_107:                              ; =>This Inner Loop Header: Depth=1
	v_mov_b32_e32 v2, 1
	s_and_saveexec_b64 s[8:9], s[0:1]
	s_cbranch_execz .LBB1_104
; %bb.108:                              ;   in Loop: Header=BB1_107 Depth=1
	global_load_dword v2, v[8:9], off offset:20 sc0 sc1
	s_waitcnt vmcnt(0)
	buffer_inv sc0 sc1
	v_and_b32_e32 v2, 1, v2
	s_branch .LBB1_104
.LBB1_109:
	s_or_b64 exec, exec, s[2:3]
	s_waitcnt vmcnt(0) lgkmcnt(0)
	s_setpc_b64 s[30:31]
.LBB1_110:
	global_load_dwordx2 v[0:1], v[0:1], off
	s_and_saveexec_b64 s[8:9], s[0:1]
	s_cbranch_execz .LBB1_113
; %bb.111:
	v_mov_b32_e32 v8, 0
	global_load_dwordx2 v[6:7], v8, s[4:5] offset:40
	global_load_dwordx2 v[10:11], v8, s[4:5] offset:24 sc0 sc1
	global_load_dwordx2 v[12:13], v8, s[4:5]
	s_mov_b64 s[0:1], 0
	s_waitcnt vmcnt(2)
	v_lshl_add_u64 v[2:3], v[6:7], 0, 1
	v_lshl_add_u64 v[14:15], v[2:3], 0, s[6:7]
	v_cmp_eq_u64_e32 vcc, 0, v[14:15]
	s_waitcnt vmcnt(1)
	v_mov_b32_e32 v4, v10
	v_cndmask_b32_e32 v3, v15, v3, vcc
	v_cndmask_b32_e32 v2, v14, v2, vcc
	v_and_b32_e32 v5, v3, v7
	v_and_b32_e32 v6, v2, v6
	v_mul_lo_u32 v5, v5, 24
	v_mul_hi_u32 v7, v6, 24
	v_mul_lo_u32 v6, v6, 24
	v_add_u32_e32 v7, v7, v5
	s_waitcnt vmcnt(0)
	v_lshl_add_u64 v[6:7], v[12:13], 0, v[6:7]
	global_store_dwordx2 v[6:7], v[10:11], off
	v_mov_b32_e32 v5, v11
	buffer_wbl2 sc0 sc1
	s_waitcnt vmcnt(0)
	global_atomic_cmpswap_x2 v[4:5], v8, v[2:5], s[4:5] offset:24 sc0 sc1
	s_waitcnt vmcnt(0)
	v_cmp_ne_u64_e32 vcc, v[4:5], v[10:11]
	s_and_b64 exec, exec, vcc
	s_cbranch_execz .LBB1_113
.LBB1_112:                              ; =>This Inner Loop Header: Depth=1
	s_sleep 1
	global_store_dwordx2 v[6:7], v[4:5], off
	buffer_wbl2 sc0 sc1
	s_waitcnt vmcnt(0)
	global_atomic_cmpswap_x2 v[10:11], v8, v[2:5], s[4:5] offset:24 sc0 sc1
	s_waitcnt vmcnt(0)
	v_cmp_eq_u64_e32 vcc, v[10:11], v[4:5]
	s_or_b64 s[0:1], vcc, s[0:1]
	v_mov_b64_e32 v[4:5], v[10:11]
	s_andn2_b64 exec, exec, s[0:1]
	s_cbranch_execnz .LBB1_112
.LBB1_113:
	s_or_b64 exec, exec, s[8:9]
	s_or_b64 exec, exec, s[2:3]
	s_waitcnt vmcnt(0) lgkmcnt(0)
	s_setpc_b64 s[30:31]
.Lfunc_end1:
	.size	__ockl_printf_append_string_n, .Lfunc_end1-__ockl_printf_append_string_n
                                        ; -- End function
	.section	.AMDGPU.csdata,"",@progbits
; Function info:
; codeLenInByte = 4200
; NumSgprs: 38
; NumVgprs: 38
; NumAgprs: 0
; TotalNumVgprs: 38
; ScratchSize: 0
; MemoryBound: 0
	.text
	.p2align	2                               ; -- Begin function __ockl_printf_append_args
	.type	__ockl_printf_append_args,@function
__ockl_printf_append_args:              ; @__ockl_printf_append_args
; %bb.0:
	s_waitcnt vmcnt(0) expcnt(0) lgkmcnt(0)
	s_load_dwordx2 s[2:3], s[8:9], 0x50
	v_mbcnt_lo_u32_b32 v5, -1, 0
	v_mbcnt_hi_u32_b32 v5, -1, v5
	v_mov_b64_e32 v[10:11], 0
	v_readfirstlane_b32 s0, v5
	s_nop 1
	v_cmp_eq_u32_e64 s[0:1], s0, v5
	s_and_saveexec_b64 s[4:5], s[0:1]
	s_cbranch_execz .LBB2_6
; %bb.1:
	v_mov_b32_e32 v6, 0
	s_waitcnt lgkmcnt(0)
	global_load_dwordx2 v[12:13], v6, s[2:3] offset:24 sc0 sc1
	s_waitcnt vmcnt(0)
	buffer_inv sc0 sc1
	global_load_dwordx2 v[8:9], v6, s[2:3] offset:40
	global_load_dwordx2 v[10:11], v6, s[2:3]
	s_waitcnt vmcnt(1)
	v_and_b32_e32 v7, v8, v12
	v_and_b32_e32 v8, v9, v13
	v_mul_lo_u32 v8, v8, 24
	v_mul_hi_u32 v9, v7, 24
	v_add_u32_e32 v9, v9, v8
	v_mul_lo_u32 v8, v7, 24
	s_waitcnt vmcnt(0)
	v_lshl_add_u64 v[8:9], v[10:11], 0, v[8:9]
	global_load_dwordx2 v[10:11], v[8:9], off sc0 sc1
	s_waitcnt vmcnt(0)
	global_atomic_cmpswap_x2 v[10:11], v6, v[10:13], s[2:3] offset:24 sc0 sc1
	s_waitcnt vmcnt(0)
	buffer_inv sc0 sc1
	v_cmp_ne_u64_e32 vcc, v[10:11], v[12:13]
	s_and_saveexec_b64 s[6:7], vcc
	s_cbranch_execz .LBB2_5
; %bb.2:
	s_mov_b64 s[8:9], 0
.LBB2_3:                                ; =>This Inner Loop Header: Depth=1
	s_sleep 1
	global_load_dwordx2 v[8:9], v6, s[2:3] offset:40
	global_load_dwordx2 v[14:15], v6, s[2:3]
	v_mov_b64_e32 v[12:13], v[10:11]
	s_waitcnt vmcnt(1)
	v_and_b32_e32 v8, v8, v12
	v_and_b32_e32 v7, v9, v13
	s_waitcnt vmcnt(0)
	v_mad_u64_u32 v[8:9], s[10:11], v8, 24, v[14:15]
	v_mov_b32_e32 v10, v9
	v_mad_u64_u32 v[10:11], s[10:11], v7, 24, v[10:11]
	v_mov_b32_e32 v9, v10
	global_load_dwordx2 v[10:11], v[8:9], off sc0 sc1
	s_waitcnt vmcnt(0)
	global_atomic_cmpswap_x2 v[10:11], v6, v[10:13], s[2:3] offset:24 sc0 sc1
	s_waitcnt vmcnt(0)
	buffer_inv sc0 sc1
	v_cmp_eq_u64_e32 vcc, v[10:11], v[12:13]
	s_or_b64 s[8:9], vcc, s[8:9]
	s_andn2_b64 exec, exec, s[8:9]
	s_cbranch_execnz .LBB2_3
; %bb.4:
	s_or_b64 exec, exec, s[8:9]
.LBB2_5:
	s_or_b64 exec, exec, s[6:7]
.LBB2_6:
	s_or_b64 exec, exec, s[4:5]
	v_mov_b32_e32 v14, 0
	s_waitcnt lgkmcnt(0)
	global_load_dwordx2 v[12:13], v14, s[2:3] offset:40
	global_load_dwordx4 v[6:9], v14, s[2:3]
	v_readfirstlane_b32 s4, v10
	v_readfirstlane_b32 s5, v11
	s_mov_b64 s[6:7], exec
	s_waitcnt vmcnt(1)
	v_readfirstlane_b32 s8, v12
	v_readfirstlane_b32 s9, v13
	s_and_b64 s[8:9], s[4:5], s[8:9]
	s_mul_i32 s10, s9, 24
	s_mul_hi_u32 s11, s8, 24
	s_add_i32 s11, s11, s10
	s_mul_i32 s10, s8, 24
	s_waitcnt vmcnt(0)
	v_lshl_add_u64 v[10:11], v[6:7], 0, s[10:11]
	s_and_saveexec_b64 s[10:11], s[0:1]
	s_cbranch_execz .LBB2_8
; %bb.7:
	v_mov_b64_e32 v[12:13], s[6:7]
	v_mov_b32_e32 v14, 2
	v_mov_b32_e32 v15, 1
	global_store_dwordx4 v[10:11], v[12:15], off offset:8
.LBB2_8:
	s_or_b64 exec, exec, s[10:11]
	s_lshl_b64 s[6:7], s[8:9], 12
	v_or_b32_e32 v12, 2, v0
	v_cmp_eq_u32_e32 vcc, 0, v4
	v_lshl_add_u64 v[8:9], v[8:9], 0, s[6:7]
	s_mov_b32 s8, 0
	v_cndmask_b32_e32 v0, v12, v0, vcc
	s_movk_i32 s6, 0xff1f
	v_and_or_b32 v0, v0, s6, 32
	v_lshlrev_b32_e32 v4, 6, v5
	v_readfirstlane_b32 s6, v8
	v_readfirstlane_b32 s7, v9
	s_mov_b32 s9, s8
	s_mov_b32 s10, s8
	;; [unrolled: 1-line block ×3, first 2 shown]
	s_nop 1
	global_store_dwordx4 v4, v[0:3], s[6:7]
	s_nop 1
	v_mov_b64_e32 v[0:1], s[8:9]
	v_mov_b64_e32 v[2:3], s[10:11]
	global_store_dwordx4 v4, v[0:3], s[6:7] offset:16
	global_store_dwordx4 v4, v[0:3], s[6:7] offset:32
	;; [unrolled: 1-line block ×3, first 2 shown]
	s_and_saveexec_b64 s[6:7], s[0:1]
	s_cbranch_execz .LBB2_16
; %bb.9:
	v_mov_b32_e32 v8, 0
	global_load_dwordx2 v[14:15], v8, s[2:3] offset:32 sc0 sc1
	global_load_dwordx2 v[0:1], v8, s[2:3] offset:40
	v_mov_b32_e32 v12, s4
	v_mov_b32_e32 v13, s5
	s_waitcnt vmcnt(0)
	v_and_b32_e32 v0, s4, v0
	v_and_b32_e32 v1, s5, v1
	v_mul_lo_u32 v1, v1, 24
	v_mul_hi_u32 v2, v0, 24
	v_mul_lo_u32 v0, v0, 24
	v_add_u32_e32 v1, v2, v1
	v_lshl_add_u64 v[4:5], v[6:7], 0, v[0:1]
	global_store_dwordx2 v[4:5], v[14:15], off
	buffer_wbl2 sc0 sc1
	s_waitcnt vmcnt(0)
	global_atomic_cmpswap_x2 v[2:3], v8, v[12:15], s[2:3] offset:32 sc0 sc1
	s_waitcnt vmcnt(0)
	v_cmp_ne_u64_e32 vcc, v[2:3], v[14:15]
	s_and_saveexec_b64 s[8:9], vcc
	s_cbranch_execz .LBB2_12
; %bb.10:
	s_mov_b64 s[10:11], 0
.LBB2_11:                               ; =>This Inner Loop Header: Depth=1
	s_sleep 1
	global_store_dwordx2 v[4:5], v[2:3], off
	v_mov_b32_e32 v0, s4
	v_mov_b32_e32 v1, s5
	buffer_wbl2 sc0 sc1
	s_waitcnt vmcnt(0)
	global_atomic_cmpswap_x2 v[0:1], v8, v[0:3], s[2:3] offset:32 sc0 sc1
	s_waitcnt vmcnt(0)
	v_cmp_eq_u64_e32 vcc, v[0:1], v[2:3]
	s_or_b64 s[10:11], vcc, s[10:11]
	v_mov_b64_e32 v[2:3], v[0:1]
	s_andn2_b64 exec, exec, s[10:11]
	s_cbranch_execnz .LBB2_11
.LBB2_12:
	s_or_b64 exec, exec, s[8:9]
	v_mov_b32_e32 v3, 0
	global_load_dwordx2 v[0:1], v3, s[2:3] offset:16
	s_mov_b64 s[8:9], exec
	v_mbcnt_lo_u32_b32 v2, s8, 0
	v_mbcnt_hi_u32_b32 v2, s9, v2
	v_cmp_eq_u32_e32 vcc, 0, v2
	s_and_saveexec_b64 s[10:11], vcc
	s_cbranch_execz .LBB2_14
; %bb.13:
	s_bcnt1_i32_b64 s8, s[8:9]
	v_mov_b32_e32 v2, s8
	buffer_wbl2 sc0 sc1
	s_waitcnt vmcnt(0)
	global_atomic_add_x2 v[0:1], v[2:3], off offset:8 sc1
.LBB2_14:
	s_or_b64 exec, exec, s[10:11]
	s_waitcnt vmcnt(0)
	global_load_dwordx2 v[2:3], v[0:1], off offset:16
	s_waitcnt vmcnt(0)
	v_cmp_eq_u64_e32 vcc, 0, v[2:3]
	s_cbranch_vccnz .LBB2_16
; %bb.15:
	global_load_dword v0, v[0:1], off offset:24
	v_mov_b32_e32 v1, 0
	buffer_wbl2 sc0 sc1
	s_waitcnt vmcnt(0)
	global_store_dwordx2 v[2:3], v[0:1], off sc0 sc1
	v_and_b32_e32 v0, 0xffffff, v0
	s_nop 0
	v_readfirstlane_b32 m0, v0
	s_sendmsg sendmsg(MSG_INTERRUPT)
.LBB2_16:
	s_or_b64 exec, exec, s[6:7]
	s_branch .LBB2_20
.LBB2_17:                               ;   in Loop: Header=BB2_20 Depth=1
	s_or_b64 exec, exec, s[6:7]
	v_readfirstlane_b32 s6, v0
	s_cmp_eq_u32 s6, 0
	s_cbranch_scc1 .LBB2_19
; %bb.18:                               ;   in Loop: Header=BB2_20 Depth=1
	s_sleep 1
	s_cbranch_execnz .LBB2_20
	s_branch .LBB2_22
.LBB2_19:
	s_branch .LBB2_22
.LBB2_20:                               ; =>This Inner Loop Header: Depth=1
	v_mov_b32_e32 v0, 1
	s_and_saveexec_b64 s[6:7], s[0:1]
	s_cbranch_execz .LBB2_17
; %bb.21:                               ;   in Loop: Header=BB2_20 Depth=1
	global_load_dword v0, v[10:11], off offset:20 sc0 sc1
	s_waitcnt vmcnt(0)
	buffer_inv sc0 sc1
	v_and_b32_e32 v0, 1, v0
	s_branch .LBB2_17
.LBB2_22:
	s_and_saveexec_b64 s[6:7], s[0:1]
	s_cbranch_execz .LBB2_25
; %bb.23:
	v_mov_b32_e32 v6, 0
	global_load_dwordx2 v[4:5], v6, s[2:3] offset:40
	global_load_dwordx2 v[8:9], v6, s[2:3] offset:24 sc0 sc1
	global_load_dwordx2 v[10:11], v6, s[2:3]
	s_mov_b64 s[0:1], 0
	s_waitcnt vmcnt(2)
	v_lshl_add_u64 v[0:1], v[4:5], 0, 1
	v_lshl_add_u64 v[12:13], v[0:1], 0, s[4:5]
	v_cmp_eq_u64_e32 vcc, 0, v[12:13]
	s_waitcnt vmcnt(1)
	v_mov_b32_e32 v2, v8
	v_cndmask_b32_e32 v1, v13, v1, vcc
	v_cndmask_b32_e32 v0, v12, v0, vcc
	v_and_b32_e32 v3, v1, v5
	v_and_b32_e32 v4, v0, v4
	v_mul_lo_u32 v3, v3, 24
	v_mul_hi_u32 v5, v4, 24
	v_mul_lo_u32 v4, v4, 24
	v_add_u32_e32 v5, v5, v3
	s_waitcnt vmcnt(0)
	v_lshl_add_u64 v[4:5], v[10:11], 0, v[4:5]
	global_store_dwordx2 v[4:5], v[8:9], off
	v_mov_b32_e32 v3, v9
	buffer_wbl2 sc0 sc1
	s_waitcnt vmcnt(0)
	global_atomic_cmpswap_x2 v[2:3], v6, v[0:3], s[2:3] offset:24 sc0 sc1
	s_waitcnt vmcnt(0)
	v_cmp_ne_u64_e32 vcc, v[2:3], v[8:9]
	s_and_b64 exec, exec, vcc
	s_cbranch_execz .LBB2_25
.LBB2_24:                               ; =>This Inner Loop Header: Depth=1
	s_sleep 1
	global_store_dwordx2 v[4:5], v[2:3], off
	buffer_wbl2 sc0 sc1
	s_waitcnt vmcnt(0)
	global_atomic_cmpswap_x2 v[8:9], v6, v[0:3], s[2:3] offset:24 sc0 sc1
	s_waitcnt vmcnt(0)
	v_cmp_eq_u64_e32 vcc, v[8:9], v[2:3]
	s_or_b64 s[0:1], vcc, s[0:1]
	v_mov_b64_e32 v[2:3], v[8:9]
	s_andn2_b64 exec, exec, s[0:1]
	s_cbranch_execnz .LBB2_24
.LBB2_25:
	s_or_b64 exec, exec, s[6:7]
	s_waitcnt vmcnt(0) lgkmcnt(0)
	s_setpc_b64 s[30:31]
.Lfunc_end2:
	.size	__ockl_printf_append_args, .Lfunc_end2-__ockl_printf_append_args
                                        ; -- End function
	.section	.AMDGPU.csdata,"",@progbits
; Function info:
; codeLenInByte = 1224
; NumSgprs: 38
; NumVgprs: 16
; NumAgprs: 0
; TotalNumVgprs: 16
; ScratchSize: 0
; MemoryBound: 0
	.text
	.p2align	2                               ; -- Begin function _ZL14no_device_codePKciS0_iS0_
	.type	_ZL14no_device_codePKciS0_iS0_,@function
_ZL14no_device_codePKciS0_iS0_:         ; @_ZL14no_device_codePKciS0_iS0_
; %bb.0:
	s_waitcnt vmcnt(0) expcnt(0) lgkmcnt(0)
	s_mov_b32 s22, s33
	s_mov_b32 s33, s32
	s_xor_saveexec_b64 s[0:1], -1
	scratch_store_dword off, v38, s33       ; 4-byte Folded Spill
	s_mov_b64 exec, s[0:1]
	v_writelane_b32 v38, s30, 0
	s_add_i32 s32, s32, 16
	s_nop 0
	v_writelane_b32 v38, s31, 1
	s_load_dwordx2 s[2:3], s[8:9], 0x50
	v_mbcnt_lo_u32_b32 v0, -1, 0
	v_mbcnt_hi_u32_b32 v36, -1, v0
	v_mov_b64_e32 v[4:5], 0
	v_readfirstlane_b32 s0, v36
	s_nop 1
	v_cmp_eq_u32_e64 s[0:1], s0, v36
	s_and_saveexec_b64 s[4:5], s[0:1]
	s_cbranch_execz .LBB3_6
; %bb.1:
	v_mov_b32_e32 v0, 0
	s_waitcnt lgkmcnt(0)
	global_load_dwordx2 v[6:7], v0, s[2:3] offset:24 sc0 sc1
	s_waitcnt vmcnt(0)
	buffer_inv sc0 sc1
	global_load_dwordx2 v[2:3], v0, s[2:3] offset:40
	global_load_dwordx2 v[4:5], v0, s[2:3]
	s_waitcnt vmcnt(1)
	v_and_b32_e32 v1, v2, v6
	v_and_b32_e32 v2, v3, v7
	v_mul_lo_u32 v2, v2, 24
	v_mul_hi_u32 v3, v1, 24
	v_add_u32_e32 v3, v3, v2
	v_mul_lo_u32 v2, v1, 24
	s_waitcnt vmcnt(0)
	v_lshl_add_u64 v[2:3], v[4:5], 0, v[2:3]
	global_load_dwordx2 v[4:5], v[2:3], off sc0 sc1
	s_waitcnt vmcnt(0)
	global_atomic_cmpswap_x2 v[4:5], v0, v[4:7], s[2:3] offset:24 sc0 sc1
	s_waitcnt vmcnt(0)
	buffer_inv sc0 sc1
	v_cmp_ne_u64_e32 vcc, v[4:5], v[6:7]
	s_and_saveexec_b64 s[6:7], vcc
	s_cbranch_execz .LBB3_5
; %bb.2:
	s_mov_b64 s[10:11], 0
.LBB3_3:                                ; =>This Inner Loop Header: Depth=1
	s_sleep 1
	global_load_dwordx2 v[2:3], v0, s[2:3] offset:40
	global_load_dwordx2 v[8:9], v0, s[2:3]
	v_mov_b64_e32 v[6:7], v[4:5]
	s_waitcnt vmcnt(1)
	v_and_b32_e32 v2, v2, v6
	v_and_b32_e32 v1, v3, v7
	s_waitcnt vmcnt(0)
	v_mad_u64_u32 v[2:3], s[12:13], v2, 24, v[8:9]
	v_mov_b32_e32 v4, v3
	v_mad_u64_u32 v[4:5], s[12:13], v1, 24, v[4:5]
	v_mov_b32_e32 v3, v4
	global_load_dwordx2 v[4:5], v[2:3], off sc0 sc1
	s_waitcnt vmcnt(0)
	global_atomic_cmpswap_x2 v[4:5], v0, v[4:7], s[2:3] offset:24 sc0 sc1
	s_waitcnt vmcnt(0)
	buffer_inv sc0 sc1
	v_cmp_eq_u64_e32 vcc, v[4:5], v[6:7]
	s_or_b64 s[10:11], vcc, s[10:11]
	s_andn2_b64 exec, exec, s[10:11]
	s_cbranch_execnz .LBB3_3
; %bb.4:
	s_or_b64 exec, exec, s[10:11]
.LBB3_5:
	s_or_b64 exec, exec, s[6:7]
.LBB3_6:
	s_or_b64 exec, exec, s[4:5]
	v_mov_b32_e32 v29, 0
	s_waitcnt lgkmcnt(0)
	global_load_dwordx2 v[6:7], v29, s[2:3] offset:40
	global_load_dwordx4 v[0:3], v29, s[2:3]
	v_readfirstlane_b32 s4, v4
	v_readfirstlane_b32 s5, v5
	s_mov_b64 s[6:7], exec
	s_waitcnt vmcnt(1)
	v_readfirstlane_b32 s10, v6
	v_readfirstlane_b32 s11, v7
	s_and_b64 s[10:11], s[4:5], s[10:11]
	s_mul_i32 s12, s11, 24
	s_mul_hi_u32 s13, s10, 24
	s_add_i32 s13, s13, s12
	s_mul_i32 s12, s10, 24
	s_waitcnt vmcnt(0)
	v_lshl_add_u64 v[4:5], v[0:1], 0, s[12:13]
	s_and_saveexec_b64 s[12:13], s[0:1]
	s_cbranch_execz .LBB3_8
; %bb.7:
	v_mov_b64_e32 v[6:7], s[6:7]
	v_mov_b32_e32 v8, 2
	v_mov_b32_e32 v9, 1
	global_store_dwordx4 v[4:5], v[6:9], off offset:8
.LBB3_8:
	s_or_b64 exec, exec, s[12:13]
	s_lshl_b64 s[6:7], s[10:11], 12
	v_lshl_add_u64 v[6:7], v[2:3], 0, s[6:7]
	s_mov_b32 s12, 0
	v_lshlrev_b32_e32 v28, 6, v36
	v_mov_b32_e32 v8, 33
	v_mov_b32_e32 v9, v29
	;; [unrolled: 1-line block ×4, first 2 shown]
	v_readfirstlane_b32 s6, v6
	v_readfirstlane_b32 s7, v7
	s_mov_b32 s13, s12
	s_mov_b32 s14, s12
	;; [unrolled: 1-line block ×3, first 2 shown]
	s_nop 1
	global_store_dwordx4 v28, v[8:11], s[6:7]
	s_nop 1
	v_mov_b64_e32 v[8:9], s[12:13]
	v_mov_b64_e32 v[10:11], s[14:15]
	global_store_dwordx4 v28, v[8:11], s[6:7] offset:16
	global_store_dwordx4 v28, v[8:11], s[6:7] offset:32
	;; [unrolled: 1-line block ×3, first 2 shown]
	s_and_saveexec_b64 s[6:7], s[0:1]
	s_cbranch_execz .LBB3_16
; %bb.9:
	v_mov_b32_e32 v10, 0
	global_load_dwordx2 v[14:15], v10, s[2:3] offset:32 sc0 sc1
	global_load_dwordx2 v[2:3], v10, s[2:3] offset:40
	v_mov_b32_e32 v12, s4
	v_mov_b32_e32 v13, s5
	s_waitcnt vmcnt(0)
	v_and_b32_e32 v2, s4, v2
	v_and_b32_e32 v3, s5, v3
	v_mul_lo_u32 v3, v3, 24
	v_mul_hi_u32 v8, v2, 24
	v_mul_lo_u32 v2, v2, 24
	v_add_u32_e32 v3, v8, v3
	v_lshl_add_u64 v[8:9], v[0:1], 0, v[2:3]
	global_store_dwordx2 v[8:9], v[14:15], off
	buffer_wbl2 sc0 sc1
	s_waitcnt vmcnt(0)
	global_atomic_cmpswap_x2 v[2:3], v10, v[12:15], s[2:3] offset:32 sc0 sc1
	s_waitcnt vmcnt(0)
	v_cmp_ne_u64_e32 vcc, v[2:3], v[14:15]
	s_and_saveexec_b64 s[10:11], vcc
	s_cbranch_execz .LBB3_12
; %bb.10:
	s_mov_b64 s[12:13], 0
.LBB3_11:                               ; =>This Inner Loop Header: Depth=1
	s_sleep 1
	global_store_dwordx2 v[8:9], v[2:3], off
	v_mov_b32_e32 v0, s4
	v_mov_b32_e32 v1, s5
	buffer_wbl2 sc0 sc1
	s_waitcnt vmcnt(0)
	global_atomic_cmpswap_x2 v[0:1], v10, v[0:3], s[2:3] offset:32 sc0 sc1
	s_waitcnt vmcnt(0)
	v_cmp_eq_u64_e32 vcc, v[0:1], v[2:3]
	s_or_b64 s[12:13], vcc, s[12:13]
	v_mov_b64_e32 v[2:3], v[0:1]
	s_andn2_b64 exec, exec, s[12:13]
	s_cbranch_execnz .LBB3_11
.LBB3_12:
	s_or_b64 exec, exec, s[10:11]
	v_mov_b32_e32 v3, 0
	global_load_dwordx2 v[0:1], v3, s[2:3] offset:16
	s_mov_b64 s[10:11], exec
	v_mbcnt_lo_u32_b32 v2, s10, 0
	v_mbcnt_hi_u32_b32 v2, s11, v2
	v_cmp_eq_u32_e32 vcc, 0, v2
	s_and_saveexec_b64 s[12:13], vcc
	s_cbranch_execz .LBB3_14
; %bb.13:
	s_bcnt1_i32_b64 s10, s[10:11]
	v_mov_b32_e32 v2, s10
	buffer_wbl2 sc0 sc1
	s_waitcnt vmcnt(0)
	global_atomic_add_x2 v[0:1], v[2:3], off offset:8 sc1
.LBB3_14:
	s_or_b64 exec, exec, s[12:13]
	s_waitcnt vmcnt(0)
	global_load_dwordx2 v[2:3], v[0:1], off offset:16
	s_waitcnt vmcnt(0)
	v_cmp_eq_u64_e32 vcc, 0, v[2:3]
	s_cbranch_vccnz .LBB3_16
; %bb.15:
	global_load_dword v0, v[0:1], off offset:24
	v_mov_b32_e32 v1, 0
	buffer_wbl2 sc0 sc1
	s_waitcnt vmcnt(0)
	global_store_dwordx2 v[2:3], v[0:1], off sc0 sc1
	v_and_b32_e32 v0, 0xffffff, v0
	s_nop 0
	v_readfirstlane_b32 m0, v0
	s_sendmsg sendmsg(MSG_INTERRUPT)
.LBB3_16:
	s_or_b64 exec, exec, s[6:7]
	v_lshl_add_u64 v[0:1], v[6:7], 0, v[28:29]
	s_branch .LBB3_20
.LBB3_17:                               ;   in Loop: Header=BB3_20 Depth=1
	s_or_b64 exec, exec, s[6:7]
	v_readfirstlane_b32 s6, v2
	s_cmp_eq_u32 s6, 0
	s_cbranch_scc1 .LBB3_19
; %bb.18:                               ;   in Loop: Header=BB3_20 Depth=1
	s_sleep 1
	s_cbranch_execnz .LBB3_20
	s_branch .LBB3_22
.LBB3_19:
	s_branch .LBB3_22
.LBB3_20:                               ; =>This Inner Loop Header: Depth=1
	v_mov_b32_e32 v2, 1
	s_and_saveexec_b64 s[6:7], s[0:1]
	s_cbranch_execz .LBB3_17
; %bb.21:                               ;   in Loop: Header=BB3_20 Depth=1
	global_load_dword v2, v[4:5], off offset:20 sc0 sc1
	s_waitcnt vmcnt(0)
	buffer_inv sc0 sc1
	v_and_b32_e32 v2, 1, v2
	s_branch .LBB3_17
.LBB3_22:
	global_load_dwordx2 v[4:5], v[0:1], off
	s_and_saveexec_b64 s[6:7], s[0:1]
	s_cbranch_execz .LBB3_25
; %bb.23:
	v_mov_b32_e32 v8, 0
	global_load_dwordx2 v[6:7], v8, s[2:3] offset:40
	global_load_dwordx2 v[10:11], v8, s[2:3] offset:24 sc0 sc1
	global_load_dwordx2 v[12:13], v8, s[2:3]
	s_mov_b64 s[0:1], 0
	s_waitcnt vmcnt(2)
	v_lshl_add_u64 v[0:1], v[6:7], 0, 1
	v_lshl_add_u64 v[14:15], v[0:1], 0, s[4:5]
	v_cmp_eq_u64_e32 vcc, 0, v[14:15]
	s_waitcnt vmcnt(1)
	v_mov_b32_e32 v2, v10
	v_cndmask_b32_e32 v1, v15, v1, vcc
	v_cndmask_b32_e32 v0, v14, v0, vcc
	v_and_b32_e32 v3, v1, v7
	v_and_b32_e32 v6, v0, v6
	v_mul_lo_u32 v3, v3, 24
	v_mul_hi_u32 v7, v6, 24
	v_mul_lo_u32 v6, v6, 24
	v_add_u32_e32 v7, v7, v3
	s_waitcnt vmcnt(0)
	v_lshl_add_u64 v[6:7], v[12:13], 0, v[6:7]
	global_store_dwordx2 v[6:7], v[10:11], off
	v_mov_b32_e32 v3, v11
	buffer_wbl2 sc0 sc1
	s_waitcnt vmcnt(0)
	global_atomic_cmpswap_x2 v[2:3], v8, v[0:3], s[2:3] offset:24 sc0 sc1
	s_waitcnt vmcnt(0)
	v_cmp_ne_u64_e32 vcc, v[2:3], v[10:11]
	s_and_b64 exec, exec, vcc
	s_cbranch_execz .LBB3_25
.LBB3_24:                               ; =>This Inner Loop Header: Depth=1
	s_sleep 1
	global_store_dwordx2 v[6:7], v[2:3], off
	buffer_wbl2 sc0 sc1
	s_waitcnt vmcnt(0)
	global_atomic_cmpswap_x2 v[10:11], v8, v[0:3], s[2:3] offset:24 sc0 sc1
	s_waitcnt vmcnt(0)
	v_cmp_eq_u64_e32 vcc, v[10:11], v[2:3]
	s_or_b64 s[0:1], vcc, s[0:1]
	v_mov_b64_e32 v[2:3], v[10:11]
	s_andn2_b64 exec, exec, s[0:1]
	s_cbranch_execnz .LBB3_24
.LBB3_25:
	s_or_b64 exec, exec, s[6:7]
	s_getpc_b64 s[4:5]
	s_add_u32 s4, s4, .str.3@rel32@lo+4
	s_addc_u32 s5, s5, .str.3@rel32@hi+12
	s_cmp_lg_u64 s[4:5], 0
	s_cbranch_scc0 .LBB3_109
; %bb.26:
	s_waitcnt vmcnt(0)
	v_and_b32_e32 v26, 2, v4
	v_mov_b32_e32 v31, 0
	v_and_b32_e32 v0, -3, v4
	v_mov_b32_e32 v1, v5
	s_mov_b64 s[6:7], 0x4d
	v_mov_b32_e32 v8, 2
	v_mov_b32_e32 v9, 1
	s_branch .LBB3_28
.LBB3_27:                               ;   in Loop: Header=BB3_28 Depth=1
	s_or_b64 exec, exec, s[14:15]
	s_sub_u32 s6, s6, s10
	s_subb_u32 s7, s7, s11
	s_add_u32 s4, s4, s10
	s_addc_u32 s5, s5, s11
	s_cmp_lg_u64 s[6:7], 0
	s_cbranch_scc0 .LBB3_110
.LBB3_28:                               ; =>This Loop Header: Depth=1
                                        ;     Child Loop BB3_31 Depth 2
                                        ;     Child Loop BB3_38 Depth 2
	;; [unrolled: 1-line block ×11, first 2 shown]
	v_cmp_lt_u64_e64 s[0:1], s[6:7], 56
	s_and_b64 s[0:1], s[0:1], exec
	v_cmp_gt_u64_e64 s[0:1], s[6:7], 7
	s_cselect_b32 s11, s7, 0
	s_cselect_b32 s10, s6, 56
	s_and_b64 vcc, exec, s[0:1]
	s_cbranch_vccnz .LBB3_33
; %bb.29:                               ;   in Loop: Header=BB3_28 Depth=1
	s_mov_b64 s[0:1], 0
	s_cmp_eq_u64 s[6:7], 0
	s_waitcnt vmcnt(0)
	v_mov_b64_e32 v[2:3], 0
	s_cbranch_scc1 .LBB3_32
; %bb.30:                               ;   in Loop: Header=BB3_28 Depth=1
	s_lshl_b64 s[12:13], s[10:11], 3
	s_mov_b64 s[14:15], 0
	v_mov_b64_e32 v[2:3], 0
	s_mov_b64 s[16:17], s[4:5]
.LBB3_31:                               ;   Parent Loop BB3_28 Depth=1
                                        ; =>  This Inner Loop Header: Depth=2
	global_load_ubyte v6, v31, s[16:17]
	s_waitcnt vmcnt(0)
	v_and_b32_e32 v30, 0xffff, v6
	v_lshlrev_b64 v[6:7], s14, v[30:31]
	s_add_u32 s14, s14, 8
	s_addc_u32 s15, s15, 0
	s_add_u32 s16, s16, 1
	s_addc_u32 s17, s17, 0
	v_or_b32_e32 v2, v6, v2
	s_cmp_lg_u32 s12, s14
	v_or_b32_e32 v3, v7, v3
	s_cbranch_scc1 .LBB3_31
.LBB3_32:                               ;   in Loop: Header=BB3_28 Depth=1
	s_mov_b32 s16, 0
	s_andn2_b64 vcc, exec, s[0:1]
	s_mov_b64 s[0:1], s[4:5]
	s_cbranch_vccz .LBB3_34
	s_branch .LBB3_35
.LBB3_33:                               ;   in Loop: Header=BB3_28 Depth=1
                                        ; implicit-def: $vgpr2_vgpr3
                                        ; implicit-def: $sgpr16
	s_mov_b64 s[0:1], s[4:5]
.LBB3_34:                               ;   in Loop: Header=BB3_28 Depth=1
	global_load_dwordx2 v[2:3], v31, s[4:5]
	s_add_i32 s16, s10, -8
	s_add_u32 s0, s4, 8
	s_addc_u32 s1, s5, 0
.LBB3_35:                               ;   in Loop: Header=BB3_28 Depth=1
	s_cmp_gt_u32 s16, 7
	s_cbranch_scc1 .LBB3_39
; %bb.36:                               ;   in Loop: Header=BB3_28 Depth=1
	s_cmp_eq_u32 s16, 0
	s_cbranch_scc1 .LBB3_40
; %bb.37:                               ;   in Loop: Header=BB3_28 Depth=1
	s_mov_b64 s[12:13], 0
	v_mov_b64_e32 v[10:11], 0
	s_mov_b64 s[14:15], 0
.LBB3_38:                               ;   Parent Loop BB3_28 Depth=1
                                        ; =>  This Inner Loop Header: Depth=2
	s_add_u32 s18, s0, s14
	s_addc_u32 s19, s1, s15
	global_load_ubyte v6, v31, s[18:19]
	s_add_u32 s14, s14, 1
	s_addc_u32 s15, s15, 0
	s_waitcnt vmcnt(0)
	v_and_b32_e32 v30, 0xffff, v6
	v_lshlrev_b64 v[6:7], s12, v[30:31]
	s_add_u32 s12, s12, 8
	s_addc_u32 s13, s13, 0
	v_or_b32_e32 v10, v6, v10
	s_cmp_lg_u32 s16, s14
	v_or_b32_e32 v11, v7, v11
	s_cbranch_scc1 .LBB3_38
	s_branch .LBB3_41
.LBB3_39:                               ;   in Loop: Header=BB3_28 Depth=1
                                        ; implicit-def: $vgpr10_vgpr11
                                        ; implicit-def: $sgpr17
	s_branch .LBB3_42
.LBB3_40:                               ;   in Loop: Header=BB3_28 Depth=1
	v_mov_b64_e32 v[10:11], 0
.LBB3_41:                               ;   in Loop: Header=BB3_28 Depth=1
	s_mov_b32 s17, 0
	s_cbranch_execnz .LBB3_43
.LBB3_42:                               ;   in Loop: Header=BB3_28 Depth=1
	global_load_dwordx2 v[10:11], v31, s[0:1]
	s_add_i32 s17, s16, -8
	s_add_u32 s0, s0, 8
	s_addc_u32 s1, s1, 0
.LBB3_43:                               ;   in Loop: Header=BB3_28 Depth=1
	s_cmp_gt_u32 s17, 7
	s_cbranch_scc1 .LBB3_47
; %bb.44:                               ;   in Loop: Header=BB3_28 Depth=1
	s_cmp_eq_u32 s17, 0
	s_cbranch_scc1 .LBB3_48
; %bb.45:                               ;   in Loop: Header=BB3_28 Depth=1
	s_mov_b64 s[12:13], 0
	v_mov_b64_e32 v[12:13], 0
	s_mov_b64 s[14:15], 0
.LBB3_46:                               ;   Parent Loop BB3_28 Depth=1
                                        ; =>  This Inner Loop Header: Depth=2
	s_add_u32 s18, s0, s14
	s_addc_u32 s19, s1, s15
	global_load_ubyte v6, v31, s[18:19]
	s_add_u32 s14, s14, 1
	s_addc_u32 s15, s15, 0
	s_waitcnt vmcnt(0)
	v_and_b32_e32 v30, 0xffff, v6
	v_lshlrev_b64 v[6:7], s12, v[30:31]
	s_add_u32 s12, s12, 8
	s_addc_u32 s13, s13, 0
	v_or_b32_e32 v12, v6, v12
	s_cmp_lg_u32 s17, s14
	v_or_b32_e32 v13, v7, v13
	s_cbranch_scc1 .LBB3_46
	s_branch .LBB3_49
.LBB3_47:                               ;   in Loop: Header=BB3_28 Depth=1
                                        ; implicit-def: $sgpr16
	s_branch .LBB3_50
.LBB3_48:                               ;   in Loop: Header=BB3_28 Depth=1
	v_mov_b64_e32 v[12:13], 0
.LBB3_49:                               ;   in Loop: Header=BB3_28 Depth=1
	s_mov_b32 s16, 0
	s_cbranch_execnz .LBB3_51
.LBB3_50:                               ;   in Loop: Header=BB3_28 Depth=1
	global_load_dwordx2 v[12:13], v31, s[0:1]
	s_add_i32 s16, s17, -8
	s_add_u32 s0, s0, 8
	s_addc_u32 s1, s1, 0
.LBB3_51:                               ;   in Loop: Header=BB3_28 Depth=1
	s_cmp_gt_u32 s16, 7
	s_cbranch_scc1 .LBB3_55
; %bb.52:                               ;   in Loop: Header=BB3_28 Depth=1
	s_cmp_eq_u32 s16, 0
	s_cbranch_scc1 .LBB3_56
; %bb.53:                               ;   in Loop: Header=BB3_28 Depth=1
	s_mov_b64 s[12:13], 0
	v_mov_b64_e32 v[14:15], 0
	s_mov_b64 s[14:15], 0
.LBB3_54:                               ;   Parent Loop BB3_28 Depth=1
                                        ; =>  This Inner Loop Header: Depth=2
	s_add_u32 s18, s0, s14
	s_addc_u32 s19, s1, s15
	global_load_ubyte v6, v31, s[18:19]
	s_add_u32 s14, s14, 1
	s_addc_u32 s15, s15, 0
	s_waitcnt vmcnt(0)
	v_and_b32_e32 v30, 0xffff, v6
	v_lshlrev_b64 v[6:7], s12, v[30:31]
	s_add_u32 s12, s12, 8
	s_addc_u32 s13, s13, 0
	v_or_b32_e32 v14, v6, v14
	s_cmp_lg_u32 s16, s14
	v_or_b32_e32 v15, v7, v15
	s_cbranch_scc1 .LBB3_54
	s_branch .LBB3_57
.LBB3_55:                               ;   in Loop: Header=BB3_28 Depth=1
                                        ; implicit-def: $vgpr14_vgpr15
                                        ; implicit-def: $sgpr17
	s_branch .LBB3_58
.LBB3_56:                               ;   in Loop: Header=BB3_28 Depth=1
	v_mov_b64_e32 v[14:15], 0
.LBB3_57:                               ;   in Loop: Header=BB3_28 Depth=1
	s_mov_b32 s17, 0
	s_cbranch_execnz .LBB3_59
.LBB3_58:                               ;   in Loop: Header=BB3_28 Depth=1
	global_load_dwordx2 v[14:15], v31, s[0:1]
	s_add_i32 s17, s16, -8
	s_add_u32 s0, s0, 8
	s_addc_u32 s1, s1, 0
.LBB3_59:                               ;   in Loop: Header=BB3_28 Depth=1
	s_cmp_gt_u32 s17, 7
	s_cbranch_scc1 .LBB3_63
; %bb.60:                               ;   in Loop: Header=BB3_28 Depth=1
	s_cmp_eq_u32 s17, 0
	s_cbranch_scc1 .LBB3_64
; %bb.61:                               ;   in Loop: Header=BB3_28 Depth=1
	s_mov_b64 s[12:13], 0
	v_mov_b64_e32 v[16:17], 0
	s_mov_b64 s[14:15], 0
.LBB3_62:                               ;   Parent Loop BB3_28 Depth=1
                                        ; =>  This Inner Loop Header: Depth=2
	s_add_u32 s18, s0, s14
	s_addc_u32 s19, s1, s15
	global_load_ubyte v6, v31, s[18:19]
	s_add_u32 s14, s14, 1
	s_addc_u32 s15, s15, 0
	s_waitcnt vmcnt(0)
	v_and_b32_e32 v30, 0xffff, v6
	v_lshlrev_b64 v[6:7], s12, v[30:31]
	s_add_u32 s12, s12, 8
	s_addc_u32 s13, s13, 0
	v_or_b32_e32 v16, v6, v16
	s_cmp_lg_u32 s17, s14
	v_or_b32_e32 v17, v7, v17
	s_cbranch_scc1 .LBB3_62
	s_branch .LBB3_65
.LBB3_63:                               ;   in Loop: Header=BB3_28 Depth=1
                                        ; implicit-def: $sgpr16
	s_branch .LBB3_66
.LBB3_64:                               ;   in Loop: Header=BB3_28 Depth=1
	v_mov_b64_e32 v[16:17], 0
.LBB3_65:                               ;   in Loop: Header=BB3_28 Depth=1
	s_mov_b32 s16, 0
	s_cbranch_execnz .LBB3_67
.LBB3_66:                               ;   in Loop: Header=BB3_28 Depth=1
	global_load_dwordx2 v[16:17], v31, s[0:1]
	s_add_i32 s16, s17, -8
	s_add_u32 s0, s0, 8
	s_addc_u32 s1, s1, 0
.LBB3_67:                               ;   in Loop: Header=BB3_28 Depth=1
	s_cmp_gt_u32 s16, 7
	s_cbranch_scc1 .LBB3_71
; %bb.68:                               ;   in Loop: Header=BB3_28 Depth=1
	s_cmp_eq_u32 s16, 0
	s_cbranch_scc1 .LBB3_72
; %bb.69:                               ;   in Loop: Header=BB3_28 Depth=1
	s_mov_b64 s[12:13], 0
	v_mov_b64_e32 v[18:19], 0
	s_mov_b64 s[14:15], 0
.LBB3_70:                               ;   Parent Loop BB3_28 Depth=1
                                        ; =>  This Inner Loop Header: Depth=2
	s_add_u32 s18, s0, s14
	s_addc_u32 s19, s1, s15
	global_load_ubyte v6, v31, s[18:19]
	s_add_u32 s14, s14, 1
	s_addc_u32 s15, s15, 0
	s_waitcnt vmcnt(0)
	v_and_b32_e32 v30, 0xffff, v6
	v_lshlrev_b64 v[6:7], s12, v[30:31]
	s_add_u32 s12, s12, 8
	s_addc_u32 s13, s13, 0
	v_or_b32_e32 v18, v6, v18
	s_cmp_lg_u32 s16, s14
	v_or_b32_e32 v19, v7, v19
	s_cbranch_scc1 .LBB3_70
	s_branch .LBB3_73
.LBB3_71:                               ;   in Loop: Header=BB3_28 Depth=1
                                        ; implicit-def: $vgpr18_vgpr19
                                        ; implicit-def: $sgpr17
	s_branch .LBB3_74
.LBB3_72:                               ;   in Loop: Header=BB3_28 Depth=1
	v_mov_b64_e32 v[18:19], 0
.LBB3_73:                               ;   in Loop: Header=BB3_28 Depth=1
	s_mov_b32 s17, 0
	s_cbranch_execnz .LBB3_75
.LBB3_74:                               ;   in Loop: Header=BB3_28 Depth=1
	global_load_dwordx2 v[18:19], v31, s[0:1]
	s_add_i32 s17, s16, -8
	s_add_u32 s0, s0, 8
	s_addc_u32 s1, s1, 0
.LBB3_75:                               ;   in Loop: Header=BB3_28 Depth=1
	s_cmp_gt_u32 s17, 7
	s_cbranch_scc1 .LBB3_79
; %bb.76:                               ;   in Loop: Header=BB3_28 Depth=1
	s_cmp_eq_u32 s17, 0
	s_cbranch_scc1 .LBB3_80
; %bb.77:                               ;   in Loop: Header=BB3_28 Depth=1
	s_mov_b64 s[12:13], 0
	v_mov_b64_e32 v[20:21], 0
	s_mov_b64 s[14:15], s[0:1]
.LBB3_78:                               ;   Parent Loop BB3_28 Depth=1
                                        ; =>  This Inner Loop Header: Depth=2
	global_load_ubyte v6, v31, s[14:15]
	s_add_i32 s17, s17, -1
	s_waitcnt vmcnt(0)
	v_and_b32_e32 v30, 0xffff, v6
	v_lshlrev_b64 v[6:7], s12, v[30:31]
	s_add_u32 s12, s12, 8
	s_addc_u32 s13, s13, 0
	s_add_u32 s14, s14, 1
	s_addc_u32 s15, s15, 0
	v_or_b32_e32 v20, v6, v20
	s_cmp_lg_u32 s17, 0
	v_or_b32_e32 v21, v7, v21
	s_cbranch_scc1 .LBB3_78
	s_branch .LBB3_81
.LBB3_79:                               ;   in Loop: Header=BB3_28 Depth=1
	s_branch .LBB3_82
.LBB3_80:                               ;   in Loop: Header=BB3_28 Depth=1
	v_mov_b64_e32 v[20:21], 0
.LBB3_81:                               ;   in Loop: Header=BB3_28 Depth=1
	s_cbranch_execnz .LBB3_83
.LBB3_82:                               ;   in Loop: Header=BB3_28 Depth=1
	global_load_dwordx2 v[20:21], v31, s[0:1]
.LBB3_83:                               ;   in Loop: Header=BB3_28 Depth=1
	v_readfirstlane_b32 s0, v36
	v_mov_b64_e32 v[6:7], 0
	s_nop 0
	v_cmp_eq_u32_e64 s[0:1], s0, v36
	s_and_saveexec_b64 s[12:13], s[0:1]
	s_cbranch_execz .LBB3_89
; %bb.84:                               ;   in Loop: Header=BB3_28 Depth=1
	global_load_dwordx2 v[24:25], v31, s[2:3] offset:24 sc0 sc1
	s_waitcnt vmcnt(0)
	buffer_inv sc0 sc1
	global_load_dwordx2 v[6:7], v31, s[2:3] offset:40
	global_load_dwordx2 v[22:23], v31, s[2:3]
	s_waitcnt vmcnt(1)
	v_and_b32_e32 v6, v6, v24
	v_and_b32_e32 v7, v7, v25
	v_mul_lo_u32 v7, v7, 24
	v_mul_hi_u32 v27, v6, 24
	v_add_u32_e32 v7, v27, v7
	v_mul_lo_u32 v6, v6, 24
	s_waitcnt vmcnt(0)
	v_lshl_add_u64 v[6:7], v[22:23], 0, v[6:7]
	global_load_dwordx2 v[22:23], v[6:7], off sc0 sc1
	s_waitcnt vmcnt(0)
	global_atomic_cmpswap_x2 v[6:7], v31, v[22:25], s[2:3] offset:24 sc0 sc1
	s_waitcnt vmcnt(0)
	buffer_inv sc0 sc1
	v_cmp_ne_u64_e32 vcc, v[6:7], v[24:25]
	s_and_saveexec_b64 s[14:15], vcc
	s_cbranch_execz .LBB3_88
; %bb.85:                               ;   in Loop: Header=BB3_28 Depth=1
	s_mov_b64 s[16:17], 0
.LBB3_86:                               ;   Parent Loop BB3_28 Depth=1
                                        ; =>  This Inner Loop Header: Depth=2
	s_sleep 1
	global_load_dwordx2 v[22:23], v31, s[2:3] offset:40
	global_load_dwordx2 v[32:33], v31, s[2:3]
	v_mov_b64_e32 v[24:25], v[6:7]
	s_waitcnt vmcnt(1)
	v_and_b32_e32 v6, v22, v24
	s_waitcnt vmcnt(0)
	v_mad_u64_u32 v[6:7], s[18:19], v6, 24, v[32:33]
	v_and_b32_e32 v23, v23, v25
	v_mov_b32_e32 v22, v7
	v_mad_u64_u32 v[22:23], s[18:19], v23, 24, v[22:23]
	v_mov_b32_e32 v7, v22
	global_load_dwordx2 v[22:23], v[6:7], off sc0 sc1
	s_waitcnt vmcnt(0)
	global_atomic_cmpswap_x2 v[6:7], v31, v[22:25], s[2:3] offset:24 sc0 sc1
	s_waitcnt vmcnt(0)
	buffer_inv sc0 sc1
	v_cmp_eq_u64_e32 vcc, v[6:7], v[24:25]
	s_or_b64 s[16:17], vcc, s[16:17]
	s_andn2_b64 exec, exec, s[16:17]
	s_cbranch_execnz .LBB3_86
; %bb.87:                               ;   in Loop: Header=BB3_28 Depth=1
	s_or_b64 exec, exec, s[16:17]
.LBB3_88:                               ;   in Loop: Header=BB3_28 Depth=1
	s_or_b64 exec, exec, s[14:15]
.LBB3_89:                               ;   in Loop: Header=BB3_28 Depth=1
	s_or_b64 exec, exec, s[12:13]
	global_load_dwordx2 v[32:33], v31, s[2:3] offset:40
	global_load_dwordx4 v[22:25], v31, s[2:3]
	v_readfirstlane_b32 s12, v6
	v_readfirstlane_b32 s13, v7
	s_mov_b64 s[14:15], exec
	s_waitcnt vmcnt(1)
	v_readfirstlane_b32 s16, v32
	v_readfirstlane_b32 s17, v33
	s_and_b64 s[16:17], s[12:13], s[16:17]
	s_mul_i32 s18, s17, 24
	s_mul_hi_u32 s19, s16, 24
	s_add_i32 s19, s19, s18
	s_mul_i32 s18, s16, 24
	s_waitcnt vmcnt(0)
	v_lshl_add_u64 v[32:33], v[22:23], 0, s[18:19]
	s_and_saveexec_b64 s[18:19], s[0:1]
	s_cbranch_execz .LBB3_91
; %bb.90:                               ;   in Loop: Header=BB3_28 Depth=1
	v_mov_b64_e32 v[6:7], s[14:15]
	global_store_dwordx4 v[32:33], v[6:9], off offset:8
.LBB3_91:                               ;   in Loop: Header=BB3_28 Depth=1
	s_or_b64 exec, exec, s[18:19]
	s_lshl_b64 s[14:15], s[16:17], 12
	v_lshl_add_u64 v[6:7], v[24:25], 0, s[14:15]
	v_or_b32_e32 v25, v0, v26
	v_cmp_gt_u64_e64 vcc, s[6:7], 56
	s_lshl_b32 s14, s10, 2
	s_add_i32 s14, s14, 28
	v_cndmask_b32_e32 v0, v25, v0, vcc
	v_or_b32_e32 v24, 0, v1
	s_and_b32 s14, s14, 0x1e0
	v_and_b32_e32 v0, 0xffffff1f, v0
	v_cndmask_b32_e32 v1, v24, v1, vcc
	v_or_b32_e32 v0, s14, v0
	v_readfirstlane_b32 s14, v6
	v_readfirstlane_b32 s15, v7
	s_nop 4
	global_store_dwordx4 v28, v[0:3], s[14:15]
	global_store_dwordx4 v28, v[10:13], s[14:15] offset:16
	global_store_dwordx4 v28, v[14:17], s[14:15] offset:32
	global_store_dwordx4 v28, v[18:21], s[14:15] offset:48
	s_and_saveexec_b64 s[14:15], s[0:1]
	s_cbranch_execz .LBB3_99
; %bb.92:                               ;   in Loop: Header=BB3_28 Depth=1
	global_load_dwordx2 v[14:15], v31, s[2:3] offset:32 sc0 sc1
	global_load_dwordx2 v[0:1], v31, s[2:3] offset:40
	v_mov_b32_e32 v12, s12
	v_mov_b32_e32 v13, s13
	s_waitcnt vmcnt(0)
	v_readfirstlane_b32 s16, v0
	v_readfirstlane_b32 s17, v1
	s_and_b64 s[16:17], s[16:17], s[12:13]
	s_mul_i32 s17, s17, 24
	s_mul_hi_u32 s18, s16, 24
	s_mul_i32 s16, s16, 24
	s_add_i32 s17, s18, s17
	v_lshl_add_u64 v[10:11], v[22:23], 0, s[16:17]
	global_store_dwordx2 v[10:11], v[14:15], off
	buffer_wbl2 sc0 sc1
	s_waitcnt vmcnt(0)
	global_atomic_cmpswap_x2 v[2:3], v31, v[12:15], s[2:3] offset:32 sc0 sc1
	s_waitcnt vmcnt(0)
	v_cmp_ne_u64_e32 vcc, v[2:3], v[14:15]
	s_and_saveexec_b64 s[16:17], vcc
	s_cbranch_execz .LBB3_95
; %bb.93:                               ;   in Loop: Header=BB3_28 Depth=1
	s_mov_b64 s[18:19], 0
.LBB3_94:                               ;   Parent Loop BB3_28 Depth=1
                                        ; =>  This Inner Loop Header: Depth=2
	s_sleep 1
	global_store_dwordx2 v[10:11], v[2:3], off
	v_mov_b32_e32 v0, s12
	v_mov_b32_e32 v1, s13
	buffer_wbl2 sc0 sc1
	s_waitcnt vmcnt(0)
	global_atomic_cmpswap_x2 v[0:1], v31, v[0:3], s[2:3] offset:32 sc0 sc1
	s_waitcnt vmcnt(0)
	v_cmp_eq_u64_e32 vcc, v[0:1], v[2:3]
	s_or_b64 s[18:19], vcc, s[18:19]
	v_mov_b64_e32 v[2:3], v[0:1]
	s_andn2_b64 exec, exec, s[18:19]
	s_cbranch_execnz .LBB3_94
.LBB3_95:                               ;   in Loop: Header=BB3_28 Depth=1
	s_or_b64 exec, exec, s[16:17]
	global_load_dwordx2 v[0:1], v31, s[2:3] offset:16
	s_mov_b64 s[18:19], exec
	v_mbcnt_lo_u32_b32 v2, s18, 0
	v_mbcnt_hi_u32_b32 v2, s19, v2
	v_cmp_eq_u32_e32 vcc, 0, v2
	s_and_saveexec_b64 s[16:17], vcc
	s_cbranch_execz .LBB3_97
; %bb.96:                               ;   in Loop: Header=BB3_28 Depth=1
	s_bcnt1_i32_b64 s18, s[18:19]
	v_mov_b32_e32 v30, s18
	buffer_wbl2 sc0 sc1
	s_waitcnt vmcnt(0)
	global_atomic_add_x2 v[0:1], v[30:31], off offset:8 sc1
.LBB3_97:                               ;   in Loop: Header=BB3_28 Depth=1
	s_or_b64 exec, exec, s[16:17]
	s_waitcnt vmcnt(0)
	global_load_dwordx2 v[2:3], v[0:1], off offset:16
	s_waitcnt vmcnt(0)
	v_cmp_eq_u64_e32 vcc, 0, v[2:3]
	s_cbranch_vccnz .LBB3_99
; %bb.98:                               ;   in Loop: Header=BB3_28 Depth=1
	global_load_dword v30, v[0:1], off offset:24
	s_waitcnt vmcnt(0)
	v_and_b32_e32 v0, 0xffffff, v30
	s_nop 0
	v_readfirstlane_b32 m0, v0
	buffer_wbl2 sc0 sc1
	global_store_dwordx2 v[2:3], v[30:31], off sc0 sc1
	s_sendmsg sendmsg(MSG_INTERRUPT)
.LBB3_99:                               ;   in Loop: Header=BB3_28 Depth=1
	s_or_b64 exec, exec, s[14:15]
	v_mov_b32_e32 v29, v31
	v_lshl_add_u64 v[0:1], v[6:7], 0, v[28:29]
	s_branch .LBB3_103
.LBB3_100:                              ;   in Loop: Header=BB3_103 Depth=2
	s_or_b64 exec, exec, s[14:15]
	v_readfirstlane_b32 s14, v2
	s_cmp_eq_u32 s14, 0
	s_cbranch_scc1 .LBB3_102
; %bb.101:                              ;   in Loop: Header=BB3_103 Depth=2
	s_sleep 1
	s_cbranch_execnz .LBB3_103
	s_branch .LBB3_105
.LBB3_102:                              ;   in Loop: Header=BB3_28 Depth=1
	s_branch .LBB3_105
.LBB3_103:                              ;   Parent Loop BB3_28 Depth=1
                                        ; =>  This Inner Loop Header: Depth=2
	v_mov_b32_e32 v2, 1
	s_and_saveexec_b64 s[14:15], s[0:1]
	s_cbranch_execz .LBB3_100
; %bb.104:                              ;   in Loop: Header=BB3_103 Depth=2
	global_load_dword v2, v[32:33], off offset:20 sc0 sc1
	s_waitcnt vmcnt(0)
	buffer_inv sc0 sc1
	v_and_b32_e32 v2, 1, v2
	s_branch .LBB3_100
.LBB3_105:                              ;   in Loop: Header=BB3_28 Depth=1
	global_load_dwordx4 v[0:3], v[0:1], off
	s_and_saveexec_b64 s[14:15], s[0:1]
	s_cbranch_execz .LBB3_27
; %bb.106:                              ;   in Loop: Header=BB3_28 Depth=1
	global_load_dwordx2 v[2:3], v31, s[2:3] offset:40
	global_load_dwordx2 v[6:7], v31, s[2:3] offset:24 sc0 sc1
	global_load_dwordx2 v[14:15], v31, s[2:3]
	s_waitcnt vmcnt(2)
	v_lshl_add_u64 v[10:11], v[2:3], 0, 1
	v_lshl_add_u64 v[16:17], v[10:11], 0, s[12:13]
	v_cmp_eq_u64_e32 vcc, 0, v[16:17]
	s_waitcnt vmcnt(1)
	v_mov_b32_e32 v12, v6
	v_cndmask_b32_e32 v11, v17, v11, vcc
	v_cndmask_b32_e32 v10, v16, v10, vcc
	v_and_b32_e32 v3, v11, v3
	v_and_b32_e32 v2, v10, v2
	v_mul_lo_u32 v3, v3, 24
	v_mul_hi_u32 v13, v2, 24
	v_mul_lo_u32 v2, v2, 24
	v_add_u32_e32 v3, v13, v3
	s_waitcnt vmcnt(0)
	v_lshl_add_u64 v[2:3], v[14:15], 0, v[2:3]
	global_store_dwordx2 v[2:3], v[6:7], off
	v_mov_b32_e32 v13, v7
	buffer_wbl2 sc0 sc1
	s_waitcnt vmcnt(0)
	global_atomic_cmpswap_x2 v[12:13], v31, v[10:13], s[2:3] offset:24 sc0 sc1
	s_waitcnt vmcnt(0)
	v_cmp_ne_u64_e32 vcc, v[12:13], v[6:7]
	s_and_b64 exec, exec, vcc
	s_cbranch_execz .LBB3_27
; %bb.107:                              ;   in Loop: Header=BB3_28 Depth=1
	s_mov_b64 s[0:1], 0
.LBB3_108:                              ;   Parent Loop BB3_28 Depth=1
                                        ; =>  This Inner Loop Header: Depth=2
	s_sleep 1
	global_store_dwordx2 v[2:3], v[12:13], off
	buffer_wbl2 sc0 sc1
	s_waitcnt vmcnt(0)
	global_atomic_cmpswap_x2 v[6:7], v31, v[10:13], s[2:3] offset:24 sc0 sc1
	s_waitcnt vmcnt(0)
	v_cmp_eq_u64_e32 vcc, v[6:7], v[12:13]
	s_or_b64 s[0:1], vcc, s[0:1]
	v_mov_b64_e32 v[12:13], v[6:7]
	s_andn2_b64 exec, exec, s[0:1]
	s_cbranch_execnz .LBB3_108
	s_branch .LBB3_27
.LBB3_109:
                                        ; implicit-def: $vgpr0_vgpr1
	s_cbranch_execnz .LBB3_111
	s_branch .LBB3_137
.LBB3_110:
	s_branch .LBB3_137
.LBB3_111:
	v_readfirstlane_b32 s0, v36
	v_mov_b64_e32 v[6:7], 0
	s_nop 0
	v_cmp_eq_u32_e64 s[0:1], s0, v36
	s_and_saveexec_b64 s[4:5], s[0:1]
	s_cbranch_execz .LBB3_117
; %bb.112:
	s_waitcnt vmcnt(0)
	v_mov_b32_e32 v0, 0
	global_load_dwordx2 v[8:9], v0, s[2:3] offset:24 sc0 sc1
	s_waitcnt vmcnt(0)
	buffer_inv sc0 sc1
	global_load_dwordx2 v[2:3], v0, s[2:3] offset:40
	global_load_dwordx2 v[6:7], v0, s[2:3]
	s_waitcnt vmcnt(1)
	v_and_b32_e32 v1, v2, v8
	v_and_b32_e32 v2, v3, v9
	v_mul_lo_u32 v2, v2, 24
	v_mul_hi_u32 v3, v1, 24
	v_add_u32_e32 v3, v3, v2
	v_mul_lo_u32 v2, v1, 24
	s_waitcnt vmcnt(0)
	v_lshl_add_u64 v[2:3], v[6:7], 0, v[2:3]
	global_load_dwordx2 v[6:7], v[2:3], off sc0 sc1
	s_waitcnt vmcnt(0)
	global_atomic_cmpswap_x2 v[6:7], v0, v[6:9], s[2:3] offset:24 sc0 sc1
	s_waitcnt vmcnt(0)
	buffer_inv sc0 sc1
	v_cmp_ne_u64_e32 vcc, v[6:7], v[8:9]
	s_and_saveexec_b64 s[6:7], vcc
	s_cbranch_execz .LBB3_116
; %bb.113:
	s_mov_b64 s[10:11], 0
.LBB3_114:                              ; =>This Inner Loop Header: Depth=1
	s_sleep 1
	global_load_dwordx2 v[2:3], v0, s[2:3] offset:40
	global_load_dwordx2 v[10:11], v0, s[2:3]
	v_mov_b64_e32 v[8:9], v[6:7]
	s_waitcnt vmcnt(1)
	v_and_b32_e32 v2, v2, v8
	v_and_b32_e32 v1, v3, v9
	s_waitcnt vmcnt(0)
	v_mad_u64_u32 v[2:3], s[12:13], v2, 24, v[10:11]
	v_mov_b32_e32 v6, v3
	v_mad_u64_u32 v[6:7], s[12:13], v1, 24, v[6:7]
	v_mov_b32_e32 v3, v6
	global_load_dwordx2 v[6:7], v[2:3], off sc0 sc1
	s_waitcnt vmcnt(0)
	global_atomic_cmpswap_x2 v[6:7], v0, v[6:9], s[2:3] offset:24 sc0 sc1
	s_waitcnt vmcnt(0)
	buffer_inv sc0 sc1
	v_cmp_eq_u64_e32 vcc, v[6:7], v[8:9]
	s_or_b64 s[10:11], vcc, s[10:11]
	s_andn2_b64 exec, exec, s[10:11]
	s_cbranch_execnz .LBB3_114
; %bb.115:
	s_or_b64 exec, exec, s[10:11]
.LBB3_116:
	s_or_b64 exec, exec, s[6:7]
.LBB3_117:
	s_or_b64 exec, exec, s[4:5]
	v_mov_b32_e32 v29, 0
	global_load_dwordx2 v[8:9], v29, s[2:3] offset:40
	global_load_dwordx4 v[0:3], v29, s[2:3]
	v_readfirstlane_b32 s4, v6
	v_readfirstlane_b32 s5, v7
	s_mov_b64 s[6:7], exec
	s_waitcnt vmcnt(1)
	v_readfirstlane_b32 s10, v8
	v_readfirstlane_b32 s11, v9
	s_and_b64 s[10:11], s[4:5], s[10:11]
	s_mul_i32 s12, s11, 24
	s_mul_hi_u32 s13, s10, 24
	s_add_i32 s13, s13, s12
	s_mul_i32 s12, s10, 24
	s_waitcnt vmcnt(0)
	v_lshl_add_u64 v[8:9], v[0:1], 0, s[12:13]
	s_and_saveexec_b64 s[12:13], s[0:1]
	s_cbranch_execz .LBB3_119
; %bb.118:
	v_mov_b64_e32 v[10:11], s[6:7]
	v_mov_b32_e32 v12, 2
	v_mov_b32_e32 v13, 1
	global_store_dwordx4 v[8:9], v[10:13], off offset:8
.LBB3_119:
	s_or_b64 exec, exec, s[12:13]
	s_lshl_b64 s[6:7], s[10:11], 12
	v_lshl_add_u64 v[10:11], v[2:3], 0, s[6:7]
	s_movk_i32 s6, 0xff1f
	s_mov_b32 s12, 0
	v_and_or_b32 v4, v4, s6, 32
	v_mov_b32_e32 v6, v29
	v_mov_b32_e32 v7, v29
	v_readfirstlane_b32 s6, v10
	v_readfirstlane_b32 s7, v11
	s_mov_b32 s13, s12
	s_mov_b32 s14, s12
	;; [unrolled: 1-line block ×3, first 2 shown]
	s_nop 1
	global_store_dwordx4 v28, v[4:7], s[6:7]
	v_mov_b64_e32 v[2:3], s[12:13]
	s_nop 0
	v_mov_b64_e32 v[4:5], s[14:15]
	global_store_dwordx4 v28, v[2:5], s[6:7] offset:16
	global_store_dwordx4 v28, v[2:5], s[6:7] offset:32
	;; [unrolled: 1-line block ×3, first 2 shown]
	s_and_saveexec_b64 s[6:7], s[0:1]
	s_cbranch_execz .LBB3_127
; %bb.120:
	v_mov_b32_e32 v6, 0
	global_load_dwordx2 v[14:15], v6, s[2:3] offset:32 sc0 sc1
	global_load_dwordx2 v[2:3], v6, s[2:3] offset:40
	v_mov_b32_e32 v12, s4
	v_mov_b32_e32 v13, s5
	s_waitcnt vmcnt(0)
	v_readfirstlane_b32 s10, v2
	v_readfirstlane_b32 s11, v3
	s_and_b64 s[10:11], s[10:11], s[4:5]
	s_mul_i32 s11, s11, 24
	s_mul_hi_u32 s12, s10, 24
	s_mul_i32 s10, s10, 24
	s_add_i32 s11, s12, s11
	v_lshl_add_u64 v[4:5], v[0:1], 0, s[10:11]
	global_store_dwordx2 v[4:5], v[14:15], off
	buffer_wbl2 sc0 sc1
	s_waitcnt vmcnt(0)
	global_atomic_cmpswap_x2 v[2:3], v6, v[12:15], s[2:3] offset:32 sc0 sc1
	s_waitcnt vmcnt(0)
	v_cmp_ne_u64_e32 vcc, v[2:3], v[14:15]
	s_and_saveexec_b64 s[10:11], vcc
	s_cbranch_execz .LBB3_123
; %bb.121:
	s_mov_b64 s[12:13], 0
.LBB3_122:                              ; =>This Inner Loop Header: Depth=1
	s_sleep 1
	global_store_dwordx2 v[4:5], v[2:3], off
	v_mov_b32_e32 v0, s4
	v_mov_b32_e32 v1, s5
	buffer_wbl2 sc0 sc1
	s_waitcnt vmcnt(0)
	global_atomic_cmpswap_x2 v[0:1], v6, v[0:3], s[2:3] offset:32 sc0 sc1
	s_waitcnt vmcnt(0)
	v_cmp_eq_u64_e32 vcc, v[0:1], v[2:3]
	s_or_b64 s[12:13], vcc, s[12:13]
	v_mov_b64_e32 v[2:3], v[0:1]
	s_andn2_b64 exec, exec, s[12:13]
	s_cbranch_execnz .LBB3_122
.LBB3_123:
	s_or_b64 exec, exec, s[10:11]
	v_mov_b32_e32 v3, 0
	global_load_dwordx2 v[0:1], v3, s[2:3] offset:16
	s_mov_b64 s[10:11], exec
	v_mbcnt_lo_u32_b32 v2, s10, 0
	v_mbcnt_hi_u32_b32 v2, s11, v2
	v_cmp_eq_u32_e32 vcc, 0, v2
	s_and_saveexec_b64 s[12:13], vcc
	s_cbranch_execz .LBB3_125
; %bb.124:
	s_bcnt1_i32_b64 s10, s[10:11]
	v_mov_b32_e32 v2, s10
	buffer_wbl2 sc0 sc1
	s_waitcnt vmcnt(0)
	global_atomic_add_x2 v[0:1], v[2:3], off offset:8 sc1
.LBB3_125:
	s_or_b64 exec, exec, s[12:13]
	s_waitcnt vmcnt(0)
	global_load_dwordx2 v[2:3], v[0:1], off offset:16
	s_waitcnt vmcnt(0)
	v_cmp_eq_u64_e32 vcc, 0, v[2:3]
	s_cbranch_vccnz .LBB3_127
; %bb.126:
	global_load_dword v0, v[0:1], off offset:24
	v_mov_b32_e32 v1, 0
	buffer_wbl2 sc0 sc1
	s_waitcnt vmcnt(0)
	global_store_dwordx2 v[2:3], v[0:1], off sc0 sc1
	v_and_b32_e32 v0, 0xffffff, v0
	s_nop 0
	v_readfirstlane_b32 m0, v0
	s_sendmsg sendmsg(MSG_INTERRUPT)
.LBB3_127:
	s_or_b64 exec, exec, s[6:7]
	v_lshl_add_u64 v[0:1], v[10:11], 0, v[28:29]
	s_branch .LBB3_131
.LBB3_128:                              ;   in Loop: Header=BB3_131 Depth=1
	s_or_b64 exec, exec, s[6:7]
	v_readfirstlane_b32 s6, v2
	s_cmp_eq_u32 s6, 0
	s_cbranch_scc1 .LBB3_130
; %bb.129:                              ;   in Loop: Header=BB3_131 Depth=1
	s_sleep 1
	s_cbranch_execnz .LBB3_131
	s_branch .LBB3_133
.LBB3_130:
	s_branch .LBB3_133
.LBB3_131:                              ; =>This Inner Loop Header: Depth=1
	v_mov_b32_e32 v2, 1
	s_and_saveexec_b64 s[6:7], s[0:1]
	s_cbranch_execz .LBB3_128
; %bb.132:                              ;   in Loop: Header=BB3_131 Depth=1
	global_load_dword v2, v[8:9], off offset:20 sc0 sc1
	s_waitcnt vmcnt(0)
	buffer_inv sc0 sc1
	v_and_b32_e32 v2, 1, v2
	s_branch .LBB3_128
.LBB3_133:
	global_load_dwordx2 v[0:1], v[0:1], off
	s_and_saveexec_b64 s[6:7], s[0:1]
	s_cbranch_execz .LBB3_136
; %bb.134:
	v_mov_b32_e32 v8, 0
	global_load_dwordx2 v[6:7], v8, s[2:3] offset:40
	global_load_dwordx2 v[10:11], v8, s[2:3] offset:24 sc0 sc1
	global_load_dwordx2 v[12:13], v8, s[2:3]
	s_mov_b64 s[0:1], 0
	s_waitcnt vmcnt(2)
	v_lshl_add_u64 v[2:3], v[6:7], 0, 1
	v_lshl_add_u64 v[14:15], v[2:3], 0, s[4:5]
	v_cmp_eq_u64_e32 vcc, 0, v[14:15]
	s_waitcnt vmcnt(1)
	v_mov_b32_e32 v4, v10
	v_cndmask_b32_e32 v3, v15, v3, vcc
	v_cndmask_b32_e32 v2, v14, v2, vcc
	v_and_b32_e32 v5, v3, v7
	v_and_b32_e32 v6, v2, v6
	v_mul_lo_u32 v5, v5, 24
	v_mul_hi_u32 v7, v6, 24
	v_mul_lo_u32 v6, v6, 24
	v_add_u32_e32 v7, v7, v5
	s_waitcnt vmcnt(0)
	v_lshl_add_u64 v[6:7], v[12:13], 0, v[6:7]
	global_store_dwordx2 v[6:7], v[10:11], off
	v_mov_b32_e32 v5, v11
	buffer_wbl2 sc0 sc1
	s_waitcnt vmcnt(0)
	global_atomic_cmpswap_x2 v[4:5], v8, v[2:5], s[2:3] offset:24 sc0 sc1
	s_waitcnt vmcnt(0)
	v_cmp_ne_u64_e32 vcc, v[4:5], v[10:11]
	s_and_b64 exec, exec, vcc
	s_cbranch_execz .LBB3_136
.LBB3_135:                              ; =>This Inner Loop Header: Depth=1
	s_sleep 1
	global_store_dwordx2 v[6:7], v[4:5], off
	buffer_wbl2 sc0 sc1
	s_waitcnt vmcnt(0)
	global_atomic_cmpswap_x2 v[10:11], v8, v[2:5], s[2:3] offset:24 sc0 sc1
	s_waitcnt vmcnt(0)
	v_cmp_eq_u64_e32 vcc, v[10:11], v[4:5]
	s_or_b64 s[0:1], vcc, s[0:1]
	v_mov_b64_e32 v[4:5], v[10:11]
	s_andn2_b64 exec, exec, s[0:1]
	s_cbranch_execnz .LBB3_135
.LBB3_136:
	s_or_b64 exec, exec, s[6:7]
.LBB3_137:
	s_getpc_b64 s[4:5]
	s_add_u32 s4, s4, .str.1@rel32@lo+4
	s_addc_u32 s5, s5, .str.1@rel32@hi+12
	s_cmp_lg_u64 s[4:5], 0
	s_cselect_b64 s[0:1], -1, 0
	s_cmp_eq_u64 s[4:5], 0
	s_mov_b64 s[4:5], 0
	s_cbranch_scc1 .LBB3_141
; %bb.138:
	s_waitcnt vmcnt(0)
	v_mov_b32_e32 v2, 0
	s_getpc_b64 s[4:5]
	s_add_u32 s4, s4, .str.1@rel32@lo+3
	s_addc_u32 s5, s5, .str.1@rel32@hi+11
.LBB3_139:                              ; =>This Inner Loop Header: Depth=1
	global_load_ubyte v3, v2, s[4:5] offset:1
	s_add_u32 s6, s4, 1
	s_addc_u32 s7, s5, 0
	s_mov_b64 s[4:5], s[6:7]
	s_waitcnt vmcnt(0)
	v_cmp_ne_u16_e32 vcc, 0, v3
	s_cbranch_vccnz .LBB3_139
; %bb.140:
	s_getpc_b64 s[4:5]
	s_add_u32 s4, s4, .str.1@rel32@lo+4
	s_addc_u32 s5, s5, .str.1@rel32@hi+12
	s_sub_u32 s4, s6, s4
	s_subb_u32 s5, s7, s5
	s_add_u32 s4, s4, 1
	s_addc_u32 s5, s5, 0
.LBB3_141:
	s_and_b64 vcc, exec, s[0:1]
	s_cbranch_vccz .LBB3_225
; %bb.142:
	s_waitcnt vmcnt(0)
	v_and_b32_e32 v30, 2, v0
	v_mov_b32_e32 v33, 0
	v_and_b32_e32 v2, -3, v0
	v_mov_b32_e32 v3, v1
	v_mov_b32_e32 v6, 2
	;; [unrolled: 1-line block ×3, first 2 shown]
	s_getpc_b64 s[6:7]
	s_add_u32 s6, s6, .str.1@rel32@lo+4
	s_addc_u32 s7, s7, .str.1@rel32@hi+12
	s_branch .LBB3_144
.LBB3_143:                              ;   in Loop: Header=BB3_144 Depth=1
	s_or_b64 exec, exec, s[14:15]
	s_sub_u32 s4, s4, s10
	s_subb_u32 s5, s5, s11
	s_add_u32 s6, s6, s10
	s_addc_u32 s7, s7, s11
	s_cmp_lg_u64 s[4:5], 0
	s_cbranch_scc0 .LBB3_226
.LBB3_144:                              ; =>This Loop Header: Depth=1
                                        ;     Child Loop BB3_147 Depth 2
                                        ;     Child Loop BB3_154 Depth 2
	;; [unrolled: 1-line block ×11, first 2 shown]
	v_cmp_lt_u64_e64 s[0:1], s[4:5], 56
	s_and_b64 s[0:1], s[0:1], exec
	v_cmp_gt_u64_e64 s[0:1], s[4:5], 7
	s_cselect_b32 s11, s5, 0
	s_cselect_b32 s10, s4, 56
	s_and_b64 vcc, exec, s[0:1]
	s_cbranch_vccnz .LBB3_149
; %bb.145:                              ;   in Loop: Header=BB3_144 Depth=1
	s_mov_b64 s[0:1], 0
	s_cmp_eq_u64 s[4:5], 0
	v_mov_b64_e32 v[10:11], 0
	s_cbranch_scc1 .LBB3_148
; %bb.146:                              ;   in Loop: Header=BB3_144 Depth=1
	s_lshl_b64 s[12:13], s[10:11], 3
	s_mov_b64 s[14:15], 0
	v_mov_b64_e32 v[10:11], 0
	s_mov_b64 s[16:17], s[6:7]
.LBB3_147:                              ;   Parent Loop BB3_144 Depth=1
                                        ; =>  This Inner Loop Header: Depth=2
	global_load_ubyte v4, v33, s[16:17]
	s_waitcnt vmcnt(0)
	v_and_b32_e32 v32, 0xffff, v4
	v_lshlrev_b64 v[4:5], s14, v[32:33]
	s_add_u32 s14, s14, 8
	s_addc_u32 s15, s15, 0
	s_add_u32 s16, s16, 1
	s_addc_u32 s17, s17, 0
	v_or_b32_e32 v10, v4, v10
	s_cmp_lg_u32 s12, s14
	v_or_b32_e32 v11, v5, v11
	s_cbranch_scc1 .LBB3_147
.LBB3_148:                              ;   in Loop: Header=BB3_144 Depth=1
	s_mov_b32 s16, 0
	s_andn2_b64 vcc, exec, s[0:1]
	s_mov_b64 s[0:1], s[6:7]
	s_cbranch_vccz .LBB3_150
	s_branch .LBB3_151
.LBB3_149:                              ;   in Loop: Header=BB3_144 Depth=1
                                        ; implicit-def: $vgpr10_vgpr11
                                        ; implicit-def: $sgpr16
	s_mov_b64 s[0:1], s[6:7]
.LBB3_150:                              ;   in Loop: Header=BB3_144 Depth=1
	global_load_dwordx2 v[10:11], v33, s[6:7]
	s_add_i32 s16, s10, -8
	s_add_u32 s0, s6, 8
	s_addc_u32 s1, s7, 0
.LBB3_151:                              ;   in Loop: Header=BB3_144 Depth=1
	s_cmp_gt_u32 s16, 7
	s_cbranch_scc1 .LBB3_155
; %bb.152:                              ;   in Loop: Header=BB3_144 Depth=1
	s_cmp_eq_u32 s16, 0
	s_cbranch_scc1 .LBB3_156
; %bb.153:                              ;   in Loop: Header=BB3_144 Depth=1
	s_mov_b64 s[12:13], 0
	v_mov_b64_e32 v[12:13], 0
	s_mov_b64 s[14:15], 0
.LBB3_154:                              ;   Parent Loop BB3_144 Depth=1
                                        ; =>  This Inner Loop Header: Depth=2
	s_add_u32 s18, s0, s14
	s_addc_u32 s19, s1, s15
	global_load_ubyte v4, v33, s[18:19]
	s_add_u32 s14, s14, 1
	s_addc_u32 s15, s15, 0
	s_waitcnt vmcnt(0)
	v_and_b32_e32 v32, 0xffff, v4
	v_lshlrev_b64 v[4:5], s12, v[32:33]
	s_add_u32 s12, s12, 8
	s_addc_u32 s13, s13, 0
	v_or_b32_e32 v12, v4, v12
	s_cmp_lg_u32 s16, s14
	v_or_b32_e32 v13, v5, v13
	s_cbranch_scc1 .LBB3_154
	s_branch .LBB3_157
.LBB3_155:                              ;   in Loop: Header=BB3_144 Depth=1
                                        ; implicit-def: $vgpr12_vgpr13
                                        ; implicit-def: $sgpr17
	s_branch .LBB3_158
.LBB3_156:                              ;   in Loop: Header=BB3_144 Depth=1
	v_mov_b64_e32 v[12:13], 0
.LBB3_157:                              ;   in Loop: Header=BB3_144 Depth=1
	s_mov_b32 s17, 0
	s_cbranch_execnz .LBB3_159
.LBB3_158:                              ;   in Loop: Header=BB3_144 Depth=1
	global_load_dwordx2 v[12:13], v33, s[0:1]
	s_add_i32 s17, s16, -8
	s_add_u32 s0, s0, 8
	s_addc_u32 s1, s1, 0
.LBB3_159:                              ;   in Loop: Header=BB3_144 Depth=1
	s_cmp_gt_u32 s17, 7
	s_cbranch_scc1 .LBB3_163
; %bb.160:                              ;   in Loop: Header=BB3_144 Depth=1
	s_cmp_eq_u32 s17, 0
	s_cbranch_scc1 .LBB3_164
; %bb.161:                              ;   in Loop: Header=BB3_144 Depth=1
	s_mov_b64 s[12:13], 0
	v_mov_b64_e32 v[14:15], 0
	s_mov_b64 s[14:15], 0
.LBB3_162:                              ;   Parent Loop BB3_144 Depth=1
                                        ; =>  This Inner Loop Header: Depth=2
	s_add_u32 s18, s0, s14
	s_addc_u32 s19, s1, s15
	global_load_ubyte v4, v33, s[18:19]
	s_add_u32 s14, s14, 1
	s_addc_u32 s15, s15, 0
	s_waitcnt vmcnt(0)
	v_and_b32_e32 v32, 0xffff, v4
	v_lshlrev_b64 v[4:5], s12, v[32:33]
	s_add_u32 s12, s12, 8
	s_addc_u32 s13, s13, 0
	v_or_b32_e32 v14, v4, v14
	s_cmp_lg_u32 s17, s14
	v_or_b32_e32 v15, v5, v15
	s_cbranch_scc1 .LBB3_162
	s_branch .LBB3_165
.LBB3_163:                              ;   in Loop: Header=BB3_144 Depth=1
                                        ; implicit-def: $sgpr16
	s_branch .LBB3_166
.LBB3_164:                              ;   in Loop: Header=BB3_144 Depth=1
	v_mov_b64_e32 v[14:15], 0
.LBB3_165:                              ;   in Loop: Header=BB3_144 Depth=1
	s_mov_b32 s16, 0
	s_cbranch_execnz .LBB3_167
.LBB3_166:                              ;   in Loop: Header=BB3_144 Depth=1
	global_load_dwordx2 v[14:15], v33, s[0:1]
	s_add_i32 s16, s17, -8
	s_add_u32 s0, s0, 8
	s_addc_u32 s1, s1, 0
.LBB3_167:                              ;   in Loop: Header=BB3_144 Depth=1
	s_cmp_gt_u32 s16, 7
	s_cbranch_scc1 .LBB3_171
; %bb.168:                              ;   in Loop: Header=BB3_144 Depth=1
	s_cmp_eq_u32 s16, 0
	s_cbranch_scc1 .LBB3_172
; %bb.169:                              ;   in Loop: Header=BB3_144 Depth=1
	s_mov_b64 s[12:13], 0
	v_mov_b64_e32 v[16:17], 0
	s_mov_b64 s[14:15], 0
.LBB3_170:                              ;   Parent Loop BB3_144 Depth=1
                                        ; =>  This Inner Loop Header: Depth=2
	s_add_u32 s18, s0, s14
	s_addc_u32 s19, s1, s15
	global_load_ubyte v4, v33, s[18:19]
	s_add_u32 s14, s14, 1
	s_addc_u32 s15, s15, 0
	s_waitcnt vmcnt(0)
	v_and_b32_e32 v32, 0xffff, v4
	v_lshlrev_b64 v[4:5], s12, v[32:33]
	s_add_u32 s12, s12, 8
	s_addc_u32 s13, s13, 0
	v_or_b32_e32 v16, v4, v16
	s_cmp_lg_u32 s16, s14
	v_or_b32_e32 v17, v5, v17
	s_cbranch_scc1 .LBB3_170
	s_branch .LBB3_173
.LBB3_171:                              ;   in Loop: Header=BB3_144 Depth=1
                                        ; implicit-def: $vgpr16_vgpr17
                                        ; implicit-def: $sgpr17
	s_branch .LBB3_174
.LBB3_172:                              ;   in Loop: Header=BB3_144 Depth=1
	v_mov_b64_e32 v[16:17], 0
.LBB3_173:                              ;   in Loop: Header=BB3_144 Depth=1
	s_mov_b32 s17, 0
	s_cbranch_execnz .LBB3_175
.LBB3_174:                              ;   in Loop: Header=BB3_144 Depth=1
	global_load_dwordx2 v[16:17], v33, s[0:1]
	s_add_i32 s17, s16, -8
	s_add_u32 s0, s0, 8
	s_addc_u32 s1, s1, 0
.LBB3_175:                              ;   in Loop: Header=BB3_144 Depth=1
	s_cmp_gt_u32 s17, 7
	s_cbranch_scc1 .LBB3_179
; %bb.176:                              ;   in Loop: Header=BB3_144 Depth=1
	s_cmp_eq_u32 s17, 0
	s_cbranch_scc1 .LBB3_180
; %bb.177:                              ;   in Loop: Header=BB3_144 Depth=1
	s_mov_b64 s[12:13], 0
	v_mov_b64_e32 v[18:19], 0
	s_mov_b64 s[14:15], 0
.LBB3_178:                              ;   Parent Loop BB3_144 Depth=1
                                        ; =>  This Inner Loop Header: Depth=2
	s_add_u32 s18, s0, s14
	s_addc_u32 s19, s1, s15
	global_load_ubyte v4, v33, s[18:19]
	s_add_u32 s14, s14, 1
	s_addc_u32 s15, s15, 0
	s_waitcnt vmcnt(0)
	v_and_b32_e32 v32, 0xffff, v4
	v_lshlrev_b64 v[4:5], s12, v[32:33]
	s_add_u32 s12, s12, 8
	s_addc_u32 s13, s13, 0
	v_or_b32_e32 v18, v4, v18
	s_cmp_lg_u32 s17, s14
	v_or_b32_e32 v19, v5, v19
	s_cbranch_scc1 .LBB3_178
	s_branch .LBB3_181
.LBB3_179:                              ;   in Loop: Header=BB3_144 Depth=1
                                        ; implicit-def: $sgpr16
	s_branch .LBB3_182
.LBB3_180:                              ;   in Loop: Header=BB3_144 Depth=1
	v_mov_b64_e32 v[18:19], 0
.LBB3_181:                              ;   in Loop: Header=BB3_144 Depth=1
	s_mov_b32 s16, 0
	s_cbranch_execnz .LBB3_183
.LBB3_182:                              ;   in Loop: Header=BB3_144 Depth=1
	global_load_dwordx2 v[18:19], v33, s[0:1]
	s_add_i32 s16, s17, -8
	s_add_u32 s0, s0, 8
	s_addc_u32 s1, s1, 0
.LBB3_183:                              ;   in Loop: Header=BB3_144 Depth=1
	s_cmp_gt_u32 s16, 7
	s_cbranch_scc1 .LBB3_187
; %bb.184:                              ;   in Loop: Header=BB3_144 Depth=1
	s_cmp_eq_u32 s16, 0
	s_cbranch_scc1 .LBB3_188
; %bb.185:                              ;   in Loop: Header=BB3_144 Depth=1
	s_mov_b64 s[12:13], 0
	v_mov_b64_e32 v[20:21], 0
	s_mov_b64 s[14:15], 0
.LBB3_186:                              ;   Parent Loop BB3_144 Depth=1
                                        ; =>  This Inner Loop Header: Depth=2
	s_add_u32 s18, s0, s14
	s_addc_u32 s19, s1, s15
	global_load_ubyte v4, v33, s[18:19]
	s_add_u32 s14, s14, 1
	s_addc_u32 s15, s15, 0
	s_waitcnt vmcnt(0)
	v_and_b32_e32 v32, 0xffff, v4
	v_lshlrev_b64 v[4:5], s12, v[32:33]
	s_add_u32 s12, s12, 8
	s_addc_u32 s13, s13, 0
	v_or_b32_e32 v20, v4, v20
	s_cmp_lg_u32 s16, s14
	v_or_b32_e32 v21, v5, v21
	s_cbranch_scc1 .LBB3_186
	s_branch .LBB3_189
.LBB3_187:                              ;   in Loop: Header=BB3_144 Depth=1
                                        ; implicit-def: $vgpr20_vgpr21
                                        ; implicit-def: $sgpr17
	s_branch .LBB3_190
.LBB3_188:                              ;   in Loop: Header=BB3_144 Depth=1
	v_mov_b64_e32 v[20:21], 0
.LBB3_189:                              ;   in Loop: Header=BB3_144 Depth=1
	s_mov_b32 s17, 0
	s_cbranch_execnz .LBB3_191
.LBB3_190:                              ;   in Loop: Header=BB3_144 Depth=1
	global_load_dwordx2 v[20:21], v33, s[0:1]
	s_add_i32 s17, s16, -8
	s_add_u32 s0, s0, 8
	s_addc_u32 s1, s1, 0
.LBB3_191:                              ;   in Loop: Header=BB3_144 Depth=1
	s_cmp_gt_u32 s17, 7
	s_cbranch_scc1 .LBB3_195
; %bb.192:                              ;   in Loop: Header=BB3_144 Depth=1
	s_cmp_eq_u32 s17, 0
	s_cbranch_scc1 .LBB3_196
; %bb.193:                              ;   in Loop: Header=BB3_144 Depth=1
	s_mov_b64 s[12:13], 0
	v_mov_b64_e32 v[22:23], 0
	s_mov_b64 s[14:15], s[0:1]
.LBB3_194:                              ;   Parent Loop BB3_144 Depth=1
                                        ; =>  This Inner Loop Header: Depth=2
	global_load_ubyte v4, v33, s[14:15]
	s_add_i32 s17, s17, -1
	s_waitcnt vmcnt(0)
	v_and_b32_e32 v32, 0xffff, v4
	v_lshlrev_b64 v[4:5], s12, v[32:33]
	s_add_u32 s12, s12, 8
	s_addc_u32 s13, s13, 0
	s_add_u32 s14, s14, 1
	s_addc_u32 s15, s15, 0
	v_or_b32_e32 v22, v4, v22
	s_cmp_lg_u32 s17, 0
	v_or_b32_e32 v23, v5, v23
	s_cbranch_scc1 .LBB3_194
	s_branch .LBB3_197
.LBB3_195:                              ;   in Loop: Header=BB3_144 Depth=1
	s_branch .LBB3_198
.LBB3_196:                              ;   in Loop: Header=BB3_144 Depth=1
	v_mov_b64_e32 v[22:23], 0
.LBB3_197:                              ;   in Loop: Header=BB3_144 Depth=1
	s_cbranch_execnz .LBB3_199
.LBB3_198:                              ;   in Loop: Header=BB3_144 Depth=1
	global_load_dwordx2 v[22:23], v33, s[0:1]
.LBB3_199:                              ;   in Loop: Header=BB3_144 Depth=1
	v_readfirstlane_b32 s0, v36
	s_waitcnt vmcnt(0)
	v_mov_b64_e32 v[4:5], 0
	v_cmp_eq_u32_e64 s[0:1], s0, v36
	s_and_saveexec_b64 s[12:13], s[0:1]
	s_cbranch_execz .LBB3_205
; %bb.200:                              ;   in Loop: Header=BB3_144 Depth=1
	global_load_dwordx2 v[26:27], v33, s[2:3] offset:24 sc0 sc1
	s_waitcnt vmcnt(0)
	buffer_inv sc0 sc1
	global_load_dwordx2 v[4:5], v33, s[2:3] offset:40
	global_load_dwordx2 v[8:9], v33, s[2:3]
	s_waitcnt vmcnt(1)
	v_and_b32_e32 v4, v4, v26
	v_and_b32_e32 v5, v5, v27
	v_mul_lo_u32 v5, v5, 24
	v_mul_hi_u32 v24, v4, 24
	v_add_u32_e32 v5, v24, v5
	v_mul_lo_u32 v4, v4, 24
	s_waitcnt vmcnt(0)
	v_lshl_add_u64 v[4:5], v[8:9], 0, v[4:5]
	global_load_dwordx2 v[24:25], v[4:5], off sc0 sc1
	s_waitcnt vmcnt(0)
	global_atomic_cmpswap_x2 v[4:5], v33, v[24:27], s[2:3] offset:24 sc0 sc1
	s_waitcnt vmcnt(0)
	buffer_inv sc0 sc1
	v_cmp_ne_u64_e32 vcc, v[4:5], v[26:27]
	s_and_saveexec_b64 s[14:15], vcc
	s_cbranch_execz .LBB3_204
; %bb.201:                              ;   in Loop: Header=BB3_144 Depth=1
	s_mov_b64 s[16:17], 0
.LBB3_202:                              ;   Parent Loop BB3_144 Depth=1
                                        ; =>  This Inner Loop Header: Depth=2
	s_sleep 1
	global_load_dwordx2 v[8:9], v33, s[2:3] offset:40
	global_load_dwordx2 v[24:25], v33, s[2:3]
	v_mov_b64_e32 v[26:27], v[4:5]
	s_waitcnt vmcnt(1)
	v_and_b32_e32 v4, v8, v26
	s_waitcnt vmcnt(0)
	v_mad_u64_u32 v[4:5], s[18:19], v4, 24, v[24:25]
	v_and_b32_e32 v9, v9, v27
	v_mov_b32_e32 v8, v5
	v_mad_u64_u32 v[8:9], s[18:19], v9, 24, v[8:9]
	v_mov_b32_e32 v5, v8
	global_load_dwordx2 v[24:25], v[4:5], off sc0 sc1
	s_waitcnt vmcnt(0)
	global_atomic_cmpswap_x2 v[4:5], v33, v[24:27], s[2:3] offset:24 sc0 sc1
	s_waitcnt vmcnt(0)
	buffer_inv sc0 sc1
	v_cmp_eq_u64_e32 vcc, v[4:5], v[26:27]
	s_or_b64 s[16:17], vcc, s[16:17]
	s_andn2_b64 exec, exec, s[16:17]
	s_cbranch_execnz .LBB3_202
; %bb.203:                              ;   in Loop: Header=BB3_144 Depth=1
	s_or_b64 exec, exec, s[16:17]
.LBB3_204:                              ;   in Loop: Header=BB3_144 Depth=1
	s_or_b64 exec, exec, s[14:15]
.LBB3_205:                              ;   in Loop: Header=BB3_144 Depth=1
	s_or_b64 exec, exec, s[12:13]
	global_load_dwordx2 v[8:9], v33, s[2:3] offset:40
	global_load_dwordx4 v[24:27], v33, s[2:3]
	v_readfirstlane_b32 s12, v4
	v_readfirstlane_b32 s13, v5
	s_mov_b64 s[14:15], exec
	s_waitcnt vmcnt(1)
	v_readfirstlane_b32 s16, v8
	v_readfirstlane_b32 s17, v9
	s_and_b64 s[16:17], s[12:13], s[16:17]
	s_mul_i32 s18, s17, 24
	s_mul_hi_u32 s19, s16, 24
	s_add_i32 s19, s19, s18
	s_mul_i32 s18, s16, 24
	s_waitcnt vmcnt(0)
	v_lshl_add_u64 v[34:35], v[24:25], 0, s[18:19]
	s_and_saveexec_b64 s[18:19], s[0:1]
	s_cbranch_execz .LBB3_207
; %bb.206:                              ;   in Loop: Header=BB3_144 Depth=1
	v_mov_b64_e32 v[4:5], s[14:15]
	global_store_dwordx4 v[34:35], v[4:7], off offset:8
.LBB3_207:                              ;   in Loop: Header=BB3_144 Depth=1
	s_or_b64 exec, exec, s[18:19]
	s_lshl_b64 s[14:15], s[16:17], 12
	v_lshl_add_u64 v[26:27], v[26:27], 0, s[14:15]
	v_or_b32_e32 v5, v2, v30
	v_cmp_gt_u64_e64 vcc, s[4:5], 56
	s_lshl_b32 s14, s10, 2
	s_add_i32 s14, s14, 28
	v_cndmask_b32_e32 v2, v5, v2, vcc
	v_or_b32_e32 v4, 0, v3
	s_and_b32 s14, s14, 0x1e0
	v_and_b32_e32 v2, 0xffffff1f, v2
	v_cndmask_b32_e32 v9, v4, v3, vcc
	v_or_b32_e32 v8, s14, v2
	v_readfirstlane_b32 s14, v26
	v_readfirstlane_b32 s15, v27
	s_nop 4
	global_store_dwordx4 v28, v[8:11], s[14:15]
	global_store_dwordx4 v28, v[12:15], s[14:15] offset:16
	global_store_dwordx4 v28, v[16:19], s[14:15] offset:32
	;; [unrolled: 1-line block ×3, first 2 shown]
	s_and_saveexec_b64 s[14:15], s[0:1]
	s_cbranch_execz .LBB3_215
; %bb.208:                              ;   in Loop: Header=BB3_144 Depth=1
	global_load_dwordx2 v[12:13], v33, s[2:3] offset:32 sc0 sc1
	global_load_dwordx2 v[2:3], v33, s[2:3] offset:40
	v_mov_b32_e32 v10, s12
	v_mov_b32_e32 v11, s13
	s_waitcnt vmcnt(0)
	v_readfirstlane_b32 s16, v2
	v_readfirstlane_b32 s17, v3
	s_and_b64 s[16:17], s[16:17], s[12:13]
	s_mul_i32 s17, s17, 24
	s_mul_hi_u32 s18, s16, 24
	s_mul_i32 s16, s16, 24
	s_add_i32 s17, s18, s17
	v_lshl_add_u64 v[8:9], v[24:25], 0, s[16:17]
	global_store_dwordx2 v[8:9], v[12:13], off
	buffer_wbl2 sc0 sc1
	s_waitcnt vmcnt(0)
	global_atomic_cmpswap_x2 v[4:5], v33, v[10:13], s[2:3] offset:32 sc0 sc1
	s_waitcnt vmcnt(0)
	v_cmp_ne_u64_e32 vcc, v[4:5], v[12:13]
	s_and_saveexec_b64 s[16:17], vcc
	s_cbranch_execz .LBB3_211
; %bb.209:                              ;   in Loop: Header=BB3_144 Depth=1
	s_mov_b64 s[18:19], 0
.LBB3_210:                              ;   Parent Loop BB3_144 Depth=1
                                        ; =>  This Inner Loop Header: Depth=2
	s_sleep 1
	global_store_dwordx2 v[8:9], v[4:5], off
	v_mov_b32_e32 v2, s12
	v_mov_b32_e32 v3, s13
	buffer_wbl2 sc0 sc1
	s_waitcnt vmcnt(0)
	global_atomic_cmpswap_x2 v[2:3], v33, v[2:5], s[2:3] offset:32 sc0 sc1
	s_waitcnt vmcnt(0)
	v_cmp_eq_u64_e32 vcc, v[2:3], v[4:5]
	s_or_b64 s[18:19], vcc, s[18:19]
	v_mov_b64_e32 v[4:5], v[2:3]
	s_andn2_b64 exec, exec, s[18:19]
	s_cbranch_execnz .LBB3_210
.LBB3_211:                              ;   in Loop: Header=BB3_144 Depth=1
	s_or_b64 exec, exec, s[16:17]
	global_load_dwordx2 v[2:3], v33, s[2:3] offset:16
	s_mov_b64 s[18:19], exec
	v_mbcnt_lo_u32_b32 v4, s18, 0
	v_mbcnt_hi_u32_b32 v4, s19, v4
	v_cmp_eq_u32_e32 vcc, 0, v4
	s_and_saveexec_b64 s[16:17], vcc
	s_cbranch_execz .LBB3_213
; %bb.212:                              ;   in Loop: Header=BB3_144 Depth=1
	s_bcnt1_i32_b64 s18, s[18:19]
	v_mov_b32_e32 v32, s18
	buffer_wbl2 sc0 sc1
	s_waitcnt vmcnt(0)
	global_atomic_add_x2 v[2:3], v[32:33], off offset:8 sc1
.LBB3_213:                              ;   in Loop: Header=BB3_144 Depth=1
	s_or_b64 exec, exec, s[16:17]
	s_waitcnt vmcnt(0)
	global_load_dwordx2 v[4:5], v[2:3], off offset:16
	s_waitcnt vmcnt(0)
	v_cmp_eq_u64_e32 vcc, 0, v[4:5]
	s_cbranch_vccnz .LBB3_215
; %bb.214:                              ;   in Loop: Header=BB3_144 Depth=1
	global_load_dword v32, v[2:3], off offset:24
	s_waitcnt vmcnt(0)
	v_and_b32_e32 v2, 0xffffff, v32
	s_nop 0
	v_readfirstlane_b32 m0, v2
	buffer_wbl2 sc0 sc1
	global_store_dwordx2 v[4:5], v[32:33], off sc0 sc1
	s_sendmsg sendmsg(MSG_INTERRUPT)
.LBB3_215:                              ;   in Loop: Header=BB3_144 Depth=1
	s_or_b64 exec, exec, s[14:15]
	v_mov_b32_e32 v29, v33
	v_lshl_add_u64 v[2:3], v[26:27], 0, v[28:29]
	s_branch .LBB3_219
.LBB3_216:                              ;   in Loop: Header=BB3_219 Depth=2
	s_or_b64 exec, exec, s[14:15]
	v_readfirstlane_b32 s14, v4
	s_cmp_eq_u32 s14, 0
	s_cbranch_scc1 .LBB3_218
; %bb.217:                              ;   in Loop: Header=BB3_219 Depth=2
	s_sleep 1
	s_cbranch_execnz .LBB3_219
	s_branch .LBB3_221
.LBB3_218:                              ;   in Loop: Header=BB3_144 Depth=1
	s_branch .LBB3_221
.LBB3_219:                              ;   Parent Loop BB3_144 Depth=1
                                        ; =>  This Inner Loop Header: Depth=2
	v_mov_b32_e32 v4, 1
	s_and_saveexec_b64 s[14:15], s[0:1]
	s_cbranch_execz .LBB3_216
; %bb.220:                              ;   in Loop: Header=BB3_219 Depth=2
	global_load_dword v4, v[34:35], off offset:20 sc0 sc1
	s_waitcnt vmcnt(0)
	buffer_inv sc0 sc1
	v_and_b32_e32 v4, 1, v4
	s_branch .LBB3_216
.LBB3_221:                              ;   in Loop: Header=BB3_144 Depth=1
	global_load_dwordx4 v[2:5], v[2:3], off
	s_and_saveexec_b64 s[14:15], s[0:1]
	s_cbranch_execz .LBB3_143
; %bb.222:                              ;   in Loop: Header=BB3_144 Depth=1
	global_load_dwordx2 v[4:5], v33, s[2:3] offset:40
	global_load_dwordx2 v[12:13], v33, s[2:3] offset:24 sc0 sc1
	global_load_dwordx2 v[14:15], v33, s[2:3]
	s_waitcnt vmcnt(2)
	v_lshl_add_u64 v[8:9], v[4:5], 0, 1
	v_lshl_add_u64 v[16:17], v[8:9], 0, s[12:13]
	v_cmp_eq_u64_e32 vcc, 0, v[16:17]
	s_waitcnt vmcnt(1)
	v_mov_b32_e32 v10, v12
	v_cndmask_b32_e32 v9, v17, v9, vcc
	v_cndmask_b32_e32 v8, v16, v8, vcc
	v_and_b32_e32 v5, v9, v5
	v_and_b32_e32 v4, v8, v4
	v_mul_lo_u32 v5, v5, 24
	v_mul_hi_u32 v11, v4, 24
	v_mul_lo_u32 v4, v4, 24
	v_add_u32_e32 v5, v11, v5
	s_waitcnt vmcnt(0)
	v_lshl_add_u64 v[4:5], v[14:15], 0, v[4:5]
	global_store_dwordx2 v[4:5], v[12:13], off
	v_mov_b32_e32 v11, v13
	buffer_wbl2 sc0 sc1
	s_waitcnt vmcnt(0)
	global_atomic_cmpswap_x2 v[10:11], v33, v[8:11], s[2:3] offset:24 sc0 sc1
	s_waitcnt vmcnt(0)
	v_cmp_ne_u64_e32 vcc, v[10:11], v[12:13]
	s_and_b64 exec, exec, vcc
	s_cbranch_execz .LBB3_143
; %bb.223:                              ;   in Loop: Header=BB3_144 Depth=1
	s_mov_b64 s[0:1], 0
.LBB3_224:                              ;   Parent Loop BB3_144 Depth=1
                                        ; =>  This Inner Loop Header: Depth=2
	s_sleep 1
	global_store_dwordx2 v[4:5], v[10:11], off
	buffer_wbl2 sc0 sc1
	s_waitcnt vmcnt(0)
	global_atomic_cmpswap_x2 v[12:13], v33, v[8:11], s[2:3] offset:24 sc0 sc1
	s_waitcnt vmcnt(0)
	v_cmp_eq_u64_e32 vcc, v[12:13], v[10:11]
	s_or_b64 s[0:1], vcc, s[0:1]
	v_mov_b64_e32 v[10:11], v[12:13]
	s_andn2_b64 exec, exec, s[0:1]
	s_cbranch_execnz .LBB3_224
	s_branch .LBB3_143
.LBB3_225:
                                        ; implicit-def: $vgpr2_vgpr3
	s_cbranch_execnz .LBB3_227
	s_branch .LBB3_253
.LBB3_226:
	s_branch .LBB3_253
.LBB3_227:
	v_readfirstlane_b32 s0, v36
	s_waitcnt vmcnt(0)
	v_mov_b64_e32 v[2:3], 0
	v_cmp_eq_u32_e64 s[0:1], s0, v36
	s_and_saveexec_b64 s[4:5], s[0:1]
	s_cbranch_execz .LBB3_233
; %bb.228:
	v_mov_b32_e32 v4, 0
	global_load_dwordx2 v[8:9], v4, s[2:3] offset:24 sc0 sc1
	s_waitcnt vmcnt(0)
	buffer_inv sc0 sc1
	global_load_dwordx2 v[2:3], v4, s[2:3] offset:40
	global_load_dwordx2 v[6:7], v4, s[2:3]
	s_waitcnt vmcnt(1)
	v_and_b32_e32 v2, v2, v8
	v_and_b32_e32 v3, v3, v9
	v_mul_lo_u32 v3, v3, 24
	v_mul_hi_u32 v5, v2, 24
	v_add_u32_e32 v3, v5, v3
	v_mul_lo_u32 v2, v2, 24
	s_waitcnt vmcnt(0)
	v_lshl_add_u64 v[2:3], v[6:7], 0, v[2:3]
	global_load_dwordx2 v[6:7], v[2:3], off sc0 sc1
	s_waitcnt vmcnt(0)
	global_atomic_cmpswap_x2 v[2:3], v4, v[6:9], s[2:3] offset:24 sc0 sc1
	s_waitcnt vmcnt(0)
	buffer_inv sc0 sc1
	v_cmp_ne_u64_e32 vcc, v[2:3], v[8:9]
	s_and_saveexec_b64 s[6:7], vcc
	s_cbranch_execz .LBB3_232
; %bb.229:
	s_mov_b64 s[10:11], 0
.LBB3_230:                              ; =>This Inner Loop Header: Depth=1
	s_sleep 1
	global_load_dwordx2 v[6:7], v4, s[2:3] offset:40
	global_load_dwordx2 v[10:11], v4, s[2:3]
	v_mov_b64_e32 v[8:9], v[2:3]
	s_waitcnt vmcnt(1)
	v_and_b32_e32 v2, v6, v8
	s_waitcnt vmcnt(0)
	v_mad_u64_u32 v[2:3], s[12:13], v2, 24, v[10:11]
	v_and_b32_e32 v5, v7, v9
	v_mov_b32_e32 v6, v3
	v_mad_u64_u32 v[6:7], s[12:13], v5, 24, v[6:7]
	v_mov_b32_e32 v3, v6
	global_load_dwordx2 v[6:7], v[2:3], off sc0 sc1
	s_waitcnt vmcnt(0)
	global_atomic_cmpswap_x2 v[2:3], v4, v[6:9], s[2:3] offset:24 sc0 sc1
	s_waitcnt vmcnt(0)
	buffer_inv sc0 sc1
	v_cmp_eq_u64_e32 vcc, v[2:3], v[8:9]
	s_or_b64 s[10:11], vcc, s[10:11]
	s_andn2_b64 exec, exec, s[10:11]
	s_cbranch_execnz .LBB3_230
; %bb.231:
	s_or_b64 exec, exec, s[10:11]
.LBB3_232:
	s_or_b64 exec, exec, s[6:7]
.LBB3_233:
	s_or_b64 exec, exec, s[4:5]
	v_mov_b32_e32 v29, 0
	global_load_dwordx2 v[8:9], v29, s[2:3] offset:40
	global_load_dwordx4 v[4:7], v29, s[2:3]
	v_readfirstlane_b32 s4, v2
	v_readfirstlane_b32 s5, v3
	s_mov_b64 s[6:7], exec
	s_waitcnt vmcnt(1)
	v_readfirstlane_b32 s10, v8
	v_readfirstlane_b32 s11, v9
	s_and_b64 s[10:11], s[4:5], s[10:11]
	s_mul_i32 s12, s11, 24
	s_mul_hi_u32 s13, s10, 24
	s_add_i32 s13, s13, s12
	s_mul_i32 s12, s10, 24
	s_waitcnt vmcnt(0)
	v_lshl_add_u64 v[8:9], v[4:5], 0, s[12:13]
	s_and_saveexec_b64 s[12:13], s[0:1]
	s_cbranch_execz .LBB3_235
; %bb.234:
	v_mov_b64_e32 v[10:11], s[6:7]
	v_mov_b32_e32 v12, 2
	v_mov_b32_e32 v13, 1
	global_store_dwordx4 v[8:9], v[10:13], off offset:8
.LBB3_235:
	s_or_b64 exec, exec, s[12:13]
	s_lshl_b64 s[6:7], s[10:11], 12
	v_lshl_add_u64 v[6:7], v[6:7], 0, s[6:7]
	s_movk_i32 s6, 0xff1f
	s_mov_b32 s12, 0
	v_and_or_b32 v0, v0, s6, 32
	v_mov_b32_e32 v2, v29
	v_mov_b32_e32 v3, v29
	v_readfirstlane_b32 s6, v6
	v_readfirstlane_b32 s7, v7
	s_mov_b32 s13, s12
	s_mov_b32 s14, s12
	s_mov_b32 s15, s12
	s_nop 1
	global_store_dwordx4 v28, v[0:3], s[6:7]
	s_nop 1
	v_mov_b64_e32 v[0:1], s[12:13]
	v_mov_b64_e32 v[2:3], s[14:15]
	global_store_dwordx4 v28, v[0:3], s[6:7] offset:16
	global_store_dwordx4 v28, v[0:3], s[6:7] offset:32
	;; [unrolled: 1-line block ×3, first 2 shown]
	s_and_saveexec_b64 s[6:7], s[0:1]
	s_cbranch_execz .LBB3_243
; %bb.236:
	v_mov_b32_e32 v10, 0
	global_load_dwordx2 v[14:15], v10, s[2:3] offset:32 sc0 sc1
	global_load_dwordx2 v[0:1], v10, s[2:3] offset:40
	v_mov_b32_e32 v12, s4
	v_mov_b32_e32 v13, s5
	s_waitcnt vmcnt(0)
	v_readfirstlane_b32 s10, v0
	v_readfirstlane_b32 s11, v1
	s_and_b64 s[10:11], s[10:11], s[4:5]
	s_mul_i32 s11, s11, 24
	s_mul_hi_u32 s12, s10, 24
	s_mul_i32 s10, s10, 24
	s_add_i32 s11, s12, s11
	v_lshl_add_u64 v[4:5], v[4:5], 0, s[10:11]
	global_store_dwordx2 v[4:5], v[14:15], off
	buffer_wbl2 sc0 sc1
	s_waitcnt vmcnt(0)
	global_atomic_cmpswap_x2 v[2:3], v10, v[12:15], s[2:3] offset:32 sc0 sc1
	s_waitcnt vmcnt(0)
	v_cmp_ne_u64_e32 vcc, v[2:3], v[14:15]
	s_and_saveexec_b64 s[10:11], vcc
	s_cbranch_execz .LBB3_239
; %bb.237:
	s_mov_b64 s[12:13], 0
.LBB3_238:                              ; =>This Inner Loop Header: Depth=1
	s_sleep 1
	global_store_dwordx2 v[4:5], v[2:3], off
	v_mov_b32_e32 v0, s4
	v_mov_b32_e32 v1, s5
	buffer_wbl2 sc0 sc1
	s_waitcnt vmcnt(0)
	global_atomic_cmpswap_x2 v[0:1], v10, v[0:3], s[2:3] offset:32 sc0 sc1
	s_waitcnt vmcnt(0)
	v_cmp_eq_u64_e32 vcc, v[0:1], v[2:3]
	s_or_b64 s[12:13], vcc, s[12:13]
	v_mov_b64_e32 v[2:3], v[0:1]
	s_andn2_b64 exec, exec, s[12:13]
	s_cbranch_execnz .LBB3_238
.LBB3_239:
	s_or_b64 exec, exec, s[10:11]
	v_mov_b32_e32 v3, 0
	global_load_dwordx2 v[0:1], v3, s[2:3] offset:16
	s_mov_b64 s[10:11], exec
	v_mbcnt_lo_u32_b32 v2, s10, 0
	v_mbcnt_hi_u32_b32 v2, s11, v2
	v_cmp_eq_u32_e32 vcc, 0, v2
	s_and_saveexec_b64 s[12:13], vcc
	s_cbranch_execz .LBB3_241
; %bb.240:
	s_bcnt1_i32_b64 s10, s[10:11]
	v_mov_b32_e32 v2, s10
	buffer_wbl2 sc0 sc1
	s_waitcnt vmcnt(0)
	global_atomic_add_x2 v[0:1], v[2:3], off offset:8 sc1
.LBB3_241:
	s_or_b64 exec, exec, s[12:13]
	s_waitcnt vmcnt(0)
	global_load_dwordx2 v[2:3], v[0:1], off offset:16
	s_waitcnt vmcnt(0)
	v_cmp_eq_u64_e32 vcc, 0, v[2:3]
	s_cbranch_vccnz .LBB3_243
; %bb.242:
	global_load_dword v0, v[0:1], off offset:24
	v_mov_b32_e32 v1, 0
	buffer_wbl2 sc0 sc1
	s_waitcnt vmcnt(0)
	global_store_dwordx2 v[2:3], v[0:1], off sc0 sc1
	v_and_b32_e32 v0, 0xffffff, v0
	s_nop 0
	v_readfirstlane_b32 m0, v0
	s_sendmsg sendmsg(MSG_INTERRUPT)
.LBB3_243:
	s_or_b64 exec, exec, s[6:7]
	v_lshl_add_u64 v[0:1], v[6:7], 0, v[28:29]
	s_branch .LBB3_247
.LBB3_244:                              ;   in Loop: Header=BB3_247 Depth=1
	s_or_b64 exec, exec, s[6:7]
	v_readfirstlane_b32 s6, v2
	s_cmp_eq_u32 s6, 0
	s_cbranch_scc1 .LBB3_246
; %bb.245:                              ;   in Loop: Header=BB3_247 Depth=1
	s_sleep 1
	s_cbranch_execnz .LBB3_247
	s_branch .LBB3_249
.LBB3_246:
	s_branch .LBB3_249
.LBB3_247:                              ; =>This Inner Loop Header: Depth=1
	v_mov_b32_e32 v2, 1
	s_and_saveexec_b64 s[6:7], s[0:1]
	s_cbranch_execz .LBB3_244
; %bb.248:                              ;   in Loop: Header=BB3_247 Depth=1
	global_load_dword v2, v[8:9], off offset:20 sc0 sc1
	s_waitcnt vmcnt(0)
	buffer_inv sc0 sc1
	v_and_b32_e32 v2, 1, v2
	s_branch .LBB3_244
.LBB3_249:
	global_load_dwordx2 v[2:3], v[0:1], off
	s_and_saveexec_b64 s[6:7], s[0:1]
	s_cbranch_execz .LBB3_252
; %bb.250:
	v_mov_b32_e32 v8, 0
	global_load_dwordx2 v[0:1], v8, s[2:3] offset:40
	global_load_dwordx2 v[10:11], v8, s[2:3] offset:24 sc0 sc1
	global_load_dwordx2 v[12:13], v8, s[2:3]
	s_mov_b64 s[0:1], 0
	s_waitcnt vmcnt(2)
	v_lshl_add_u64 v[4:5], v[0:1], 0, 1
	v_lshl_add_u64 v[14:15], v[4:5], 0, s[4:5]
	v_cmp_eq_u64_e32 vcc, 0, v[14:15]
	s_waitcnt vmcnt(1)
	v_mov_b32_e32 v6, v10
	v_cndmask_b32_e32 v5, v15, v5, vcc
	v_cndmask_b32_e32 v4, v14, v4, vcc
	v_and_b32_e32 v1, v5, v1
	v_and_b32_e32 v0, v4, v0
	v_mul_lo_u32 v1, v1, 24
	v_mul_hi_u32 v7, v0, 24
	v_mul_lo_u32 v0, v0, 24
	v_add_u32_e32 v1, v7, v1
	s_waitcnt vmcnt(0)
	v_lshl_add_u64 v[0:1], v[12:13], 0, v[0:1]
	global_store_dwordx2 v[0:1], v[10:11], off
	v_mov_b32_e32 v7, v11
	buffer_wbl2 sc0 sc1
	s_waitcnt vmcnt(0)
	global_atomic_cmpswap_x2 v[6:7], v8, v[4:7], s[2:3] offset:24 sc0 sc1
	s_waitcnt vmcnt(0)
	v_cmp_ne_u64_e32 vcc, v[6:7], v[10:11]
	s_and_b64 exec, exec, vcc
	s_cbranch_execz .LBB3_252
.LBB3_251:                              ; =>This Inner Loop Header: Depth=1
	s_sleep 1
	global_store_dwordx2 v[0:1], v[6:7], off
	buffer_wbl2 sc0 sc1
	s_waitcnt vmcnt(0)
	global_atomic_cmpswap_x2 v[10:11], v8, v[4:7], s[2:3] offset:24 sc0 sc1
	s_waitcnt vmcnt(0)
	v_cmp_eq_u64_e32 vcc, v[10:11], v[6:7]
	s_or_b64 s[0:1], vcc, s[0:1]
	v_mov_b64_e32 v[6:7], v[10:11]
	s_andn2_b64 exec, exec, s[0:1]
	s_cbranch_execnz .LBB3_251
.LBB3_252:
	s_or_b64 exec, exec, s[6:7]
.LBB3_253:
	v_readfirstlane_b32 s0, v36
	s_waitcnt vmcnt(0)
	v_mov_b64_e32 v[0:1], 0
	v_cmp_eq_u32_e64 s[0:1], s0, v36
	s_and_saveexec_b64 s[4:5], s[0:1]
	s_cbranch_execz .LBB3_259
; %bb.254:
	v_mov_b32_e32 v4, 0
	global_load_dwordx2 v[8:9], v4, s[2:3] offset:24 sc0 sc1
	s_waitcnt vmcnt(0)
	buffer_inv sc0 sc1
	global_load_dwordx2 v[0:1], v4, s[2:3] offset:40
	global_load_dwordx2 v[6:7], v4, s[2:3]
	s_waitcnt vmcnt(1)
	v_and_b32_e32 v0, v0, v8
	v_and_b32_e32 v1, v1, v9
	v_mul_lo_u32 v1, v1, 24
	v_mul_hi_u32 v5, v0, 24
	v_add_u32_e32 v1, v5, v1
	v_mul_lo_u32 v0, v0, 24
	s_waitcnt vmcnt(0)
	v_lshl_add_u64 v[0:1], v[6:7], 0, v[0:1]
	global_load_dwordx2 v[6:7], v[0:1], off sc0 sc1
	s_waitcnt vmcnt(0)
	global_atomic_cmpswap_x2 v[0:1], v4, v[6:9], s[2:3] offset:24 sc0 sc1
	s_waitcnt vmcnt(0)
	buffer_inv sc0 sc1
	v_cmp_ne_u64_e32 vcc, v[0:1], v[8:9]
	s_and_saveexec_b64 s[6:7], vcc
	s_cbranch_execz .LBB3_258
; %bb.255:
	s_mov_b64 s[10:11], 0
.LBB3_256:                              ; =>This Inner Loop Header: Depth=1
	s_sleep 1
	global_load_dwordx2 v[6:7], v4, s[2:3] offset:40
	global_load_dwordx2 v[10:11], v4, s[2:3]
	v_mov_b64_e32 v[8:9], v[0:1]
	s_waitcnt vmcnt(1)
	v_and_b32_e32 v0, v6, v8
	s_waitcnt vmcnt(0)
	v_mad_u64_u32 v[0:1], s[12:13], v0, 24, v[10:11]
	v_and_b32_e32 v5, v7, v9
	v_mov_b32_e32 v6, v1
	v_mad_u64_u32 v[6:7], s[12:13], v5, 24, v[6:7]
	v_mov_b32_e32 v1, v6
	global_load_dwordx2 v[6:7], v[0:1], off sc0 sc1
	s_waitcnt vmcnt(0)
	global_atomic_cmpswap_x2 v[0:1], v4, v[6:9], s[2:3] offset:24 sc0 sc1
	s_waitcnt vmcnt(0)
	buffer_inv sc0 sc1
	v_cmp_eq_u64_e32 vcc, v[0:1], v[8:9]
	s_or_b64 s[10:11], vcc, s[10:11]
	s_andn2_b64 exec, exec, s[10:11]
	s_cbranch_execnz .LBB3_256
; %bb.257:
	s_or_b64 exec, exec, s[10:11]
.LBB3_258:
	s_or_b64 exec, exec, s[6:7]
.LBB3_259:
	s_or_b64 exec, exec, s[4:5]
	v_mov_b32_e32 v29, 0
	global_load_dwordx2 v[4:5], v29, s[2:3] offset:40
	global_load_dwordx4 v[6:9], v29, s[2:3]
	v_readfirstlane_b32 s4, v0
	v_readfirstlane_b32 s5, v1
	s_mov_b64 s[6:7], exec
	s_waitcnt vmcnt(1)
	v_readfirstlane_b32 s10, v4
	v_readfirstlane_b32 s11, v5
	s_and_b64 s[10:11], s[4:5], s[10:11]
	s_mul_i32 s12, s11, 24
	s_mul_hi_u32 s13, s10, 24
	s_add_i32 s13, s13, s12
	s_mul_i32 s12, s10, 24
	s_waitcnt vmcnt(0)
	v_lshl_add_u64 v[10:11], v[6:7], 0, s[12:13]
	s_and_saveexec_b64 s[12:13], s[0:1]
	s_cbranch_execz .LBB3_261
; %bb.260:
	v_mov_b64_e32 v[12:13], s[6:7]
	v_mov_b32_e32 v14, 2
	v_mov_b32_e32 v15, 1
	global_store_dwordx4 v[10:11], v[12:15], off offset:8
.LBB3_261:
	s_or_b64 exec, exec, s[12:13]
	s_lshl_b64 s[6:7], s[10:11], 12
	v_lshl_add_u64 v[8:9], v[8:9], 0, s[6:7]
	s_movk_i32 s6, 0xff1f
	s_mov_b32 s12, 0
	v_and_or_b32 v2, v2, s6, 32
	v_mov_b32_e32 v4, 0x6cc
	v_mov_b32_e32 v5, v29
	v_readfirstlane_b32 s6, v8
	v_readfirstlane_b32 s7, v9
	s_mov_b32 s13, s12
	s_mov_b32 s14, s12
	;; [unrolled: 1-line block ×3, first 2 shown]
	s_nop 1
	global_store_dwordx4 v28, v[2:5], s[6:7]
	v_mov_b64_e32 v[0:1], s[12:13]
	s_nop 0
	v_mov_b64_e32 v[2:3], s[14:15]
	global_store_dwordx4 v28, v[0:3], s[6:7] offset:16
	global_store_dwordx4 v28, v[0:3], s[6:7] offset:32
	;; [unrolled: 1-line block ×3, first 2 shown]
	s_and_saveexec_b64 s[6:7], s[0:1]
	s_cbranch_execz .LBB3_269
; %bb.262:
	v_mov_b32_e32 v12, 0
	global_load_dwordx2 v[16:17], v12, s[2:3] offset:32 sc0 sc1
	global_load_dwordx2 v[0:1], v12, s[2:3] offset:40
	v_mov_b32_e32 v14, s4
	v_mov_b32_e32 v15, s5
	s_waitcnt vmcnt(0)
	v_readfirstlane_b32 s10, v0
	v_readfirstlane_b32 s11, v1
	s_and_b64 s[10:11], s[10:11], s[4:5]
	s_mul_i32 s11, s11, 24
	s_mul_hi_u32 s12, s10, 24
	s_mul_i32 s10, s10, 24
	s_add_i32 s11, s12, s11
	v_lshl_add_u64 v[4:5], v[6:7], 0, s[10:11]
	global_store_dwordx2 v[4:5], v[16:17], off
	buffer_wbl2 sc0 sc1
	s_waitcnt vmcnt(0)
	global_atomic_cmpswap_x2 v[2:3], v12, v[14:17], s[2:3] offset:32 sc0 sc1
	s_waitcnt vmcnt(0)
	v_cmp_ne_u64_e32 vcc, v[2:3], v[16:17]
	s_and_saveexec_b64 s[10:11], vcc
	s_cbranch_execz .LBB3_265
; %bb.263:
	s_mov_b64 s[12:13], 0
.LBB3_264:                              ; =>This Inner Loop Header: Depth=1
	s_sleep 1
	global_store_dwordx2 v[4:5], v[2:3], off
	v_mov_b32_e32 v0, s4
	v_mov_b32_e32 v1, s5
	buffer_wbl2 sc0 sc1
	s_waitcnt vmcnt(0)
	global_atomic_cmpswap_x2 v[0:1], v12, v[0:3], s[2:3] offset:32 sc0 sc1
	s_waitcnt vmcnt(0)
	v_cmp_eq_u64_e32 vcc, v[0:1], v[2:3]
	s_or_b64 s[12:13], vcc, s[12:13]
	v_mov_b64_e32 v[2:3], v[0:1]
	s_andn2_b64 exec, exec, s[12:13]
	s_cbranch_execnz .LBB3_264
.LBB3_265:
	s_or_b64 exec, exec, s[10:11]
	v_mov_b32_e32 v3, 0
	global_load_dwordx2 v[0:1], v3, s[2:3] offset:16
	s_mov_b64 s[10:11], exec
	v_mbcnt_lo_u32_b32 v2, s10, 0
	v_mbcnt_hi_u32_b32 v2, s11, v2
	v_cmp_eq_u32_e32 vcc, 0, v2
	s_and_saveexec_b64 s[12:13], vcc
	s_cbranch_execz .LBB3_267
; %bb.266:
	s_bcnt1_i32_b64 s10, s[10:11]
	v_mov_b32_e32 v2, s10
	buffer_wbl2 sc0 sc1
	s_waitcnt vmcnt(0)
	global_atomic_add_x2 v[0:1], v[2:3], off offset:8 sc1
.LBB3_267:
	s_or_b64 exec, exec, s[12:13]
	s_waitcnt vmcnt(0)
	global_load_dwordx2 v[2:3], v[0:1], off offset:16
	s_waitcnt vmcnt(0)
	v_cmp_eq_u64_e32 vcc, 0, v[2:3]
	s_cbranch_vccnz .LBB3_269
; %bb.268:
	global_load_dword v0, v[0:1], off offset:24
	v_mov_b32_e32 v1, 0
	buffer_wbl2 sc0 sc1
	s_waitcnt vmcnt(0)
	global_store_dwordx2 v[2:3], v[0:1], off sc0 sc1
	v_and_b32_e32 v0, 0xffffff, v0
	s_nop 0
	v_readfirstlane_b32 m0, v0
	s_sendmsg sendmsg(MSG_INTERRUPT)
.LBB3_269:
	s_or_b64 exec, exec, s[6:7]
	v_lshl_add_u64 v[0:1], v[8:9], 0, v[28:29]
	s_branch .LBB3_273
.LBB3_270:                              ;   in Loop: Header=BB3_273 Depth=1
	s_or_b64 exec, exec, s[6:7]
	v_readfirstlane_b32 s6, v2
	s_cmp_eq_u32 s6, 0
	s_cbranch_scc1 .LBB3_272
; %bb.271:                              ;   in Loop: Header=BB3_273 Depth=1
	s_sleep 1
	s_cbranch_execnz .LBB3_273
	s_branch .LBB3_275
.LBB3_272:
	s_branch .LBB3_275
.LBB3_273:                              ; =>This Inner Loop Header: Depth=1
	v_mov_b32_e32 v2, 1
	s_and_saveexec_b64 s[6:7], s[0:1]
	s_cbranch_execz .LBB3_270
; %bb.274:                              ;   in Loop: Header=BB3_273 Depth=1
	global_load_dword v2, v[10:11], off offset:20 sc0 sc1
	s_waitcnt vmcnt(0)
	buffer_inv sc0 sc1
	v_and_b32_e32 v2, 1, v2
	s_branch .LBB3_270
.LBB3_275:
	global_load_dwordx2 v[0:1], v[0:1], off
	s_and_saveexec_b64 s[6:7], s[0:1]
	s_cbranch_execz .LBB3_278
; %bb.276:
	v_mov_b32_e32 v8, 0
	global_load_dwordx2 v[6:7], v8, s[2:3] offset:40
	global_load_dwordx2 v[10:11], v8, s[2:3] offset:24 sc0 sc1
	global_load_dwordx2 v[12:13], v8, s[2:3]
	s_mov_b64 s[0:1], 0
	s_waitcnt vmcnt(2)
	v_lshl_add_u64 v[2:3], v[6:7], 0, 1
	v_lshl_add_u64 v[14:15], v[2:3], 0, s[4:5]
	v_cmp_eq_u64_e32 vcc, 0, v[14:15]
	s_waitcnt vmcnt(1)
	v_mov_b32_e32 v4, v10
	v_cndmask_b32_e32 v3, v15, v3, vcc
	v_cndmask_b32_e32 v2, v14, v2, vcc
	v_and_b32_e32 v5, v3, v7
	v_and_b32_e32 v6, v2, v6
	v_mul_lo_u32 v5, v5, 24
	v_mul_hi_u32 v7, v6, 24
	v_mul_lo_u32 v6, v6, 24
	v_add_u32_e32 v7, v7, v5
	s_waitcnt vmcnt(0)
	v_lshl_add_u64 v[6:7], v[12:13], 0, v[6:7]
	global_store_dwordx2 v[6:7], v[10:11], off
	v_mov_b32_e32 v5, v11
	buffer_wbl2 sc0 sc1
	s_waitcnt vmcnt(0)
	global_atomic_cmpswap_x2 v[4:5], v8, v[2:5], s[2:3] offset:24 sc0 sc1
	s_waitcnt vmcnt(0)
	v_cmp_ne_u64_e32 vcc, v[4:5], v[10:11]
	s_and_b64 exec, exec, vcc
	s_cbranch_execz .LBB3_278
.LBB3_277:                              ; =>This Inner Loop Header: Depth=1
	s_sleep 1
	global_store_dwordx2 v[6:7], v[4:5], off
	buffer_wbl2 sc0 sc1
	s_waitcnt vmcnt(0)
	global_atomic_cmpswap_x2 v[10:11], v8, v[2:5], s[2:3] offset:24 sc0 sc1
	s_waitcnt vmcnt(0)
	v_cmp_eq_u64_e32 vcc, v[10:11], v[4:5]
	s_or_b64 s[0:1], vcc, s[0:1]
	v_mov_b64_e32 v[4:5], v[10:11]
	s_andn2_b64 exec, exec, s[0:1]
	s_cbranch_execnz .LBB3_277
.LBB3_278:
	s_or_b64 exec, exec, s[6:7]
	s_getpc_b64 s[0:1]
	s_add_u32 s0, s0, __FUNCTION__._ZL18flash_attn_ext_f16ILi64ELi64ELi32ELi1ELb1ELb0EEvPKcS1_S1_S1_S1_PKiPfP15HIP_vector_typeIfLj2EEffffjfiS5_IjLj3EEiiiiiiiiiiiliiliiiiil@rel32@lo+4
	s_addc_u32 s1, s1, __FUNCTION__._ZL18flash_attn_ext_f16ILi64ELi64ELi32ELi1ELb1ELb0EEvPKcS1_S1_S1_S1_PKiPfP15HIP_vector_typeIfLj2EEffffjfiS5_IjLj3EEiiiiiiiiiiiliiliiiiil@rel32@hi+12
	s_cmp_lg_u64 s[0:1], 0
	s_cselect_b32 s4, 19, 0
	v_mov_b32_e32 v2, s0
	v_mov_b32_e32 v3, s1
	;; [unrolled: 1-line block ×4, first 2 shown]
	s_getpc_b64 s[2:3]
	s_add_u32 s2, s2, __ockl_printf_append_string_n@rel32@lo+4
	s_addc_u32 s3, s3, __ockl_printf_append_string_n@rel32@hi+12
	s_mov_b64 s[20:21], s[8:9]
	s_swappc_b64 s[30:31], s[2:3]
	s_mov_b64 s[8:9], s[20:21]
	v_mov_b32_e32 v2, 0x514
	v_mov_b32_e32 v3, 0
	;; [unrolled: 1-line block ×3, first 2 shown]
	s_getpc_b64 s[0:1]
	s_add_u32 s0, s0, __ockl_printf_append_args@rel32@lo+4
	s_addc_u32 s1, s1, __ockl_printf_append_args@rel32@hi+12
	s_swappc_b64 s[30:31], s[0:1]
	s_trap 2
.Lfunc_end3:
	.size	_ZL14no_device_codePKciS0_iS0_, .Lfunc_end3-_ZL14no_device_codePKciS0_iS0_
                                        ; -- End function
	.section	.AMDGPU.csdata,"",@progbits
; Function info:
; codeLenInByte = 9536
; NumSgprs: 40
; NumVgprs: 39
; NumAgprs: 0
; TotalNumVgprs: 39
; ScratchSize: 16
; MemoryBound: 0
	.section	.text._ZL18flash_attn_ext_f16ILi64ELi64ELi32ELi1ELb1ELb0EEvPKcS1_S1_S1_S1_PKiPfP15HIP_vector_typeIfLj2EEffffjfiS5_IjLj3EEiiiiiiiiiiiliiliiiiil,"axG",@progbits,_ZL18flash_attn_ext_f16ILi64ELi64ELi32ELi1ELb1ELb0EEvPKcS1_S1_S1_S1_PKiPfP15HIP_vector_typeIfLj2EEffffjfiS5_IjLj3EEiiiiiiiiiiiliiliiiiil,comdat
	.globl	_ZL18flash_attn_ext_f16ILi64ELi64ELi32ELi1ELb1ELb0EEvPKcS1_S1_S1_S1_PKiPfP15HIP_vector_typeIfLj2EEffffjfiS5_IjLj3EEiiiiiiiiiiiliiliiiiil ; -- Begin function _ZL18flash_attn_ext_f16ILi64ELi64ELi32ELi1ELb1ELb0EEvPKcS1_S1_S1_S1_PKiPfP15HIP_vector_typeIfLj2EEffffjfiS5_IjLj3EEiiiiiiiiiiiliiliiiiil
	.p2align	8
	.type	_ZL18flash_attn_ext_f16ILi64ELi64ELi32ELi1ELb1ELb0EEvPKcS1_S1_S1_S1_PKiPfP15HIP_vector_typeIfLj2EEffffjfiS5_IjLj3EEiiiiiiiiiiiliiliiiiil,@function
_ZL18flash_attn_ext_f16ILi64ELi64ELi32ELi1ELb1ELb0EEvPKcS1_S1_S1_S1_PKiPfP15HIP_vector_typeIfLj2EEffffjfiS5_IjLj3EEiiiiiiiiiiiliiliiiiil: ; @_ZL18flash_attn_ext_f16ILi64ELi64ELi32ELi1ELb1ELb0EEvPKcS1_S1_S1_S1_PKiPfP15HIP_vector_typeIfLj2EEffffjfiS5_IjLj3EEiiiiiiiiiiiliiliiiiil
; %bb.0:
	s_add_u32 s8, s0, 0xd0
	s_addc_u32 s9, s1, 0
	s_mov_b32 s32, 0
	s_getpc_b64 s[0:1]
	s_add_u32 s0, s0, _ZL14no_device_codePKciS0_iS0_@rel32@lo+4
	s_addc_u32 s1, s1, _ZL14no_device_codePKciS0_iS0_@rel32@hi+12
	s_swappc_b64 s[30:31], s[0:1]
	.section	.rodata,"a",@progbits
	.p2align	6, 0x0
	.amdhsa_kernel _ZL18flash_attn_ext_f16ILi64ELi64ELi32ELi1ELb1ELb0EEvPKcS1_S1_S1_S1_PKiPfP15HIP_vector_typeIfLj2EEffffjfiS5_IjLj3EEiiiiiiiiiiiliiliiiiil
		.amdhsa_group_segment_fixed_size 0
		.amdhsa_private_segment_fixed_size 16
		.amdhsa_kernarg_size 464
		.amdhsa_user_sgpr_count 2
		.amdhsa_user_sgpr_dispatch_ptr 0
		.amdhsa_user_sgpr_queue_ptr 0
		.amdhsa_user_sgpr_kernarg_segment_ptr 1
		.amdhsa_user_sgpr_dispatch_id 0
		.amdhsa_user_sgpr_kernarg_preload_length 0
		.amdhsa_user_sgpr_kernarg_preload_offset 0
		.amdhsa_user_sgpr_private_segment_size 0
		.amdhsa_uses_dynamic_stack 0
		.amdhsa_enable_private_segment 1
		.amdhsa_system_sgpr_workgroup_id_x 1
		.amdhsa_system_sgpr_workgroup_id_y 0
		.amdhsa_system_sgpr_workgroup_id_z 0
		.amdhsa_system_sgpr_workgroup_info 0
		.amdhsa_system_vgpr_workitem_id 0
		.amdhsa_next_free_vgpr 39
		.amdhsa_next_free_sgpr 34
		.amdhsa_accum_offset 40
		.amdhsa_reserve_vcc 1
		.amdhsa_float_round_mode_32 0
		.amdhsa_float_round_mode_16_64 0
		.amdhsa_float_denorm_mode_32 3
		.amdhsa_float_denorm_mode_16_64 3
		.amdhsa_dx10_clamp 1
		.amdhsa_ieee_mode 1
		.amdhsa_fp16_overflow 0
		.amdhsa_tg_split 0
		.amdhsa_exception_fp_ieee_invalid_op 0
		.amdhsa_exception_fp_denorm_src 0
		.amdhsa_exception_fp_ieee_div_zero 0
		.amdhsa_exception_fp_ieee_overflow 0
		.amdhsa_exception_fp_ieee_underflow 0
		.amdhsa_exception_fp_ieee_inexact 0
		.amdhsa_exception_int_div_zero 0
	.end_amdhsa_kernel
	.section	.text._ZL18flash_attn_ext_f16ILi64ELi64ELi32ELi1ELb1ELb0EEvPKcS1_S1_S1_S1_PKiPfP15HIP_vector_typeIfLj2EEffffjfiS5_IjLj3EEiiiiiiiiiiiliiliiiiil,"axG",@progbits,_ZL18flash_attn_ext_f16ILi64ELi64ELi32ELi1ELb1ELb0EEvPKcS1_S1_S1_S1_PKiPfP15HIP_vector_typeIfLj2EEffffjfiS5_IjLj3EEiiiiiiiiiiiliiliiiiil,comdat
.Lfunc_end4:
	.size	_ZL18flash_attn_ext_f16ILi64ELi64ELi32ELi1ELb1ELb0EEvPKcS1_S1_S1_S1_PKiPfP15HIP_vector_typeIfLj2EEffffjfiS5_IjLj3EEiiiiiiiiiiiliiliiiiil, .Lfunc_end4-_ZL18flash_attn_ext_f16ILi64ELi64ELi32ELi1ELb1ELb0EEvPKcS1_S1_S1_S1_PKiPfP15HIP_vector_typeIfLj2EEffffjfiS5_IjLj3EEiiiiiiiiiiiliiliiiiil
                                        ; -- End function
	.section	.AMDGPU.csdata,"",@progbits
; Kernel info:
; codeLenInByte = 40
; NumSgprs: 40
; NumVgprs: 39
; NumAgprs: 0
; TotalNumVgprs: 39
; ScratchSize: 16
; MemoryBound: 0
; FloatMode: 240
; IeeeMode: 1
; LDSByteSize: 0 bytes/workgroup (compile time only)
; SGPRBlocks: 4
; VGPRBlocks: 4
; NumSGPRsForWavesPerEU: 40
; NumVGPRsForWavesPerEU: 39
; AccumOffset: 40
; Occupancy: 8
; WaveLimiterHint : 1
; COMPUTE_PGM_RSRC2:SCRATCH_EN: 1
; COMPUTE_PGM_RSRC2:USER_SGPR: 2
; COMPUTE_PGM_RSRC2:TRAP_HANDLER: 0
; COMPUTE_PGM_RSRC2:TGID_X_EN: 1
; COMPUTE_PGM_RSRC2:TGID_Y_EN: 0
; COMPUTE_PGM_RSRC2:TGID_Z_EN: 0
; COMPUTE_PGM_RSRC2:TIDIG_COMP_CNT: 0
; COMPUTE_PGM_RSRC3_GFX90A:ACCUM_OFFSET: 9
; COMPUTE_PGM_RSRC3_GFX90A:TG_SPLIT: 0
	.section	.text._ZL25flash_attn_mask_to_KV_maxILi32EEvPK7__half2Piiii,"axG",@progbits,_ZL25flash_attn_mask_to_KV_maxILi32EEvPK7__half2Piiii,comdat
	.globl	_ZL25flash_attn_mask_to_KV_maxILi32EEvPK7__half2Piiii ; -- Begin function _ZL25flash_attn_mask_to_KV_maxILi32EEvPK7__half2Piiii
	.p2align	8
	.type	_ZL25flash_attn_mask_to_KV_maxILi32EEvPK7__half2Piiii,@function
_ZL25flash_attn_mask_to_KV_maxILi32EEvPK7__half2Piiii: ; @_ZL25flash_attn_mask_to_KV_maxILi32EEvPK7__half2Piiii
; %bb.0:
	s_load_dwordx4 s[4:7], s[0:1], 0x0
	v_cmp_gt_u32_e32 vcc, 32, v0
	s_and_saveexec_b64 s[8:9], vcc
	s_cbranch_execz .LBB5_2
; %bb.1:
	v_lshlrev_b32_e32 v1, 2, v0
	v_mov_b32_e32 v2, 1
	ds_write_b32 v1, v2
.LBB5_2:
	s_or_b64 exec, exec, s[8:9]
	s_load_dwordx4 s[8:11], s[0:1], 0x10
	s_load_dword s33, s[0:1], 0x20
	v_and_b32_e32 v2, 31, v0
	v_lshlrev_b32_e32 v6, 2, v2
	v_lshrrev_b32_e32 v1, 3, v0
	s_waitcnt lgkmcnt(0)
	s_mul_i32 s1, s2, s9
	s_mul_i32 s0, s3, s10
	s_lshl_b32 s1, s1, 5
	s_add_i32 s0, s0, s1
	s_ashr_i32 s1, s0, 31
	s_lshl_b64 s[0:1], s[0:1], 2
	s_add_u32 s10, s4, s0
	s_addc_u32 s11, s5, s1
	v_cmp_eq_u32_e64 s[0:1], 0, v2
	v_mbcnt_lo_u32_b32 v2, -1, 0
	s_lshl_b32 s8, s8, 8
	s_mov_b64 s[12:13], 0
	v_mov_b32_e32 v3, 0
	s_movk_i32 s98, 0x204
	s_movk_i32 s99, 0x7fff
	;; [unrolled: 1-line block ×3, first 2 shown]
	v_mbcnt_hi_u32_b32 v7, -1, v2
	s_barrier
	s_waitcnt lgkmcnt(0)
                                        ; implicit-def: $sgpr4_sgpr5
	s_branch .LBB5_5
.LBB5_3:                                ;   in Loop: Header=BB5_5 Depth=1
	s_or_b64 exec, exec, s[14:15]
	s_waitcnt lgkmcnt(0)
	s_barrier
	ds_read_b32 v10, v6
	s_waitcnt lgkmcnt(0)
	s_barrier
	ds_bpermute_b32 v2, v2, v10
	v_cmp_ne_u32_e32 vcc, 0, v10
	s_waitcnt lgkmcnt(0)
	v_cmp_ne_u32_e64 s[4:5], 0, v2
	s_and_b64 s[4:5], vcc, s[4:5]
	s_nop 0
	v_cndmask_b32_e64 v2, 0, 1, s[4:5]
	ds_bpermute_b32 v2, v4, v2
	s_waitcnt lgkmcnt(0)
	v_cmp_ne_u32_e32 vcc, 0, v2
	s_and_b64 s[4:5], vcc, s[4:5]
	v_cndmask_b32_e64 v2, 0, 1, s[4:5]
	ds_bpermute_b32 v2, v5, v2
	s_waitcnt lgkmcnt(0)
	v_cmp_ne_u32_e32 vcc, 0, v2
	s_and_b64 s[4:5], vcc, s[4:5]
	;; [unrolled: 5-line block ×3, first 2 shown]
	v_cndmask_b32_e64 v2, 0, 1, s[4:5]
	ds_bpermute_b32 v2, v9, v2
	s_xor_b64 s[4:5], s[4:5], -1
	s_waitcnt lgkmcnt(0)
	v_cmp_eq_u32_e32 vcc, 0, v2
	s_or_b64 s[4:5], vcc, s[4:5]
.LBB5_4:                                ;   in Loop: Header=BB5_5 Depth=1
	s_and_b64 s[14:15], exec, s[4:5]
	s_or_b64 s[12:13], s[14:15], s[12:13]
	v_mov_b32_e32 v2, s8
	s_mov_b32 s8, s97
	s_andn2_b64 exec, exec, s[12:13]
	s_cbranch_execz .LBB5_132
.LBB5_5:                                ; =>This Inner Loop Header: Depth=1
	s_add_i32 s97, s8, 0xffffff00
	s_or_b64 s[4:5], s[4:5], exec
	s_cmp_lt_i32 s97, 0
	s_cbranch_scc1 .LBB5_4
; %bb.6:                                ;   in Loop: Header=BB5_5 Depth=1
	s_lshr_b32 s4, s97, 1
	v_add_u32_e32 v2, s4, v0
	v_lshl_add_u64 v[4:5], v[2:3], 2, s[10:11]
	global_load_dword v4, v[4:5], off
	s_mov_b64 s[14:15], 0
	s_waitcnt vmcnt(0)
	v_cmp_class_f16_e64 s[4:5], v4, s98
	v_and_b32_sdwa v4, s99, v4 dst_sel:DWORD dst_unused:UNUSED_PAD src0_sel:DWORD src1_sel:WORD_1
	v_cmp_eq_f16_e32 vcc, s96, v4
	s_and_b64 s[16:17], s[4:5], vcc
	s_and_saveexec_b64 s[4:5], s[16:17]
	s_cbranch_execz .LBB5_130
; %bb.7:                                ;   in Loop: Header=BB5_5 Depth=1
	v_add_u32_e32 v4, s9, v2
	v_ashrrev_i32_e32 v5, 31, v4
	v_lshl_add_u64 v[8:9], v[4:5], 2, s[10:11]
	global_load_dword v2, v[8:9], off
	s_mov_b64 s[16:17], 0
	s_waitcnt vmcnt(0)
	v_cmp_class_f16_e64 s[18:19], v2, s98
	s_and_saveexec_b64 s[14:15], s[18:19]
	s_cbranch_execz .LBB5_129
; %bb.8:                                ;   in Loop: Header=BB5_5 Depth=1
	v_cmp_class_f16_sdwa s[20:21], v2, s98 src0_sel:WORD_1 src1_sel:DWORD
	s_mov_b64 s[18:19], 0
	s_and_saveexec_b64 s[16:17], s[20:21]
	s_cbranch_execz .LBB5_128
; %bb.9:                                ;   in Loop: Header=BB5_5 Depth=1
	v_add_u32_e32 v4, s9, v4
	v_ashrrev_i32_e32 v5, 31, v4
	v_lshl_add_u64 v[8:9], v[4:5], 2, s[10:11]
	global_load_dword v2, v[8:9], off
	s_mov_b64 s[20:21], 0
	s_waitcnt vmcnt(0)
	v_cmp_class_f16_e64 s[22:23], v2, s98
	s_and_saveexec_b64 s[18:19], s[22:23]
	s_cbranch_execz .LBB5_127
; %bb.10:                               ;   in Loop: Header=BB5_5 Depth=1
	v_cmp_class_f16_sdwa s[24:25], v2, s98 src0_sel:WORD_1 src1_sel:DWORD
	s_mov_b64 s[22:23], 0
	s_and_saveexec_b64 s[20:21], s[24:25]
	s_cbranch_execz .LBB5_126
; %bb.11:                               ;   in Loop: Header=BB5_5 Depth=1
	v_add_u32_e32 v4, s9, v4
	v_ashrrev_i32_e32 v5, 31, v4
	v_lshl_add_u64 v[8:9], v[4:5], 2, s[10:11]
	global_load_dword v2, v[8:9], off
	s_mov_b64 s[24:25], 0
	s_waitcnt vmcnt(0)
	v_cmp_class_f16_e64 s[26:27], v2, s98
	s_and_saveexec_b64 s[22:23], s[26:27]
	s_cbranch_execz .LBB5_125
; %bb.12:                               ;   in Loop: Header=BB5_5 Depth=1
	v_cmp_class_f16_sdwa s[28:29], v2, s98 src0_sel:WORD_1 src1_sel:DWORD
	s_mov_b64 s[26:27], 0
	s_and_saveexec_b64 s[24:25], s[28:29]
	s_cbranch_execz .LBB5_124
; %bb.13:                               ;   in Loop: Header=BB5_5 Depth=1
	v_add_u32_e32 v4, s9, v4
	v_ashrrev_i32_e32 v5, 31, v4
	v_lshl_add_u64 v[8:9], v[4:5], 2, s[10:11]
	global_load_dword v2, v[8:9], off
	s_mov_b64 s[28:29], 0
	s_waitcnt vmcnt(0)
	v_cmp_class_f16_e64 s[30:31], v2, s98
	s_and_saveexec_b64 s[26:27], s[30:31]
	s_cbranch_execz .LBB5_123
; %bb.14:                               ;   in Loop: Header=BB5_5 Depth=1
	v_cmp_class_f16_sdwa s[34:35], v2, s98 src0_sel:WORD_1 src1_sel:DWORD
	s_mov_b64 s[30:31], 0
	s_and_saveexec_b64 s[28:29], s[34:35]
	s_cbranch_execz .LBB5_122
; %bb.15:                               ;   in Loop: Header=BB5_5 Depth=1
	v_add_u32_e32 v4, s9, v4
	v_ashrrev_i32_e32 v5, 31, v4
	v_lshl_add_u64 v[8:9], v[4:5], 2, s[10:11]
	global_load_dword v2, v[8:9], off
	s_mov_b64 s[34:35], 0
	s_waitcnt vmcnt(0)
	v_cmp_class_f16_e64 s[36:37], v2, s98
	s_and_saveexec_b64 s[30:31], s[36:37]
	s_cbranch_execz .LBB5_121
; %bb.16:                               ;   in Loop: Header=BB5_5 Depth=1
	v_cmp_class_f16_sdwa s[38:39], v2, s98 src0_sel:WORD_1 src1_sel:DWORD
	s_mov_b64 s[36:37], 0
	s_and_saveexec_b64 s[34:35], s[38:39]
	s_cbranch_execz .LBB5_120
; %bb.17:                               ;   in Loop: Header=BB5_5 Depth=1
	v_add_u32_e32 v4, s9, v4
	v_ashrrev_i32_e32 v5, 31, v4
	v_lshl_add_u64 v[8:9], v[4:5], 2, s[10:11]
	global_load_dword v2, v[8:9], off
	s_mov_b64 s[38:39], 0
	s_waitcnt vmcnt(0)
	v_cmp_class_f16_e64 s[40:41], v2, s98
	s_and_saveexec_b64 s[36:37], s[40:41]
	s_cbranch_execz .LBB5_119
; %bb.18:                               ;   in Loop: Header=BB5_5 Depth=1
	v_cmp_class_f16_sdwa s[42:43], v2, s98 src0_sel:WORD_1 src1_sel:DWORD
	s_mov_b64 s[40:41], 0
	s_and_saveexec_b64 s[38:39], s[42:43]
	s_cbranch_execz .LBB5_118
; %bb.19:                               ;   in Loop: Header=BB5_5 Depth=1
	v_add_u32_e32 v4, s9, v4
	v_ashrrev_i32_e32 v5, 31, v4
	v_lshl_add_u64 v[8:9], v[4:5], 2, s[10:11]
	global_load_dword v2, v[8:9], off
	s_mov_b64 s[42:43], 0
	s_waitcnt vmcnt(0)
	v_cmp_class_f16_e64 s[44:45], v2, s98
	s_and_saveexec_b64 s[40:41], s[44:45]
	s_cbranch_execz .LBB5_117
; %bb.20:                               ;   in Loop: Header=BB5_5 Depth=1
	v_cmp_class_f16_sdwa s[46:47], v2, s98 src0_sel:WORD_1 src1_sel:DWORD
	s_mov_b64 s[44:45], 0
	s_and_saveexec_b64 s[42:43], s[46:47]
	s_cbranch_execz .LBB5_116
; %bb.21:                               ;   in Loop: Header=BB5_5 Depth=1
	v_add_u32_e32 v4, s9, v4
	v_ashrrev_i32_e32 v5, 31, v4
	v_lshl_add_u64 v[8:9], v[4:5], 2, s[10:11]
	global_load_dword v2, v[8:9], off
	s_mov_b64 s[46:47], 0
	s_waitcnt vmcnt(0)
	v_cmp_class_f16_e64 s[48:49], v2, s98
	s_and_saveexec_b64 s[44:45], s[48:49]
	s_cbranch_execz .LBB5_115
; %bb.22:                               ;   in Loop: Header=BB5_5 Depth=1
	v_cmp_class_f16_sdwa s[50:51], v2, s98 src0_sel:WORD_1 src1_sel:DWORD
	s_mov_b64 s[48:49], 0
	s_and_saveexec_b64 s[46:47], s[50:51]
	s_cbranch_execz .LBB5_114
; %bb.23:                               ;   in Loop: Header=BB5_5 Depth=1
	v_add_u32_e32 v4, s9, v4
	v_ashrrev_i32_e32 v5, 31, v4
	v_lshl_add_u64 v[8:9], v[4:5], 2, s[10:11]
	global_load_dword v2, v[8:9], off
	s_mov_b64 s[50:51], 0
	s_waitcnt vmcnt(0)
	v_cmp_class_f16_e64 s[52:53], v2, s98
	s_and_saveexec_b64 s[48:49], s[52:53]
	s_cbranch_execz .LBB5_113
; %bb.24:                               ;   in Loop: Header=BB5_5 Depth=1
	v_cmp_class_f16_sdwa s[54:55], v2, s98 src0_sel:WORD_1 src1_sel:DWORD
	s_mov_b64 s[52:53], 0
	s_and_saveexec_b64 s[50:51], s[54:55]
	s_cbranch_execz .LBB5_112
; %bb.25:                               ;   in Loop: Header=BB5_5 Depth=1
	v_add_u32_e32 v4, s9, v4
	v_ashrrev_i32_e32 v5, 31, v4
	v_lshl_add_u64 v[8:9], v[4:5], 2, s[10:11]
	global_load_dword v2, v[8:9], off
	s_mov_b64 s[54:55], 0
	s_waitcnt vmcnt(0)
	v_cmp_class_f16_e64 s[56:57], v2, s98
	s_and_saveexec_b64 s[52:53], s[56:57]
	s_cbranch_execz .LBB5_111
; %bb.26:                               ;   in Loop: Header=BB5_5 Depth=1
	v_cmp_class_f16_sdwa s[58:59], v2, s98 src0_sel:WORD_1 src1_sel:DWORD
	s_mov_b64 s[56:57], 0
	s_and_saveexec_b64 s[54:55], s[58:59]
	s_cbranch_execz .LBB5_110
; %bb.27:                               ;   in Loop: Header=BB5_5 Depth=1
	v_add_u32_e32 v4, s9, v4
	v_ashrrev_i32_e32 v5, 31, v4
	v_lshl_add_u64 v[8:9], v[4:5], 2, s[10:11]
	global_load_dword v2, v[8:9], off
	s_mov_b64 s[58:59], 0
	s_waitcnt vmcnt(0)
	v_cmp_class_f16_e64 s[60:61], v2, s98
	s_and_saveexec_b64 s[56:57], s[60:61]
	s_cbranch_execz .LBB5_109
; %bb.28:                               ;   in Loop: Header=BB5_5 Depth=1
	v_cmp_class_f16_sdwa s[62:63], v2, s98 src0_sel:WORD_1 src1_sel:DWORD
	s_mov_b64 s[60:61], 0
	s_and_saveexec_b64 s[58:59], s[62:63]
	s_cbranch_execz .LBB5_108
; %bb.29:                               ;   in Loop: Header=BB5_5 Depth=1
	v_add_u32_e32 v4, s9, v4
	v_ashrrev_i32_e32 v5, 31, v4
	v_lshl_add_u64 v[8:9], v[4:5], 2, s[10:11]
	global_load_dword v2, v[8:9], off
	s_mov_b64 s[62:63], 0
	s_waitcnt vmcnt(0)
	v_cmp_class_f16_e64 s[64:65], v2, s98
	s_and_saveexec_b64 s[60:61], s[64:65]
	s_cbranch_execz .LBB5_107
; %bb.30:                               ;   in Loop: Header=BB5_5 Depth=1
	v_cmp_class_f16_sdwa s[66:67], v2, s98 src0_sel:WORD_1 src1_sel:DWORD
	s_mov_b64 s[64:65], 0
	s_and_saveexec_b64 s[62:63], s[66:67]
	s_cbranch_execz .LBB5_106
; %bb.31:                               ;   in Loop: Header=BB5_5 Depth=1
	v_add_u32_e32 v4, s9, v4
	v_ashrrev_i32_e32 v5, 31, v4
	v_lshl_add_u64 v[8:9], v[4:5], 2, s[10:11]
	global_load_dword v2, v[8:9], off
	s_mov_b64 s[66:67], 0
	s_waitcnt vmcnt(0)
	v_cmp_class_f16_e64 s[68:69], v2, s98
	s_and_saveexec_b64 s[64:65], s[68:69]
	s_cbranch_execz .LBB5_105
; %bb.32:                               ;   in Loop: Header=BB5_5 Depth=1
	v_cmp_class_f16_sdwa s[70:71], v2, s98 src0_sel:WORD_1 src1_sel:DWORD
	s_mov_b64 s[68:69], 0
	s_and_saveexec_b64 s[66:67], s[70:71]
	s_cbranch_execz .LBB5_104
; %bb.33:                               ;   in Loop: Header=BB5_5 Depth=1
	v_add_u32_e32 v4, s9, v4
	v_ashrrev_i32_e32 v5, 31, v4
	v_lshl_add_u64 v[8:9], v[4:5], 2, s[10:11]
	global_load_dword v2, v[8:9], off
	s_mov_b64 s[70:71], 0
	s_waitcnt vmcnt(0)
	v_cmp_class_f16_e64 s[72:73], v2, s98
	s_and_saveexec_b64 s[68:69], s[72:73]
	s_cbranch_execz .LBB5_103
; %bb.34:                               ;   in Loop: Header=BB5_5 Depth=1
	v_cmp_class_f16_sdwa s[74:75], v2, s98 src0_sel:WORD_1 src1_sel:DWORD
	s_mov_b64 s[72:73], 0
	s_and_saveexec_b64 s[70:71], s[74:75]
	s_cbranch_execz .LBB5_102
; %bb.35:                               ;   in Loop: Header=BB5_5 Depth=1
	v_add_u32_e32 v4, s9, v4
	v_ashrrev_i32_e32 v5, 31, v4
	v_lshl_add_u64 v[8:9], v[4:5], 2, s[10:11]
	global_load_dword v2, v[8:9], off
	s_mov_b64 s[74:75], 0
	s_waitcnt vmcnt(0)
	v_cmp_class_f16_e64 s[76:77], v2, s98
	s_and_saveexec_b64 s[72:73], s[76:77]
	s_cbranch_execz .LBB5_101
; %bb.36:                               ;   in Loop: Header=BB5_5 Depth=1
	v_cmp_class_f16_sdwa s[78:79], v2, s98 src0_sel:WORD_1 src1_sel:DWORD
	s_mov_b64 s[76:77], 0
	s_and_saveexec_b64 s[74:75], s[78:79]
	s_cbranch_execz .LBB5_100
; %bb.37:                               ;   in Loop: Header=BB5_5 Depth=1
	v_add_u32_e32 v4, s9, v4
	v_ashrrev_i32_e32 v5, 31, v4
	v_lshl_add_u64 v[8:9], v[4:5], 2, s[10:11]
	global_load_dword v2, v[8:9], off
	s_mov_b64 s[78:79], 0
	s_waitcnt vmcnt(0)
	v_cmp_class_f16_e64 s[80:81], v2, s98
	s_and_saveexec_b64 s[76:77], s[80:81]
	s_cbranch_execz .LBB5_99
; %bb.38:                               ;   in Loop: Header=BB5_5 Depth=1
	v_cmp_class_f16_sdwa s[82:83], v2, s98 src0_sel:WORD_1 src1_sel:DWORD
	s_mov_b64 s[80:81], 0
	s_and_saveexec_b64 s[78:79], s[82:83]
	s_cbranch_execz .LBB5_98
; %bb.39:                               ;   in Loop: Header=BB5_5 Depth=1
	v_add_u32_e32 v4, s9, v4
	v_ashrrev_i32_e32 v5, 31, v4
	v_lshl_add_u64 v[8:9], v[4:5], 2, s[10:11]
	global_load_dword v2, v[8:9], off
	s_mov_b64 s[82:83], 0
	s_waitcnt vmcnt(0)
	v_cmp_class_f16_e64 s[84:85], v2, s98
	s_and_saveexec_b64 s[80:81], s[84:85]
	s_cbranch_execz .LBB5_97
; %bb.40:                               ;   in Loop: Header=BB5_5 Depth=1
	v_cmp_class_f16_sdwa s[86:87], v2, s98 src0_sel:WORD_1 src1_sel:DWORD
	s_mov_b64 s[84:85], 0
	s_and_saveexec_b64 s[82:83], s[86:87]
	s_cbranch_execz .LBB5_96
; %bb.41:                               ;   in Loop: Header=BB5_5 Depth=1
	v_add_u32_e32 v4, s9, v4
	v_ashrrev_i32_e32 v5, 31, v4
	v_lshl_add_u64 v[8:9], v[4:5], 2, s[10:11]
	global_load_dword v2, v[8:9], off
	s_mov_b64 s[86:87], 0
	s_waitcnt vmcnt(0)
	v_cmp_class_f16_e64 s[88:89], v2, s98
	s_and_saveexec_b64 s[84:85], s[88:89]
	s_cbranch_execz .LBB5_95
; %bb.42:                               ;   in Loop: Header=BB5_5 Depth=1
	v_cmp_class_f16_sdwa s[90:91], v2, s98 src0_sel:WORD_1 src1_sel:DWORD
	s_mov_b64 s[88:89], 0
	s_and_saveexec_b64 s[86:87], s[90:91]
	s_cbranch_execz .LBB5_94
; %bb.43:                               ;   in Loop: Header=BB5_5 Depth=1
	v_add_u32_e32 v4, s9, v4
	v_ashrrev_i32_e32 v5, 31, v4
	v_lshl_add_u64 v[8:9], v[4:5], 2, s[10:11]
	global_load_dword v2, v[8:9], off
	s_mov_b64 s[90:91], 0
	s_waitcnt vmcnt(0)
	v_cmp_class_f16_e64 s[92:93], v2, s98
	s_and_saveexec_b64 s[88:89], s[92:93]
	s_cbranch_execz .LBB5_93
; %bb.44:                               ;   in Loop: Header=BB5_5 Depth=1
	v_cmp_class_f16_sdwa s[94:95], v2, s98 src0_sel:WORD_1 src1_sel:DWORD
	s_mov_b64 s[92:93], 0
	s_and_saveexec_b64 s[90:91], s[94:95]
	s_cbranch_execz .LBB5_92
; %bb.45:                               ;   in Loop: Header=BB5_5 Depth=1
	v_add_u32_e32 v4, s9, v4
	v_ashrrev_i32_e32 v5, 31, v4
	v_lshl_add_u64 v[8:9], v[4:5], 2, s[10:11]
	global_load_dword v2, v[8:9], off
	s_mov_b64 s[94:95], 0
	s_waitcnt vmcnt(0)
	v_cmp_class_f16_e64 vcc, v2, s98
	s_mov_b64 s[92:93], exec
                                        ; implicit-def: $vgpr12 : SGPR spill to VGPR lane
	v_writelane_b32 v12, s92, 0
	s_and_b64 vcc, s[92:93], vcc
	s_nop 0
	v_writelane_b32 v12, s93, 1
	s_mov_b64 exec, vcc
	s_cbranch_execz .LBB5_91
; %bb.46:                               ;   in Loop: Header=BB5_5 Depth=1
	v_cmp_class_f16_sdwa s[94:95], v2, s98 src0_sel:WORD_1 src1_sel:DWORD
	s_mov_b64 vcc, 0
	s_mov_b64 s[92:93], exec
	v_writelane_b32 v12, s92, 2
	s_and_b64 s[94:95], s[92:93], s[94:95]
	s_nop 0
	v_writelane_b32 v12, s93, 3
	s_mov_b64 exec, s[94:95]
	s_cbranch_execz .LBB5_90
; %bb.47:                               ;   in Loop: Header=BB5_5 Depth=1
	v_add_u32_e32 v4, s9, v4
	v_ashrrev_i32_e32 v5, 31, v4
	v_lshl_add_u64 v[8:9], v[4:5], 2, s[10:11]
	global_load_dword v2, v[8:9], off
	s_waitcnt vmcnt(0)
	v_cmp_class_f16_e64 s[94:95], v2, s98
	s_mov_b64 s[92:93], exec
	v_writelane_b32 v12, s92, 4
	s_and_b64 s[94:95], s[92:93], s[94:95]
	s_nop 0
	v_writelane_b32 v12, s93, 5
	s_mov_b64 exec, s[94:95]
	s_cbranch_execz .LBB5_89
; %bb.48:                               ;   in Loop: Header=BB5_5 Depth=1
	v_cmp_class_f16_sdwa s[94:95], v2, s98 src0_sel:WORD_1 src1_sel:DWORD
	s_mov_b64 vcc, 0
	s_mov_b64 s[92:93], exec
	v_writelane_b32 v12, s92, 6
	s_and_b64 s[94:95], s[92:93], s[94:95]
	s_nop 0
	v_writelane_b32 v12, s93, 7
	s_mov_b64 exec, s[94:95]
	s_cbranch_execz .LBB5_88
; %bb.49:                               ;   in Loop: Header=BB5_5 Depth=1
	v_add_u32_e32 v4, s9, v4
	v_ashrrev_i32_e32 v5, 31, v4
	v_lshl_add_u64 v[8:9], v[4:5], 2, s[10:11]
	global_load_dword v2, v[8:9], off
	s_waitcnt vmcnt(0)
	v_cmp_class_f16_e64 s[94:95], v2, s98
	s_mov_b64 s[92:93], exec
	v_writelane_b32 v12, s92, 8
	s_and_b64 s[94:95], s[92:93], s[94:95]
	s_nop 0
	v_writelane_b32 v12, s93, 9
	s_mov_b64 exec, s[94:95]
	;; [unrolled: 24-line block ×10, first 2 shown]
	s_cbranch_execz .LBB5_71
; %bb.66:                               ;   in Loop: Header=BB5_5 Depth=1
	v_cmp_class_f16_sdwa s[94:95], v2, s98 src0_sel:WORD_1 src1_sel:DWORD
	s_mov_b64 vcc, 0
	s_mov_b64 s[92:93], exec
	v_writelane_b32 v12, s92, 42
	s_and_b64 s[94:95], s[92:93], s[94:95]
	s_nop 0
	v_writelane_b32 v12, s93, 43
	s_mov_b64 exec, s[94:95]
	s_cbranch_execz .LBB5_70
; %bb.67:                               ;   in Loop: Header=BB5_5 Depth=1
	v_add_u32_e32 v4, s9, v4
	v_ashrrev_i32_e32 v5, 31, v4
	v_lshl_add_u64 v[4:5], v[4:5], 2, s[10:11]
	global_load_dword v2, v[4:5], off
	s_waitcnt vmcnt(0)
	v_cmp_class_f16_e64 s[94:95], v2, s98
	s_and_saveexec_b64 s[92:93], s[94:95]
; %bb.68:                               ;   in Loop: Header=BB5_5 Depth=1
	v_cmp_class_f16_sdwa s[94:95], v2, s98 src0_sel:WORD_1 src1_sel:DWORD
	s_and_b64 vcc, s[94:95], exec
; %bb.69:                               ;   in Loop: Header=BB5_5 Depth=1
	s_or_b64 exec, exec, s[92:93]
	s_and_b64 vcc, vcc, exec
.LBB5_70:                               ;   in Loop: Header=BB5_5 Depth=1
	v_readlane_b32 s94, v12, 42
	v_readlane_b32 s95, v12, 43
	s_or_b64 exec, exec, s[94:95]
	s_and_b64 vcc, vcc, exec
.LBB5_71:                               ;   in Loop: Header=BB5_5 Depth=1
	v_readlane_b32 s92, v12, 40
	v_readlane_b32 s93, v12, 41
	s_or_b64 exec, exec, s[92:93]
	s_and_b64 vcc, vcc, exec
.LBB5_72:                               ;   in Loop: Header=BB5_5 Depth=1
	v_readlane_b32 s94, v12, 38
	v_readlane_b32 s95, v12, 39
	s_or_b64 exec, exec, s[94:95]
	s_and_b64 vcc, vcc, exec
.LBB5_73:                               ;   in Loop: Header=BB5_5 Depth=1
	v_readlane_b32 s92, v12, 36
	v_readlane_b32 s93, v12, 37
	s_or_b64 exec, exec, s[92:93]
	s_and_b64 vcc, vcc, exec
.LBB5_74:                               ;   in Loop: Header=BB5_5 Depth=1
	v_readlane_b32 s94, v12, 34
	v_readlane_b32 s95, v12, 35
	s_or_b64 exec, exec, s[94:95]
	s_and_b64 vcc, vcc, exec
.LBB5_75:                               ;   in Loop: Header=BB5_5 Depth=1
	v_readlane_b32 s92, v12, 32
	v_readlane_b32 s93, v12, 33
	s_or_b64 exec, exec, s[92:93]
	s_and_b64 vcc, vcc, exec
.LBB5_76:                               ;   in Loop: Header=BB5_5 Depth=1
	v_readlane_b32 s94, v12, 30
	v_readlane_b32 s95, v12, 31
	s_or_b64 exec, exec, s[94:95]
	s_and_b64 vcc, vcc, exec
.LBB5_77:                               ;   in Loop: Header=BB5_5 Depth=1
	v_readlane_b32 s92, v12, 28
	v_readlane_b32 s93, v12, 29
	s_or_b64 exec, exec, s[92:93]
	s_and_b64 vcc, vcc, exec
.LBB5_78:                               ;   in Loop: Header=BB5_5 Depth=1
	v_readlane_b32 s94, v12, 26
	v_readlane_b32 s95, v12, 27
	s_or_b64 exec, exec, s[94:95]
	s_and_b64 vcc, vcc, exec
.LBB5_79:                               ;   in Loop: Header=BB5_5 Depth=1
	v_readlane_b32 s92, v12, 24
	v_readlane_b32 s93, v12, 25
	s_or_b64 exec, exec, s[92:93]
	s_and_b64 vcc, vcc, exec
.LBB5_80:                               ;   in Loop: Header=BB5_5 Depth=1
	v_readlane_b32 s94, v12, 22
	v_readlane_b32 s95, v12, 23
	s_or_b64 exec, exec, s[94:95]
	s_and_b64 vcc, vcc, exec
.LBB5_81:                               ;   in Loop: Header=BB5_5 Depth=1
	v_readlane_b32 s92, v12, 20
	v_readlane_b32 s93, v12, 21
	s_or_b64 exec, exec, s[92:93]
	s_and_b64 vcc, vcc, exec
.LBB5_82:                               ;   in Loop: Header=BB5_5 Depth=1
	v_readlane_b32 s94, v12, 18
	v_readlane_b32 s95, v12, 19
	s_or_b64 exec, exec, s[94:95]
	s_and_b64 vcc, vcc, exec
.LBB5_83:                               ;   in Loop: Header=BB5_5 Depth=1
	v_readlane_b32 s92, v12, 16
	v_readlane_b32 s93, v12, 17
	s_or_b64 exec, exec, s[92:93]
	s_and_b64 vcc, vcc, exec
.LBB5_84:                               ;   in Loop: Header=BB5_5 Depth=1
	v_readlane_b32 s94, v12, 14
	v_readlane_b32 s95, v12, 15
	s_or_b64 exec, exec, s[94:95]
	s_and_b64 vcc, vcc, exec
.LBB5_85:                               ;   in Loop: Header=BB5_5 Depth=1
	v_readlane_b32 s92, v12, 12
	v_readlane_b32 s93, v12, 13
	s_or_b64 exec, exec, s[92:93]
	s_and_b64 vcc, vcc, exec
.LBB5_86:                               ;   in Loop: Header=BB5_5 Depth=1
	v_readlane_b32 s94, v12, 10
	v_readlane_b32 s95, v12, 11
	s_or_b64 exec, exec, s[94:95]
	s_and_b64 vcc, vcc, exec
.LBB5_87:                               ;   in Loop: Header=BB5_5 Depth=1
	v_readlane_b32 s92, v12, 8
	v_readlane_b32 s93, v12, 9
	s_or_b64 exec, exec, s[92:93]
	s_and_b64 vcc, vcc, exec
.LBB5_88:                               ;   in Loop: Header=BB5_5 Depth=1
	v_readlane_b32 s94, v12, 6
	v_readlane_b32 s95, v12, 7
	s_or_b64 exec, exec, s[94:95]
	s_and_b64 vcc, vcc, exec
.LBB5_89:                               ;   in Loop: Header=BB5_5 Depth=1
	v_readlane_b32 s92, v12, 4
	v_readlane_b32 s93, v12, 5
	s_or_b64 exec, exec, s[92:93]
	s_and_b64 vcc, vcc, exec
.LBB5_90:                               ;   in Loop: Header=BB5_5 Depth=1
	v_readlane_b32 s94, v12, 2
	v_readlane_b32 s95, v12, 3
	s_or_b64 exec, exec, s[94:95]
	s_and_b64 s[94:95], vcc, exec
.LBB5_91:                               ;   in Loop: Header=BB5_5 Depth=1
	v_readlane_b32 s92, v12, 0
	v_readlane_b32 s93, v12, 1
	s_or_b64 exec, exec, s[92:93]
	s_and_b64 s[92:93], s[94:95], exec
.LBB5_92:                               ;   in Loop: Header=BB5_5 Depth=1
	s_or_b64 exec, exec, s[90:91]
	s_and_b64 s[90:91], s[92:93], exec
.LBB5_93:                               ;   in Loop: Header=BB5_5 Depth=1
	s_or_b64 exec, exec, s[88:89]
	s_and_b64 s[88:89], s[90:91], exec
.LBB5_94:                               ;   in Loop: Header=BB5_5 Depth=1
	s_or_b64 exec, exec, s[86:87]
	s_and_b64 s[86:87], s[88:89], exec
.LBB5_95:                               ;   in Loop: Header=BB5_5 Depth=1
	s_or_b64 exec, exec, s[84:85]
	s_and_b64 s[84:85], s[86:87], exec
.LBB5_96:                               ;   in Loop: Header=BB5_5 Depth=1
	s_or_b64 exec, exec, s[82:83]
	s_and_b64 s[82:83], s[84:85], exec
.LBB5_97:                               ;   in Loop: Header=BB5_5 Depth=1
	s_or_b64 exec, exec, s[80:81]
	s_and_b64 s[80:81], s[82:83], exec
.LBB5_98:                               ;   in Loop: Header=BB5_5 Depth=1
	s_or_b64 exec, exec, s[78:79]
	s_and_b64 s[78:79], s[80:81], exec
.LBB5_99:                               ;   in Loop: Header=BB5_5 Depth=1
	s_or_b64 exec, exec, s[76:77]
	s_and_b64 s[76:77], s[78:79], exec
.LBB5_100:                              ;   in Loop: Header=BB5_5 Depth=1
	s_or_b64 exec, exec, s[74:75]
	s_and_b64 s[74:75], s[76:77], exec
.LBB5_101:                              ;   in Loop: Header=BB5_5 Depth=1
	s_or_b64 exec, exec, s[72:73]
	s_and_b64 s[72:73], s[74:75], exec
.LBB5_102:                              ;   in Loop: Header=BB5_5 Depth=1
	s_or_b64 exec, exec, s[70:71]
	s_and_b64 s[70:71], s[72:73], exec
.LBB5_103:                              ;   in Loop: Header=BB5_5 Depth=1
	s_or_b64 exec, exec, s[68:69]
	s_and_b64 s[68:69], s[70:71], exec
.LBB5_104:                              ;   in Loop: Header=BB5_5 Depth=1
	s_or_b64 exec, exec, s[66:67]
	s_and_b64 s[66:67], s[68:69], exec
.LBB5_105:                              ;   in Loop: Header=BB5_5 Depth=1
	s_or_b64 exec, exec, s[64:65]
	s_and_b64 s[64:65], s[66:67], exec
.LBB5_106:                              ;   in Loop: Header=BB5_5 Depth=1
	s_or_b64 exec, exec, s[62:63]
	s_and_b64 s[62:63], s[64:65], exec
.LBB5_107:                              ;   in Loop: Header=BB5_5 Depth=1
	s_or_b64 exec, exec, s[60:61]
	s_and_b64 s[60:61], s[62:63], exec
.LBB5_108:                              ;   in Loop: Header=BB5_5 Depth=1
	s_or_b64 exec, exec, s[58:59]
	s_and_b64 s[58:59], s[60:61], exec
.LBB5_109:                              ;   in Loop: Header=BB5_5 Depth=1
	s_or_b64 exec, exec, s[56:57]
	s_and_b64 s[56:57], s[58:59], exec
.LBB5_110:                              ;   in Loop: Header=BB5_5 Depth=1
	s_or_b64 exec, exec, s[54:55]
	s_and_b64 s[54:55], s[56:57], exec
.LBB5_111:                              ;   in Loop: Header=BB5_5 Depth=1
	s_or_b64 exec, exec, s[52:53]
	s_and_b64 s[52:53], s[54:55], exec
.LBB5_112:                              ;   in Loop: Header=BB5_5 Depth=1
	s_or_b64 exec, exec, s[50:51]
	s_and_b64 s[50:51], s[52:53], exec
.LBB5_113:                              ;   in Loop: Header=BB5_5 Depth=1
	s_or_b64 exec, exec, s[48:49]
	s_and_b64 s[48:49], s[50:51], exec
.LBB5_114:                              ;   in Loop: Header=BB5_5 Depth=1
	s_or_b64 exec, exec, s[46:47]
	s_and_b64 s[46:47], s[48:49], exec
.LBB5_115:                              ;   in Loop: Header=BB5_5 Depth=1
	s_or_b64 exec, exec, s[44:45]
	s_and_b64 s[44:45], s[46:47], exec
.LBB5_116:                              ;   in Loop: Header=BB5_5 Depth=1
	s_or_b64 exec, exec, s[42:43]
	s_and_b64 s[42:43], s[44:45], exec
.LBB5_117:                              ;   in Loop: Header=BB5_5 Depth=1
	s_or_b64 exec, exec, s[40:41]
	s_and_b64 s[40:41], s[42:43], exec
.LBB5_118:                              ;   in Loop: Header=BB5_5 Depth=1
	s_or_b64 exec, exec, s[38:39]
	s_and_b64 s[38:39], s[40:41], exec
.LBB5_119:                              ;   in Loop: Header=BB5_5 Depth=1
	s_or_b64 exec, exec, s[36:37]
	s_and_b64 s[36:37], s[38:39], exec
.LBB5_120:                              ;   in Loop: Header=BB5_5 Depth=1
	s_or_b64 exec, exec, s[34:35]
	s_and_b64 s[34:35], s[36:37], exec
.LBB5_121:                              ;   in Loop: Header=BB5_5 Depth=1
	s_or_b64 exec, exec, s[30:31]
	s_and_b64 s[30:31], s[34:35], exec
.LBB5_122:                              ;   in Loop: Header=BB5_5 Depth=1
	s_or_b64 exec, exec, s[28:29]
	s_and_b64 s[28:29], s[30:31], exec
.LBB5_123:                              ;   in Loop: Header=BB5_5 Depth=1
	s_or_b64 exec, exec, s[26:27]
	s_and_b64 s[26:27], s[28:29], exec
.LBB5_124:                              ;   in Loop: Header=BB5_5 Depth=1
	s_or_b64 exec, exec, s[24:25]
	s_and_b64 s[24:25], s[26:27], exec
.LBB5_125:                              ;   in Loop: Header=BB5_5 Depth=1
	s_or_b64 exec, exec, s[22:23]
	s_and_b64 s[22:23], s[24:25], exec
.LBB5_126:                              ;   in Loop: Header=BB5_5 Depth=1
	s_or_b64 exec, exec, s[20:21]
	s_and_b64 s[20:21], s[22:23], exec
.LBB5_127:                              ;   in Loop: Header=BB5_5 Depth=1
	s_or_b64 exec, exec, s[18:19]
	s_and_b64 s[18:19], s[20:21], exec
.LBB5_128:                              ;   in Loop: Header=BB5_5 Depth=1
	s_or_b64 exec, exec, s[16:17]
	s_and_b64 s[16:17], s[18:19], exec
.LBB5_129:                              ;   in Loop: Header=BB5_5 Depth=1
	s_or_b64 exec, exec, s[14:15]
	s_and_b64 s[14:15], s[16:17], exec
.LBB5_130:                              ;   in Loop: Header=BB5_5 Depth=1
	s_or_b64 exec, exec, s[4:5]
	v_and_b32_e32 v2, 0x60, v7
	v_add_u32_e32 v9, 32, v2
	v_xor_b32_e32 v2, 16, v7
	v_cmp_lt_i32_e32 vcc, v2, v9
	v_cndmask_b32_e64 v4, 0, 1, s[14:15]
	v_xor_b32_e32 v11, 1, v7
	v_cndmask_b32_e32 v2, v7, v2, vcc
	v_lshlrev_b32_e32 v2, 2, v2
	ds_bpermute_b32 v4, v2, v4
	s_waitcnt lgkmcnt(0)
	v_cmp_ne_u32_e32 vcc, 0, v4
	v_xor_b32_e32 v4, 8, v7
	s_and_b64 s[4:5], s[14:15], vcc
	v_cmp_lt_i32_e32 vcc, v4, v9
	v_cndmask_b32_e64 v5, 0, 1, s[4:5]
	s_nop 0
	v_cndmask_b32_e32 v4, v7, v4, vcc
	v_lshlrev_b32_e32 v4, 2, v4
	ds_bpermute_b32 v5, v4, v5
	s_waitcnt lgkmcnt(0)
	v_cmp_ne_u32_e32 vcc, 0, v5
	v_xor_b32_e32 v5, 4, v7
	s_and_b64 s[4:5], vcc, s[4:5]
	v_cmp_lt_i32_e32 vcc, v5, v9
	v_cndmask_b32_e64 v8, 0, 1, s[4:5]
	s_nop 0
	v_cndmask_b32_e32 v5, v7, v5, vcc
	v_lshlrev_b32_e32 v5, 2, v5
	ds_bpermute_b32 v8, v5, v8
	s_waitcnt lgkmcnt(0)
	v_cmp_ne_u32_e32 vcc, 0, v8
	v_xor_b32_e32 v8, 2, v7
	s_and_b64 s[4:5], vcc, s[4:5]
	v_cmp_lt_i32_e32 vcc, v8, v9
	v_cndmask_b32_e64 v10, 0, 1, s[4:5]
	s_nop 0
	v_cndmask_b32_e32 v8, v7, v8, vcc
	v_lshlrev_b32_e32 v8, 2, v8
	ds_bpermute_b32 v10, v8, v10
	s_waitcnt lgkmcnt(0)
	v_cmp_ne_u32_e32 vcc, 0, v10
	s_and_b64 s[4:5], vcc, s[4:5]
	v_cmp_lt_i32_e32 vcc, v11, v9
	v_cndmask_b32_e64 v10, 0, 1, s[4:5]
	s_nop 0
	v_cndmask_b32_e32 v9, v7, v11, vcc
	v_lshlrev_b32_e32 v9, 2, v9
	ds_bpermute_b32 v10, v9, v10
	s_and_saveexec_b64 s[14:15], s[0:1]
	s_cbranch_execz .LBB5_3
; %bb.131:                              ;   in Loop: Header=BB5_5 Depth=1
	s_waitcnt lgkmcnt(0)
	v_cmp_ne_u32_e32 vcc, 0, v10
	s_and_b64 s[4:5], vcc, s[4:5]
	v_cndmask_b32_e64 v10, 0, 1, s[4:5]
	ds_write_b32 v1, v10
	s_branch .LBB5_3
.LBB5_132:
	s_or_b64 exec, exec, s[12:13]
	v_cmp_eq_u32_e32 vcc, 0, v0
	s_and_saveexec_b64 s[0:1], vcc
	s_cbranch_execz .LBB5_134
; %bb.133:
	s_mul_i32 s0, s33, s3
	s_add_i32 s0, s0, s2
	s_ashr_i32 s1, s0, 31
	s_lshl_b64 s[0:1], s[0:1], 2
	s_add_u32 s0, s6, s0
	s_addc_u32 s1, s7, s1
	v_mov_b32_e32 v0, 0
	global_store_dword v0, v2, s[0:1]
.LBB5_134:
	s_endpgm
	.section	.rodata,"a",@progbits
	.p2align	6, 0x0
	.amdhsa_kernel _ZL25flash_attn_mask_to_KV_maxILi32EEvPK7__half2Piiii
		.amdhsa_group_segment_fixed_size 128
		.amdhsa_private_segment_fixed_size 0
		.amdhsa_kernarg_size 288
		.amdhsa_user_sgpr_count 2
		.amdhsa_user_sgpr_dispatch_ptr 0
		.amdhsa_user_sgpr_queue_ptr 0
		.amdhsa_user_sgpr_kernarg_segment_ptr 1
		.amdhsa_user_sgpr_dispatch_id 0
		.amdhsa_user_sgpr_kernarg_preload_length 0
		.amdhsa_user_sgpr_kernarg_preload_offset 0
		.amdhsa_user_sgpr_private_segment_size 0
		.amdhsa_uses_dynamic_stack 0
		.amdhsa_enable_private_segment 0
		.amdhsa_system_sgpr_workgroup_id_x 1
		.amdhsa_system_sgpr_workgroup_id_y 1
		.amdhsa_system_sgpr_workgroup_id_z 0
		.amdhsa_system_sgpr_workgroup_info 0
		.amdhsa_system_vgpr_workitem_id 0
		.amdhsa_next_free_vgpr 13
		.amdhsa_next_free_sgpr 100
		.amdhsa_accum_offset 16
		.amdhsa_reserve_vcc 1
		.amdhsa_float_round_mode_32 0
		.amdhsa_float_round_mode_16_64 0
		.amdhsa_float_denorm_mode_32 3
		.amdhsa_float_denorm_mode_16_64 3
		.amdhsa_dx10_clamp 1
		.amdhsa_ieee_mode 1
		.amdhsa_fp16_overflow 0
		.amdhsa_tg_split 0
		.amdhsa_exception_fp_ieee_invalid_op 0
		.amdhsa_exception_fp_denorm_src 0
		.amdhsa_exception_fp_ieee_div_zero 0
		.amdhsa_exception_fp_ieee_overflow 0
		.amdhsa_exception_fp_ieee_underflow 0
		.amdhsa_exception_fp_ieee_inexact 0
		.amdhsa_exception_int_div_zero 0
	.end_amdhsa_kernel
	.section	.text._ZL25flash_attn_mask_to_KV_maxILi32EEvPK7__half2Piiii,"axG",@progbits,_ZL25flash_attn_mask_to_KV_maxILi32EEvPK7__half2Piiii,comdat
.Lfunc_end5:
	.size	_ZL25flash_attn_mask_to_KV_maxILi32EEvPK7__half2Piiii, .Lfunc_end5-_ZL25flash_attn_mask_to_KV_maxILi32EEvPK7__half2Piiii
                                        ; -- End function
	.section	.AMDGPU.csdata,"",@progbits
; Kernel info:
; codeLenInByte = 4292
; NumSgprs: 106
; NumVgprs: 13
; NumAgprs: 0
; TotalNumVgprs: 13
; ScratchSize: 0
; MemoryBound: 0
; FloatMode: 240
; IeeeMode: 1
; LDSByteSize: 128 bytes/workgroup (compile time only)
; SGPRBlocks: 13
; VGPRBlocks: 1
; NumSGPRsForWavesPerEU: 106
; NumVGPRsForWavesPerEU: 13
; AccumOffset: 16
; Occupancy: 7
; WaveLimiterHint : 0
; COMPUTE_PGM_RSRC2:SCRATCH_EN: 0
; COMPUTE_PGM_RSRC2:USER_SGPR: 2
; COMPUTE_PGM_RSRC2:TRAP_HANDLER: 0
; COMPUTE_PGM_RSRC2:TGID_X_EN: 1
; COMPUTE_PGM_RSRC2:TGID_Y_EN: 1
; COMPUTE_PGM_RSRC2:TGID_Z_EN: 0
; COMPUTE_PGM_RSRC2:TIDIG_COMP_CNT: 0
; COMPUTE_PGM_RSRC3_GFX90A:ACCUM_OFFSET: 3
; COMPUTE_PGM_RSRC3_GFX90A:TG_SPLIT: 0
	.section	.text._ZL33flash_attn_stream_k_fixup_uniformILi64ELi32ELi1EEvPfPK15HIP_vector_typeIfLj2EEiiiiiiS1_IjLj3EES5_S5_,"axG",@progbits,_ZL33flash_attn_stream_k_fixup_uniformILi64ELi32ELi1EEvPfPK15HIP_vector_typeIfLj2EEiiiiiiS1_IjLj3EES5_S5_,comdat
	.globl	_ZL33flash_attn_stream_k_fixup_uniformILi64ELi32ELi1EEvPfPK15HIP_vector_typeIfLj2EEiiiiiiS1_IjLj3EES5_S5_ ; -- Begin function _ZL33flash_attn_stream_k_fixup_uniformILi64ELi32ELi1EEvPfPK15HIP_vector_typeIfLj2EEiiiiiiS1_IjLj3EES5_S5_
	.p2align	8
	.type	_ZL33flash_attn_stream_k_fixup_uniformILi64ELi32ELi1EEvPfPK15HIP_vector_typeIfLj2EEiiiiiiS1_IjLj3EES5_S5_,@function
_ZL33flash_attn_stream_k_fixup_uniformILi64ELi32ELi1EEvPfPK15HIP_vector_typeIfLj2EEiiiiiiS1_IjLj3EES5_S5_: ; @_ZL33flash_attn_stream_k_fixup_uniformILi64ELi32ELi1EEvPfPK15HIP_vector_typeIfLj2EEiiiiiiS1_IjLj3EES5_S5_
; %bb.0:
	s_load_dwordx8 s[8:15], s[0:1], 0x1c
	s_load_dwordx2 s[6:7], s[0:1], 0x10
	s_load_dwordx4 s[20:23], s[0:1], 0x3c
	s_waitcnt lgkmcnt(0)
	s_mul_hi_u32 s5, s11, s2
	s_add_i32 s5, s2, s5
	s_lshr_b32 s5, s5, s12
	s_mul_i32 s11, s5, s13
	s_sub_i32 s11, s2, s11
	s_mul_hi_u32 s12, s11, s14
	s_add_i32 s12, s11, s12
	s_lshr_b32 s16, s12, s15
	s_mul_i32 s12, s16, s20
	s_sub_i32 s12, s11, s12
	;; [unrolled: 5-line block ×3, first 2 shown]
	s_lshl_b32 s12, s17, 5
	s_add_i32 s12, s12, s3
	s_cmp_lt_i32 s12, s6
	s_cselect_b64 s[12:13], -1, 0
	s_add_i32 s14, s11, s4
	s_cmp_lt_i32 s14, s9
	s_cselect_b64 s[14:15], -1, 0
	s_and_b64 s[12:13], s[12:13], s[14:15]
	s_andn2_b64 vcc, exec, s[12:13]
	s_cbranch_vccnz .LBB6_6
; %bb.1:
	s_load_dwordx4 s[12:15], s[0:1], 0x0
	s_mul_i32 s0, s5, s6
	s_add_i32 s0, s0, s3
	s_mul_i32 s0, s0, s7
	s_mul_i32 s16, s16, s9
	s_add_i32 s0, s0, s4
	s_add_i32 s0, s0, s16
	s_mul_i32 s1, s7, s17
	s_add_i32 s0, s0, s11
	s_lshl_b32 s1, s1, 11
	s_lshl_b32 s0, s0, 6
	s_add_i32 s1, s1, s0
	v_or_b32_e32 v4, s1, v0
	s_waitcnt lgkmcnt(0)
	v_mov_b32_e32 v2, s12
	v_mov_b32_e32 v3, s13
	v_ashrrev_i32_e32 v5, 31, v4
	v_lshl_add_u64 v[2:3], v[4:5], 2, v[2:3]
	global_load_dword v7, v[2:3], off
	s_mul_i32 s6, s2, s10
	s_add_i32 s7, s6, s10
	s_add_i32 s3, s3, s4
	s_lshl_b32 s0, s7, 5
	s_add_i32 s0, s3, s0
	s_sub_i32 s0, s0, 32
	s_ashr_i32 s1, s0, 31
	s_lshl_b64 s[0:1], s[0:1], 3
	s_add_u32 s0, s14, s0
	s_addc_u32 s1, s15, s1
	s_load_dword s9, s[0:1], 0x4
	s_add_i32 s4, s7, -2
	s_cmp_lt_i32 s4, s6
	s_cbranch_scc1 .LBB6_4
; %bb.2:
	s_lshl_b32 s4, s8, 7
	s_ashr_i32 s5, s4, 31
	s_lshl_b64 s[4:5], s[4:5], 2
	s_add_u32 s4, s14, s4
	s_addc_u32 s5, s15, s5
	s_add_i32 s2, s2, 1
	s_mul_i32 s2, s10, s2
	s_load_dword s0, s[0:1], 0x0
	s_lshl_b32 s1, s3, 6
	s_lshl_b32 s10, s2, 11
	s_add_i32 s1, s1, s10
	v_or_b32_e32 v0, s1, v0
	s_lshl_b32 s1, s2, 5
	s_add_i32 s1, s3, s1
	s_lshl_b32 s2, s8, 5
	s_add_i32 s1, s1, s2
	s_add_i32 s7, s7, -1
	v_add_u32_e32 v0, 0xfffff000, v0
	s_sub_i32 s2, s1, 64
	s_waitcnt lgkmcnt(0)
	v_mov_b32_e32 v6, s9
	v_mov_b32_e32 v5, s0
	s_mov_b32 s8, 0x3fb8aa3b
	s_mov_b32 s9, 0xc2ce8ed0
	;; [unrolled: 1-line block ×3, first 2 shown]
	v_mov_b32_e32 v4, 0x7f800000
	s_mov_b32 s11, 0xc1a00000
.LBB6_3:                                ; =>This Inner Loop Header: Depth=1
	v_ashrrev_i32_e32 v1, 31, v0
	v_lshl_add_u64 v[8:9], v[0:1], 2, s[4:5]
	global_load_dword v1, v[8:9], off
	s_ashr_i32 s3, s2, 31
	s_lshl_b64 s[0:1], s[2:3], 3
	s_add_u32 s0, s14, s0
	s_addc_u32 s1, s15, s1
	s_load_dwordx2 s[12:13], s[0:1], 0x0
	s_waitcnt vmcnt(1)
	v_mov_b32_e32 v8, v7
	v_max_f32_e32 v7, v5, v5
	v_mov_b32_e32 v9, v6
	s_add_i32 s7, s7, -1
	s_waitcnt lgkmcnt(0)
	v_max_f32_e64 v6, s12, s12
	v_max_f32_e32 v6, v7, v6
	v_sub_f32_e32 v10, s12, v6
	v_sub_f32_e32 v7, v5, v6
	v_mul_f32_e32 v11, 0x3fb8aa3b, v10
	v_mov_b32_e32 v5, v6
	v_mul_f32_e32 v6, 0x3fb8aa3b, v7
	v_fma_f32 v14, v10, s8, -v11
	v_rndne_f32_e32 v15, v11
	v_fma_f32 v12, v7, s8, -v6
	v_rndne_f32_e32 v13, v6
	v_fmac_f32_e32 v14, 0x32a5705f, v10
	v_sub_f32_e32 v11, v11, v15
	v_fmac_f32_e32 v12, 0x32a5705f, v7
	v_sub_f32_e32 v6, v6, v13
	v_add_f32_e32 v11, v11, v14
	v_cvt_i32_f32_e32 v15, v15
	v_add_f32_e32 v6, v6, v12
	v_exp_f32_e32 v11, v11
	v_cvt_i32_f32_e32 v13, v13
	v_exp_f32_e32 v6, v6
	v_cmp_ngt_f32_e32 vcc, s9, v10
	v_ldexp_f32 v11, v11, v15
	v_cmp_ngt_f32_e64 s[0:1], s9, v7
	v_ldexp_f32 v6, v6, v13
	v_cndmask_b32_e32 v11, 0, v11, vcc
	v_cmp_nlt_f32_e32 vcc, s10, v10
	v_cndmask_b32_e64 v6, 0, v6, s[0:1]
	v_cmp_nlt_f32_e64 s[0:1], s10, v7
	v_cndmask_b32_e32 v11, v4, v11, vcc
	v_cmp_le_f32_e32 vcc, s11, v10
	v_cndmask_b32_e64 v6, v4, v6, s[0:1]
	v_cmp_le_f32_e64 s[0:1], s11, v7
	v_cndmask_b32_e32 v7, 0, v11, vcc
	s_sub_i32 s2, s2, 32
	v_cndmask_b32_e64 v10, 0, v6, s[0:1]
	v_mul_f32_e32 v6, s13, v7
	v_add_u32_e32 v0, 0xfffff800, v0
	s_cmp_le_i32 s7, s6
	v_fmac_f32_e32 v6, v9, v10
	s_waitcnt vmcnt(0)
	v_mul_f32_e32 v7, v1, v7
	v_fmac_f32_e32 v7, v8, v10
	s_cbranch_scc0 .LBB6_3
	s_branch .LBB6_5
.LBB6_4:
	s_waitcnt lgkmcnt(0)
	v_mov_b32_e32 v6, s9
.LBB6_5:
	s_waitcnt vmcnt(0)
	v_div_scale_f32 v0, s[0:1], v6, v6, v7
	v_rcp_f32_e32 v1, v0
	v_div_scale_f32 v4, vcc, v7, v6, v7
	v_fma_f32 v5, -v0, v1, 1.0
	v_fmac_f32_e32 v1, v5, v1
	v_mul_f32_e32 v5, v4, v1
	v_fma_f32 v8, -v0, v5, v4
	v_fmac_f32_e32 v5, v8, v1
	v_fma_f32 v0, -v0, v5, v4
	v_div_fmas_f32 v0, v0, v1, v5
	v_div_fixup_f32 v0, v0, v6, v7
	global_store_dword v[2:3], v0, off
.LBB6_6:
	s_endpgm
	.section	.rodata,"a",@progbits
	.p2align	6, 0x0
	.amdhsa_kernel _ZL33flash_attn_stream_k_fixup_uniformILi64ELi32ELi1EEvPfPK15HIP_vector_typeIfLj2EEiiiiiiS1_IjLj3EES5_S5_
		.amdhsa_group_segment_fixed_size 0
		.amdhsa_private_segment_fixed_size 0
		.amdhsa_kernarg_size 76
		.amdhsa_user_sgpr_count 2
		.amdhsa_user_sgpr_dispatch_ptr 0
		.amdhsa_user_sgpr_queue_ptr 0
		.amdhsa_user_sgpr_kernarg_segment_ptr 1
		.amdhsa_user_sgpr_dispatch_id 0
		.amdhsa_user_sgpr_kernarg_preload_length 0
		.amdhsa_user_sgpr_kernarg_preload_offset 0
		.amdhsa_user_sgpr_private_segment_size 0
		.amdhsa_uses_dynamic_stack 0
		.amdhsa_enable_private_segment 0
		.amdhsa_system_sgpr_workgroup_id_x 1
		.amdhsa_system_sgpr_workgroup_id_y 1
		.amdhsa_system_sgpr_workgroup_id_z 1
		.amdhsa_system_sgpr_workgroup_info 0
		.amdhsa_system_vgpr_workitem_id 0
		.amdhsa_next_free_vgpr 16
		.amdhsa_next_free_sgpr 24
		.amdhsa_accum_offset 16
		.amdhsa_reserve_vcc 1
		.amdhsa_float_round_mode_32 0
		.amdhsa_float_round_mode_16_64 0
		.amdhsa_float_denorm_mode_32 3
		.amdhsa_float_denorm_mode_16_64 3
		.amdhsa_dx10_clamp 1
		.amdhsa_ieee_mode 1
		.amdhsa_fp16_overflow 0
		.amdhsa_tg_split 0
		.amdhsa_exception_fp_ieee_invalid_op 0
		.amdhsa_exception_fp_denorm_src 0
		.amdhsa_exception_fp_ieee_div_zero 0
		.amdhsa_exception_fp_ieee_overflow 0
		.amdhsa_exception_fp_ieee_underflow 0
		.amdhsa_exception_fp_ieee_inexact 0
		.amdhsa_exception_int_div_zero 0
	.end_amdhsa_kernel
	.section	.text._ZL33flash_attn_stream_k_fixup_uniformILi64ELi32ELi1EEvPfPK15HIP_vector_typeIfLj2EEiiiiiiS1_IjLj3EES5_S5_,"axG",@progbits,_ZL33flash_attn_stream_k_fixup_uniformILi64ELi32ELi1EEvPfPK15HIP_vector_typeIfLj2EEiiiiiiS1_IjLj3EES5_S5_,comdat
.Lfunc_end6:
	.size	_ZL33flash_attn_stream_k_fixup_uniformILi64ELi32ELi1EEvPfPK15HIP_vector_typeIfLj2EEiiiiiiS1_IjLj3EES5_S5_, .Lfunc_end6-_ZL33flash_attn_stream_k_fixup_uniformILi64ELi32ELi1EEvPfPK15HIP_vector_typeIfLj2EEiiiiiiS1_IjLj3EES5_S5_
                                        ; -- End function
	.section	.AMDGPU.csdata,"",@progbits
; Kernel info:
; codeLenInByte = 820
; NumSgprs: 30
; NumVgprs: 16
; NumAgprs: 0
; TotalNumVgprs: 16
; ScratchSize: 0
; MemoryBound: 0
; FloatMode: 240
; IeeeMode: 1
; LDSByteSize: 0 bytes/workgroup (compile time only)
; SGPRBlocks: 3
; VGPRBlocks: 1
; NumSGPRsForWavesPerEU: 30
; NumVGPRsForWavesPerEU: 16
; AccumOffset: 16
; Occupancy: 8
; WaveLimiterHint : 0
; COMPUTE_PGM_RSRC2:SCRATCH_EN: 0
; COMPUTE_PGM_RSRC2:USER_SGPR: 2
; COMPUTE_PGM_RSRC2:TRAP_HANDLER: 0
; COMPUTE_PGM_RSRC2:TGID_X_EN: 1
; COMPUTE_PGM_RSRC2:TGID_Y_EN: 1
; COMPUTE_PGM_RSRC2:TGID_Z_EN: 1
; COMPUTE_PGM_RSRC2:TIDIG_COMP_CNT: 0
; COMPUTE_PGM_RSRC3_GFX90A:ACCUM_OFFSET: 3
; COMPUTE_PGM_RSRC3_GFX90A:TG_SPLIT: 0
	.section	.text._ZL33flash_attn_stream_k_fixup_generalILi64ELi32ELi1EEvPfPK15HIP_vector_typeIfLj2EEiiiiS1_IjLj3EES5_S5_S5_,"axG",@progbits,_ZL33flash_attn_stream_k_fixup_generalILi64ELi32ELi1EEvPfPK15HIP_vector_typeIfLj2EEiiiiS1_IjLj3EES5_S5_S5_,comdat
	.globl	_ZL33flash_attn_stream_k_fixup_generalILi64ELi32ELi1EEvPfPK15HIP_vector_typeIfLj2EEiiiiS1_IjLj3EES5_S5_S5_ ; -- Begin function _ZL33flash_attn_stream_k_fixup_generalILi64ELi32ELi1EEvPfPK15HIP_vector_typeIfLj2EEiiiiS1_IjLj3EES5_S5_S5_
	.p2align	8
	.type	_ZL33flash_attn_stream_k_fixup_generalILi64ELi32ELi1EEvPfPK15HIP_vector_typeIfLj2EEiiiiS1_IjLj3EES5_S5_S5_,@function
_ZL33flash_attn_stream_k_fixup_generalILi64ELi32ELi1EEvPfPK15HIP_vector_typeIfLj2EEiiiiS1_IjLj3EES5_S5_S5_: ; @_ZL33flash_attn_stream_k_fixup_generalILi64ELi32ELi1EEvPfPK15HIP_vector_typeIfLj2EEiiiiS1_IjLj3EES5_S5_S5_
; %bb.0:
	s_load_dwordx4 s[12:15], s[0:1], 0x10
	s_load_dword s5, s[0:1], 0x50
	s_mov_b32 s8, 0
	s_waitcnt lgkmcnt(0)
	s_mul_hi_i32 s9, s15, s2
	s_cmp_lg_u64 s[8:9], 0
	s_mul_i32 s8, s15, s2
	s_cbranch_scc0 .LBB7_21
; %bb.1:
	v_cvt_f32_u32_e32 v1, s5
	v_cvt_f32_ubyte0_e32 v2, 0
	s_sub_u32 s10, 0, s5
	s_subb_u32 s11, 0, 0
	v_fmamk_f32 v1, v2, 0x4f800000, v1
	v_rcp_f32_e32 v1, v1
	s_nop 0
	v_mul_f32_e32 v1, 0x5f7ffffc, v1
	v_mul_f32_e32 v2, 0x2f800000, v1
	v_trunc_f32_e32 v2, v2
	v_fmamk_f32 v1, v2, 0xcf800000, v1
	v_cvt_u32_f32_e32 v2, v2
	v_cvt_u32_f32_e32 v1, v1
	v_readfirstlane_b32 s16, v2
	v_readfirstlane_b32 s17, v1
	s_mul_i32 s18, s10, s16
	s_mul_hi_u32 s20, s10, s17
	s_mul_i32 s19, s11, s17
	s_add_i32 s18, s20, s18
	s_add_i32 s18, s18, s19
	s_mul_i32 s21, s10, s17
	s_mul_hi_u32 s19, s17, s18
	s_mul_i32 s20, s17, s18
	s_mul_hi_u32 s17, s17, s21
	s_add_u32 s17, s17, s20
	s_addc_u32 s19, 0, s19
	s_mul_hi_u32 s22, s16, s21
	s_mul_i32 s21, s16, s21
	s_add_u32 s17, s17, s21
	s_mul_hi_u32 s20, s16, s18
	s_addc_u32 s17, s19, s22
	s_addc_u32 s19, s20, 0
	s_mul_i32 s18, s16, s18
	s_add_u32 s17, s17, s18
	s_addc_u32 s18, 0, s19
	v_add_co_u32_e32 v1, vcc, s17, v1
	s_cmp_lg_u64 vcc, 0
	s_addc_u32 s16, s16, s18
	v_readfirstlane_b32 s18, v1
	s_mul_i32 s17, s10, s16
	s_mul_hi_u32 s19, s10, s18
	s_add_i32 s17, s19, s17
	s_mul_i32 s11, s11, s18
	s_add_i32 s17, s17, s11
	s_mul_i32 s10, s10, s18
	s_mul_hi_u32 s19, s16, s10
	s_mul_i32 s20, s16, s10
	s_mul_i32 s22, s18, s17
	s_mul_hi_u32 s10, s18, s10
	s_mul_hi_u32 s21, s18, s17
	s_add_u32 s10, s10, s22
	s_addc_u32 s18, 0, s21
	s_add_u32 s10, s10, s20
	s_mul_hi_u32 s11, s16, s17
	s_addc_u32 s10, s18, s19
	s_addc_u32 s11, s11, 0
	s_mul_i32 s17, s16, s17
	s_add_u32 s10, s10, s17
	s_addc_u32 s11, 0, s11
	v_add_co_u32_e32 v1, vcc, s10, v1
	s_cmp_lg_u64 vcc, 0
	s_addc_u32 s18, s16, s11
	s_ashr_i32 s10, s9, 31
	s_add_u32 s16, s8, s10
	s_mov_b32 s11, s10
	s_addc_u32 s17, s9, s10
	s_xor_b64 s[16:17], s[16:17], s[10:11]
	v_readfirstlane_b32 s20, v1
	s_mul_i32 s19, s16, s18
	s_mul_hi_u32 s21, s16, s20
	s_mul_hi_u32 s9, s16, s18
	s_add_u32 s19, s21, s19
	s_addc_u32 s9, 0, s9
	s_mul_hi_u32 s22, s17, s20
	s_mul_i32 s20, s17, s20
	s_add_u32 s19, s19, s20
	s_mul_hi_u32 s21, s17, s18
	s_addc_u32 s9, s9, s22
	s_addc_u32 s19, s21, 0
	s_mul_i32 s18, s17, s18
	s_add_u32 s9, s9, s18
	s_addc_u32 s18, 0, s19
	s_add_u32 s19, s9, 1
	s_addc_u32 s20, s18, 0
	s_add_u32 s21, s9, 2
	s_mul_i32 s23, s5, s18
	s_mul_hi_u32 s24, s5, s9
	s_addc_u32 s22, s18, 0
	s_add_i32 s24, s24, s23
	s_mul_i32 s23, s5, s9
	v_mov_b32_e32 v1, s23
	v_sub_co_u32_e32 v1, vcc, s16, v1
	s_cmp_lg_u64 vcc, 0
	s_subb_u32 s16, s17, s24
	v_subrev_co_u32_e32 v2, vcc, s5, v1
	s_cmp_lg_u64 vcc, 0
	s_subb_u32 s17, s16, 0
	v_readfirstlane_b32 s23, v2
	s_cmp_ge_u32 s23, s5
	s_cselect_b32 s23, -1, 0
	s_cmp_eq_u32 s17, 0
	s_cselect_b32 s17, s23, -1
	s_cmp_lg_u32 s17, 0
	s_cselect_b32 s17, s22, s20
	v_readfirstlane_b32 s20, v1
	s_cselect_b32 s19, s21, s19
	s_cmp_ge_u32 s20, s5
	s_cselect_b32 s20, -1, 0
	s_cmp_eq_u32 s16, 0
	s_cselect_b32 s16, s20, -1
	s_cmp_lg_u32 s16, 0
	s_cselect_b32 s17, s17, s18
	s_cselect_b32 s16, s19, s9
	s_xor_b64 s[16:17], s[16:17], s[10:11]
	s_sub_u32 s20, s16, s10
	s_load_dwordx4 s[16:19], s[0:1], 0x44
	s_cbranch_execnz .LBB7_3
.LBB7_2:
	v_cvt_f32_u32_e32 v1, s5
	s_sub_i32 s6, 0, s5
	v_rcp_iflag_f32_e32 v1, v1
	s_nop 0
	v_mul_f32_e32 v1, 0x4f7ffffe, v1
	v_cvt_u32_f32_e32 v1, v1
	s_nop 0
	v_readfirstlane_b32 s7, v1
	s_mul_i32 s6, s6, s7
	s_mul_hi_u32 s6, s7, s6
	s_add_i32 s7, s7, s6
	s_mul_hi_u32 s6, s8, s7
	s_mul_i32 s9, s6, s5
	s_sub_i32 s8, s8, s9
	s_add_i32 s7, s6, 1
	s_sub_i32 s9, s8, s5
	s_cmp_ge_u32 s8, s5
	s_cselect_b32 s6, s7, s6
	s_cselect_b32 s8, s9, s8
	s_add_i32 s7, s6, 1
	s_cmp_ge_u32 s8, s5
	s_cselect_b32 s20, s7, s6
.LBB7_3:
	s_add_i32 s6, s2, 1
	s_mul_hi_i32 s9, s15, s6
	s_mov_b32 s8, 0
	s_cmp_lg_u64 s[8:9], 0
	s_mul_i32 s8, s15, s6
	s_cbranch_scc0 .LBB7_22
; %bb.4:
	v_cvt_f32_u32_e32 v1, s5
	v_cvt_f32_ubyte0_e32 v2, 0
	s_sub_u32 s10, 0, s5
	s_subb_u32 s11, 0, 0
	v_fmamk_f32 v1, v2, 0x4f800000, v1
	v_rcp_f32_e32 v1, v1
	s_nop 0
	v_mul_f32_e32 v1, 0x5f7ffffc, v1
	v_mul_f32_e32 v2, 0x2f800000, v1
	v_trunc_f32_e32 v2, v2
	v_fmamk_f32 v1, v2, 0xcf800000, v1
	v_cvt_u32_f32_e32 v2, v2
	v_cvt_u32_f32_e32 v1, v1
	s_waitcnt lgkmcnt(0)
	v_readfirstlane_b32 s19, v2
	v_readfirstlane_b32 s21, v1
	s_mul_i32 s22, s10, s19
	s_mul_hi_u32 s24, s10, s21
	s_mul_i32 s23, s11, s21
	s_add_i32 s22, s24, s22
	s_add_i32 s22, s22, s23
	s_mul_i32 s25, s10, s21
	s_mul_hi_u32 s23, s21, s22
	s_mul_i32 s24, s21, s22
	s_mul_hi_u32 s21, s21, s25
	s_add_u32 s21, s21, s24
	s_addc_u32 s23, 0, s23
	s_mul_hi_u32 s26, s19, s25
	s_mul_i32 s25, s19, s25
	s_add_u32 s21, s21, s25
	s_mul_hi_u32 s24, s19, s22
	s_addc_u32 s21, s23, s26
	s_addc_u32 s23, s24, 0
	s_mul_i32 s22, s19, s22
	s_add_u32 s21, s21, s22
	s_addc_u32 s22, 0, s23
	v_add_co_u32_e32 v1, vcc, s21, v1
	s_cmp_lg_u64 vcc, 0
	s_addc_u32 s19, s19, s22
	v_readfirstlane_b32 s22, v1
	s_mul_i32 s21, s10, s19
	s_mul_hi_u32 s23, s10, s22
	s_add_i32 s21, s23, s21
	s_mul_i32 s11, s11, s22
	s_add_i32 s21, s21, s11
	s_mul_i32 s10, s10, s22
	s_mul_hi_u32 s23, s19, s10
	s_mul_i32 s24, s19, s10
	s_mul_i32 s26, s22, s21
	s_mul_hi_u32 s10, s22, s10
	s_mul_hi_u32 s25, s22, s21
	s_add_u32 s10, s10, s26
	s_addc_u32 s22, 0, s25
	s_add_u32 s10, s10, s24
	s_mul_hi_u32 s11, s19, s21
	s_addc_u32 s10, s22, s23
	s_addc_u32 s11, s11, 0
	s_mul_i32 s21, s19, s21
	s_add_u32 s10, s10, s21
	s_addc_u32 s11, 0, s11
	v_add_co_u32_e32 v1, vcc, s10, v1
	s_cmp_lg_u64 vcc, 0
	s_addc_u32 s19, s19, s11
	s_ashr_i32 s10, s9, 31
	s_add_u32 s22, s8, s10
	s_mov_b32 s11, s10
	s_addc_u32 s23, s9, s10
	s_xor_b64 s[22:23], s[22:23], s[10:11]
	v_readfirstlane_b32 s21, v1
	s_mul_i32 s11, s22, s19
	s_mul_hi_u32 s24, s22, s21
	s_mul_hi_u32 s9, s22, s19
	s_add_u32 s11, s24, s11
	s_addc_u32 s9, 0, s9
	s_mul_hi_u32 s25, s23, s21
	s_mul_i32 s21, s23, s21
	s_add_u32 s11, s11, s21
	s_mul_hi_u32 s24, s23, s19
	s_addc_u32 s9, s9, s25
	s_addc_u32 s11, s24, 0
	s_mul_i32 s19, s23, s19
	s_add_u32 s9, s9, s19
	s_addc_u32 s11, 0, s11
	s_mul_i32 s11, s5, s11
	s_mul_hi_u32 s24, s5, s9
	s_add_i32 s24, s24, s11
	s_mul_i32 s11, s5, s9
	v_mov_b32_e32 v1, s11
	s_add_u32 s19, s9, 1
	s_add_u32 s21, s9, 2
	v_sub_co_u32_e32 v1, vcc, s22, v1
	s_cmp_lg_u64 vcc, 0
	s_subb_u32 s11, s23, s24
	v_subrev_co_u32_e32 v2, vcc, s5, v1
	s_cmp_lg_u64 vcc, 0
	s_subb_u32 s22, s11, 0
	v_cmp_le_u32_e32 vcc, s5, v2
	s_cmp_eq_u32 s22, 0
	v_mov_b32_e32 v3, s19
	v_cndmask_b32_e64 v2, 0, -1, vcc
	s_cselect_b64 vcc, -1, 0
	v_cndmask_b32_e32 v2, -1, v2, vcc
	v_mov_b32_e32 v4, s21
	v_cmp_ne_u32_e32 vcc, 0, v2
	s_cmp_eq_u32 s11, 0
	s_nop 0
	v_cndmask_b32_e32 v2, v3, v4, vcc
	v_cmp_le_u32_e32 vcc, s5, v1
	v_mov_b32_e32 v3, s9
	s_nop 0
	v_cndmask_b32_e64 v1, 0, -1, vcc
	s_cselect_b64 vcc, -1, 0
	v_cndmask_b32_e32 v1, -1, v1, vcc
	v_cmp_ne_u32_e32 vcc, 0, v1
	s_nop 1
	v_cndmask_b32_e32 v1, v3, v2, vcc
	v_xor_b32_e32 v1, s10, v1
	v_subrev_co_u32_e32 v2, vcc, s10, v1
	s_cbranch_execnz .LBB7_6
.LBB7_5:
	v_cvt_f32_u32_e32 v1, s5
	s_sub_i32 s6, 0, s5
	s_mov_b32 s7, 0
	v_rcp_iflag_f32_e32 v1, v1
	s_nop 0
	v_mul_f32_e32 v1, 0x4f7ffffe, v1
	v_cvt_u32_f32_e32 v1, v1
	s_nop 0
	v_readfirstlane_b32 s9, v1
	s_mul_i32 s6, s6, s9
	s_mul_hi_u32 s6, s9, s6
	s_add_i32 s9, s9, s6
	s_mul_hi_u32 s6, s8, s9
	s_mul_i32 s10, s6, s5
	s_sub_i32 s8, s8, s10
	s_add_i32 s9, s6, 1
	s_sub_i32 s10, s8, s5
	s_cmp_ge_u32 s8, s5
	s_cselect_b32 s6, s9, s6
	s_cselect_b32 s8, s10, s8
	s_add_i32 s9, s6, 1
	s_cmp_ge_u32 s8, s5
	s_cselect_b32 s6, s9, s6
	v_mov_b64_e32 v[2:3], s[6:7]
.LBB7_6:
	s_waitcnt lgkmcnt(0)
	s_mul_hi_u32 s6, s20, s16
	s_add_i32 s6, s6, s20
	v_mul_hi_u32 v1, v2, s16
	s_lshr_b32 s19, s6, s17
	v_add_u32_e32 v1, v1, v2
	s_mul_i32 s6, s19, s18
	v_lshrrev_b32_e32 v1, s17, v1
	s_cmp_eq_u32 s6, s20
	v_cmp_eq_u32_e64 s[6:7], s19, v1
	v_mul_lo_u32 v1, v1, s18
	v_cmp_eq_u32_e32 vcc, s20, v2
	s_cselect_b64 s[10:11], -1, 0
	v_cmp_ne_u32_e64 s[8:9], v1, v2
	s_and_b64 s[6:7], s[6:7], s[8:9]
	s_or_b64 s[8:9], vcc, s[10:11]
	s_or_b64 s[6:7], s[8:9], s[6:7]
	s_and_b64 vcc, exec, s[6:7]
	s_cbranch_vccnz .LBB7_24
; %bb.7:
	s_load_dwordx8 s[24:31], s[0:1], 0x20
	s_load_dword s6, s[0:1], 0x40
	s_waitcnt lgkmcnt(0)
	s_mul_hi_u32 s7, s20, s24
	s_add_i32 s7, s7, s20
	s_lshr_b32 s7, s7, s25
	s_mul_i32 s8, s7, s26
	s_sub_i32 s8, s20, s8
	s_mul_hi_u32 s9, s8, s27
	s_add_i32 s9, s8, s9
	s_lshr_b32 s23, s9, s28
	s_mul_i32 s9, s23, s29
	s_sub_i32 s8, s8, s9
	;; [unrolled: 5-line block ×3, first 2 shown]
	s_mul_hi_u32 s8, s6, s16
	s_add_i32 s6, s6, s8
	s_lshr_b32 s24, s6, s17
	s_lshl_b32 s6, s24, 5
	s_add_i32 s6, s6, s3
	s_cmp_lt_i32 s6, s12
	s_cselect_b64 s[8:9], -1, 0
	s_add_i32 s6, s22, s4
	s_cmp_lt_i32 s6, s14
	s_cselect_b64 s[10:11], -1, 0
	s_and_b64 s[8:9], s[8:9], s[10:11]
	s_andn2_b64 vcc, exec, s[8:9]
	s_mov_b32 s6, 0
	s_cbranch_vccnz .LBB7_24
; %bb.8:
	s_load_dwordx4 s[8:11], s[0:1], 0x0
	s_lshl_b32 s0, s5, 7
	s_mov_b32 s1, s6
	s_add_i32 s21, s3, s4
	s_lshl_b64 s[0:1], s[0:1], 2
	s_waitcnt lgkmcnt(0)
	v_mov_b32_e32 v2, s8
	s_add_u32 s8, s10, s0
	s_mul_i32 s0, s7, s12
	v_mov_b32_e32 v3, s9
	s_addc_u32 s9, s11, s1
	s_add_i32 s0, s0, s3
	s_mul_i32 s0, s0, s13
	s_mul_i32 s23, s23, s14
	s_add_i32 s0, s0, s4
	s_add_i32 s0, s0, s23
	s_mul_i32 s1, s13, s24
	s_add_i32 s0, s0, s22
	s_lshl_b32 s1, s1, 11
	s_lshl_b32 s0, s0, 6
	s_add_i32 s1, s1, s0
	v_or_b32_e32 v4, s1, v0
	v_ashrrev_i32_e32 v5, 31, v4
	v_lshl_add_u64 v[2:3], v[4:5], 2, v[2:3]
	global_load_dword v5, v[2:3], off
	v_lshl_or_b32 v4, s21, 6, v0
	v_cvt_f32_u32_e32 v0, s5
	v_cvt_f32_ubyte0_e32 v1, 0
	s_lshl_b32 s0, s2, 5
	s_add_i32 s0, s0, s21
	v_fmac_f32_e32 v0, 0x4f800000, v1
	v_rcp_f32_e32 v0, v0
	v_cvt_f32_u32_e32 v1, s5
	s_ashr_i32 s1, s0, 31
	s_lshl_b64 s[0:1], s[0:1], 3
	v_mul_f32_e32 v0, 0x5f7ffffc, v0
	v_rcp_iflag_f32_e32 v1, v1
	s_add_u32 s0, s10, s0
	v_mul_f32_e32 v9, 0x2f800000, v0
	s_addc_u32 s1, s11, s1
	v_trunc_f32_e32 v10, v9
	s_load_dwordx2 s[0:1], s[0:1], 0x0
	v_fmac_f32_e32 v0, 0xcf800000, v10
	v_cvt_u32_f32_e32 v9, v0
	v_mul_f32_e32 v0, 0x4f7ffffe, v1
	v_cvt_u32_f32_e32 v10, v10
	v_cvt_u32_f32_e32 v11, v0
	s_add_i32 s13, s2, -1
	s_waitcnt lgkmcnt(0)
	v_mov_b32_e32 v6, s1
	v_mov_b32_e32 v7, s0
	;; [unrolled: 1-line block ×3, first 2 shown]
	s_mov_b32 s4, 0x3fb8aa3b
	s_mov_b32 s12, 0xc2ce8ed0
	;; [unrolled: 1-line block ×4, first 2 shown]
	v_mov_b32_e32 v12, 0x7f800000
	s_mul_hi_i32 s7, s13, s15
	s_cmp_lg_u64 s[6:7], 0
	s_mul_i32 s2, s13, s15
	s_cbranch_scc0 .LBB7_15
.LBB7_9:
	s_sub_u32 s0, 0, s5
	v_readfirstlane_b32 s3, v9
	v_readfirstlane_b32 s24, v10
	s_subb_u32 s1, 0, 0
	s_mul_hi_u32 s23, s0, s3
	s_mul_i32 s25, s0, s24
	s_mul_i32 s22, s1, s3
	s_add_i32 s23, s23, s25
	s_add_i32 s23, s23, s22
	s_mul_i32 s26, s0, s3
	s_mul_hi_u32 s22, s3, s23
	s_mul_i32 s25, s3, s23
	s_mul_hi_u32 s3, s3, s26
	s_add_u32 s3, s3, s25
	s_addc_u32 s22, 0, s22
	s_mul_hi_u32 s27, s24, s26
	s_mul_i32 s26, s24, s26
	s_add_u32 s3, s3, s26
	s_mul_hi_u32 s25, s24, s23
	s_addc_u32 s3, s22, s27
	s_addc_u32 s22, s25, 0
	s_mul_i32 s23, s24, s23
	s_add_u32 s3, s3, s23
	s_addc_u32 s22, 0, s22
	v_add_co_u32_e32 v0, vcc, s3, v9
	s_cmp_lg_u64 vcc, 0
	s_addc_u32 s3, s24, s22
	v_readfirstlane_b32 s23, v0
	s_mul_i32 s22, s0, s3
	s_mul_hi_u32 s24, s0, s23
	s_add_i32 s22, s24, s22
	s_mul_i32 s1, s1, s23
	s_add_i32 s22, s22, s1
	s_mul_i32 s0, s0, s23
	s_mul_hi_u32 s24, s3, s0
	s_mul_i32 s25, s3, s0
	s_mul_i32 s27, s23, s22
	s_mul_hi_u32 s0, s23, s0
	s_mul_hi_u32 s26, s23, s22
	s_add_u32 s0, s0, s27
	s_addc_u32 s23, 0, s26
	s_add_u32 s0, s0, s25
	s_mul_hi_u32 s1, s3, s22
	s_addc_u32 s0, s23, s24
	s_addc_u32 s1, s1, 0
	s_mul_i32 s22, s3, s22
	s_add_u32 s0, s0, s22
	s_addc_u32 s1, 0, s1
	v_add_co_u32_e32 v0, vcc, s0, v0
	s_cmp_lg_u64 vcc, 0
	s_addc_u32 s3, s3, s1
	s_ashr_i32 s0, s7, 31
	s_add_u32 s22, s2, s0
	s_mov_b32 s1, s0
	s_addc_u32 s23, s7, s0
	s_xor_b64 s[22:23], s[22:23], s[0:1]
	v_readfirstlane_b32 s24, v0
	s_mul_i32 s7, s22, s3
	s_mul_hi_u32 s25, s22, s24
	s_mul_hi_u32 s1, s22, s3
	s_add_u32 s7, s25, s7
	s_addc_u32 s1, 0, s1
	s_mul_hi_u32 s26, s23, s24
	s_mul_i32 s24, s23, s24
	s_add_u32 s7, s7, s24
	s_mul_hi_u32 s25, s23, s3
	s_addc_u32 s1, s1, s26
	s_addc_u32 s7, s25, 0
	s_mul_i32 s3, s23, s3
	s_add_u32 s1, s1, s3
	s_addc_u32 s3, 0, s7
	s_mul_i32 s3, s5, s3
	s_mul_hi_u32 s25, s5, s1
	s_add_i32 s25, s25, s3
	s_mul_i32 s3, s5, s1
	v_mov_b32_e32 v0, s3
	s_add_u32 s7, s1, 1
	s_add_u32 s24, s1, 2
	v_sub_co_u32_e32 v0, vcc, s22, v0
	s_cmp_lg_u64 vcc, 0
	s_subb_u32 s3, s23, s25
	v_subrev_co_u32_e32 v1, vcc, s5, v0
	s_cmp_lg_u64 vcc, 0
	s_subb_u32 s22, s3, 0
	v_cmp_le_u32_e32 vcc, s5, v1
	s_cmp_eq_u32 s22, 0
	v_mov_b32_e32 v13, s7
	v_cndmask_b32_e64 v1, 0, -1, vcc
	s_cselect_b64 vcc, -1, 0
	v_cndmask_b32_e32 v1, -1, v1, vcc
	v_mov_b32_e32 v14, s24
	v_cmp_ne_u32_e32 vcc, 0, v1
	s_cmp_eq_u32 s3, 0
	s_nop 0
	v_cndmask_b32_e32 v1, v13, v14, vcc
	v_cmp_le_u32_e32 vcc, s5, v0
	v_mov_b32_e32 v13, s1
	s_nop 0
	v_cndmask_b32_e64 v0, 0, -1, vcc
	s_cselect_b64 vcc, -1, 0
	v_cndmask_b32_e32 v0, -1, v0, vcc
	v_cmp_ne_u32_e32 vcc, 0, v0
	s_nop 1
	v_cndmask_b32_e32 v0, v13, v1, vcc
	v_xor_b32_e32 v0, s0, v0
	v_subrev_co_u32_e32 v0, vcc, s0, v0
	s_cbranch_execnz .LBB7_11
.LBB7_10:
	s_sub_i32 s0, 0, s5
	v_mul_lo_u32 v0, s0, v11
	v_mul_hi_u32 v0, v11, v0
	v_add_u32_e32 v0, v11, v0
	v_mul_hi_u32 v0, s2, v0
	v_mul_lo_u32 v13, v0, s5
	v_sub_u32_e32 v13, s2, v13
	v_add_u32_e32 v1, 1, v0
	v_subrev_u32_e32 v14, s5, v13
	v_cmp_le_u32_e32 vcc, s5, v13
	s_nop 1
	v_cndmask_b32_e32 v13, v13, v14, vcc
	v_cndmask_b32_e32 v0, v0, v1, vcc
	v_add_u32_e32 v1, 1, v0
	v_cmp_le_u32_e32 vcc, s5, v13
	s_nop 1
	v_cndmask_b32_e32 v0, v0, v1, vcc
.LBB7_11:
	v_cmp_ne_u32_e32 vcc, v8, v0
	s_cbranch_vccz .LBB7_14
; %bb.12:
	s_add_i32 s0, s13, s5
	s_lshl_b32 s0, s0, 5
	v_mul_hi_u32 v1, v0, s16
	s_add_i32 s0, s0, s21
	s_mov_b32 s1, s6
	v_add_u32_e32 v1, v1, v0
	s_lshl_b64 s[0:1], s[0:1], 3
	v_lshrrev_b32_e32 v1, s17, v1
	s_add_u32 s2, s10, s0
	v_mul_lo_u32 v13, v1, s18
	s_addc_u32 s3, s11, s1
	v_cmp_eq_u32_e32 vcc, v13, v0
	v_cmp_gt_u32_e64 s[0:1], s19, v1
	s_or_b64 s[0:1], s[0:1], vcc
	s_and_b64 vcc, exec, s[0:1]
	s_cbranch_vccnz .LBB7_16
; %bb.13:
	s_add_i32 s7, s13, -1
	s_mov_b64 s[0:1], 0
	s_branch .LBB7_17
.LBB7_14:
                                        ; implicit-def: $sgpr0_sgpr1
                                        ; implicit-def: $vgpr14
                                        ; implicit-def: $vgpr1
                                        ; implicit-def: $vgpr13
                                        ; implicit-def: $sgpr7
                                        ; implicit-def: $vgpr0
	s_branch .LBB7_18
.LBB7_15:
                                        ; implicit-def: $vgpr0_vgpr1
	s_branch .LBB7_10
.LBB7_16:
	s_mov_b64 s[0:1], -1
	s_mov_b32 s7, s13
	v_mov_b32_e32 v0, v8
.LBB7_17:
	v_lshl_add_u32 v14, s13, 11, v4
	v_ashrrev_i32_e32 v15, 31, v14
	v_lshl_add_u64 v[14:15], v[14:15], 2, s[8:9]
	global_load_dword v14, v[14:15], off
	s_load_dwordx2 s[2:3], s[2:3], 0x0
	v_max_f32_e32 v1, v7, v7
	s_waitcnt lgkmcnt(0)
	v_max_f32_e64 v13, s2, s2
	v_max_f32_e32 v1, v1, v13
	v_sub_f32_e32 v13, v7, v1
	v_sub_f32_e32 v15, s2, v1
	v_mul_f32_e32 v16, 0x3fb8aa3b, v13
	v_mul_f32_e32 v17, 0x3fb8aa3b, v15
	v_fma_f32 v18, v13, s4, -v16
	v_rndne_f32_e32 v19, v16
	v_fma_f32 v20, v15, s4, -v17
	v_rndne_f32_e32 v21, v17
	v_fmac_f32_e32 v18, 0x32a5705f, v13
	v_sub_f32_e32 v16, v16, v19
	v_fmac_f32_e32 v20, 0x32a5705f, v15
	v_sub_f32_e32 v17, v17, v21
	v_add_f32_e32 v16, v16, v18
	v_cvt_i32_f32_e32 v19, v19
	v_add_f32_e32 v17, v17, v20
	v_exp_f32_e32 v16, v16
	v_cvt_i32_f32_e32 v21, v21
	v_exp_f32_e32 v17, v17
	v_cmp_ngt_f32_e32 vcc, s12, v13
	v_ldexp_f32 v16, v16, v19
	v_ldexp_f32 v17, v17, v21
	v_cndmask_b32_e32 v16, 0, v16, vcc
	v_cmp_ngt_f32_e32 vcc, s12, v15
	s_nop 1
	v_cndmask_b32_e32 v17, 0, v17, vcc
	v_cmp_nlt_f32_e32 vcc, s14, v13
	s_nop 1
	v_cndmask_b32_e32 v16, v12, v16, vcc
	v_cmp_nlt_f32_e32 vcc, s14, v15
	s_nop 1
	v_cndmask_b32_e32 v17, v12, v17, vcc
	v_cmp_le_f32_e32 vcc, s20, v13
	s_nop 1
	v_cndmask_b32_e32 v16, 0, v16, vcc
	v_cmp_le_f32_e32 vcc, s20, v15
	s_nop 1
	v_cndmask_b32_e32 v15, 0, v17, vcc
	v_mul_f32_e32 v13, s3, v15
	v_fmac_f32_e32 v13, v6, v16
	s_waitcnt vmcnt(0)
	v_mul_f32_e32 v14, v14, v15
	v_fmac_f32_e32 v14, v5, v16
	s_cbranch_execnz .LBB7_19
.LBB7_18:
	s_add_i32 s7, s13, -1
	s_mov_b64 s[0:1], 0
	v_mov_b32_e32 v0, v8
	v_mov_b32_e32 v13, v6
	;; [unrolled: 1-line block ×3, first 2 shown]
	s_waitcnt vmcnt(0)
	v_mov_b32_e32 v14, v5
.LBB7_19:
	s_andn2_b64 vcc, exec, s[0:1]
	s_cbranch_vccz .LBB7_23
; %bb.20:
	v_mov_b32_e32 v8, v0
	s_mov_b32 s13, s7
	v_mov_b32_e32 v6, v13
	v_mov_b32_e32 v7, v1
	s_waitcnt vmcnt(0)
	v_mov_b32_e32 v5, v14
	s_mul_hi_i32 s7, s13, s15
	s_cmp_lg_u64 s[6:7], 0
	s_mul_i32 s2, s13, s15
	s_cbranch_scc1 .LBB7_9
	s_branch .LBB7_15
.LBB7_21:
                                        ; implicit-def: $sgpr20_sgpr21
	s_load_dwordx4 s[16:19], s[0:1], 0x44
	s_branch .LBB7_2
.LBB7_22:
                                        ; implicit-def: $vgpr2_vgpr3
	s_branch .LBB7_5
.LBB7_23:
	v_div_scale_f32 v0, s[0:1], v13, v13, v14
	v_rcp_f32_e32 v1, v0
	v_div_scale_f32 v4, vcc, v14, v13, v14
	s_waitcnt vmcnt(0)
	v_fma_f32 v5, -v0, v1, 1.0
	v_fmac_f32_e32 v1, v5, v1
	v_mul_f32_e32 v5, v4, v1
	v_fma_f32 v6, -v0, v5, v4
	v_fmac_f32_e32 v5, v6, v1
	v_fma_f32 v0, -v0, v5, v4
	v_div_fmas_f32 v0, v0, v1, v5
	v_div_fixup_f32 v0, v0, v13, v14
	global_store_dword v[2:3], v0, off
.LBB7_24:
	s_endpgm
	.section	.rodata,"a",@progbits
	.p2align	6, 0x0
	.amdhsa_kernel _ZL33flash_attn_stream_k_fixup_generalILi64ELi32ELi1EEvPfPK15HIP_vector_typeIfLj2EEiiiiS1_IjLj3EES5_S5_S5_
		.amdhsa_group_segment_fixed_size 0
		.amdhsa_private_segment_fixed_size 0
		.amdhsa_kernarg_size 336
		.amdhsa_user_sgpr_count 2
		.amdhsa_user_sgpr_dispatch_ptr 0
		.amdhsa_user_sgpr_queue_ptr 0
		.amdhsa_user_sgpr_kernarg_segment_ptr 1
		.amdhsa_user_sgpr_dispatch_id 0
		.amdhsa_user_sgpr_kernarg_preload_length 0
		.amdhsa_user_sgpr_kernarg_preload_offset 0
		.amdhsa_user_sgpr_private_segment_size 0
		.amdhsa_uses_dynamic_stack 0
		.amdhsa_enable_private_segment 0
		.amdhsa_system_sgpr_workgroup_id_x 1
		.amdhsa_system_sgpr_workgroup_id_y 1
		.amdhsa_system_sgpr_workgroup_id_z 1
		.amdhsa_system_sgpr_workgroup_info 0
		.amdhsa_system_vgpr_workitem_id 0
		.amdhsa_next_free_vgpr 22
		.amdhsa_next_free_sgpr 32
		.amdhsa_accum_offset 24
		.amdhsa_reserve_vcc 1
		.amdhsa_float_round_mode_32 0
		.amdhsa_float_round_mode_16_64 0
		.amdhsa_float_denorm_mode_32 3
		.amdhsa_float_denorm_mode_16_64 3
		.amdhsa_dx10_clamp 1
		.amdhsa_ieee_mode 1
		.amdhsa_fp16_overflow 0
		.amdhsa_tg_split 0
		.amdhsa_exception_fp_ieee_invalid_op 0
		.amdhsa_exception_fp_denorm_src 0
		.amdhsa_exception_fp_ieee_div_zero 0
		.amdhsa_exception_fp_ieee_overflow 0
		.amdhsa_exception_fp_ieee_underflow 0
		.amdhsa_exception_fp_ieee_inexact 0
		.amdhsa_exception_int_div_zero 0
	.end_amdhsa_kernel
	.section	.text._ZL33flash_attn_stream_k_fixup_generalILi64ELi32ELi1EEvPfPK15HIP_vector_typeIfLj2EEiiiiS1_IjLj3EES5_S5_S5_,"axG",@progbits,_ZL33flash_attn_stream_k_fixup_generalILi64ELi32ELi1EEvPfPK15HIP_vector_typeIfLj2EEiiiiS1_IjLj3EES5_S5_S5_,comdat
.Lfunc_end7:
	.size	_ZL33flash_attn_stream_k_fixup_generalILi64ELi32ELi1EEvPfPK15HIP_vector_typeIfLj2EEiiiiS1_IjLj3EES5_S5_S5_, .Lfunc_end7-_ZL33flash_attn_stream_k_fixup_generalILi64ELi32ELi1EEvPfPK15HIP_vector_typeIfLj2EEiiiiS1_IjLj3EES5_S5_S5_
                                        ; -- End function
	.section	.AMDGPU.csdata,"",@progbits
; Kernel info:
; codeLenInByte = 2856
; NumSgprs: 38
; NumVgprs: 22
; NumAgprs: 0
; TotalNumVgprs: 22
; ScratchSize: 0
; MemoryBound: 0
; FloatMode: 240
; IeeeMode: 1
; LDSByteSize: 0 bytes/workgroup (compile time only)
; SGPRBlocks: 4
; VGPRBlocks: 2
; NumSGPRsForWavesPerEU: 38
; NumVGPRsForWavesPerEU: 22
; AccumOffset: 24
; Occupancy: 8
; WaveLimiterHint : 0
; COMPUTE_PGM_RSRC2:SCRATCH_EN: 0
; COMPUTE_PGM_RSRC2:USER_SGPR: 2
; COMPUTE_PGM_RSRC2:TRAP_HANDLER: 0
; COMPUTE_PGM_RSRC2:TGID_X_EN: 1
; COMPUTE_PGM_RSRC2:TGID_Y_EN: 1
; COMPUTE_PGM_RSRC2:TGID_Z_EN: 1
; COMPUTE_PGM_RSRC2:TIDIG_COMP_CNT: 0
; COMPUTE_PGM_RSRC3_GFX90A:ACCUM_OFFSET: 5
; COMPUTE_PGM_RSRC3_GFX90A:TG_SPLIT: 0
	.section	.text._ZL26flash_attn_combine_resultsILi64EEvPKfPK15HIP_vector_typeIfLj2EEPfi,"axG",@progbits,_ZL26flash_attn_combine_resultsILi64EEvPKfPK15HIP_vector_typeIfLj2EEPfi,comdat
	.globl	_ZL26flash_attn_combine_resultsILi64EEvPKfPK15HIP_vector_typeIfLj2EEPfi ; -- Begin function _ZL26flash_attn_combine_resultsILi64EEvPKfPK15HIP_vector_typeIfLj2EEPfi
	.p2align	8
	.type	_ZL26flash_attn_combine_resultsILi64EEvPKfPK15HIP_vector_typeIfLj2EEPfi,@function
_ZL26flash_attn_combine_resultsILi64EEvPKfPK15HIP_vector_typeIfLj2EEPfi: ; @_ZL26flash_attn_combine_resultsILi64EEvPKfPK15HIP_vector_typeIfLj2EEPfi
; %bb.0:
	s_load_dwordx2 s[6:7], s[0:1], 0x20
	s_load_dword s19, s[0:1], 0x18
	s_load_dwordx4 s[8:11], s[0:1], 0x0
	s_load_dwordx2 s[14:15], s[0:1], 0x10
	s_waitcnt lgkmcnt(0)
	s_mul_i32 s0, s6, s4
	s_add_i32 s0, s0, s2
	s_mul_i32 s18, s0, s7
	s_add_i32 s18, s18, s3
	s_lshl_b32 s20, s19, 1
	s_mul_i32 s0, s18, s19
	v_cmp_gt_i32_e32 vcc, s20, v0
	s_and_saveexec_b64 s[2:3], vcc
	s_cbranch_execz .LBB8_13
; %bb.1:
	v_xad_u32 v1, v0, -1, s20
	s_ashr_i32 s1, s0, 31
	v_cmp_lt_u32_e32 vcc, 63, v1
	s_mov_b64 s[6:7], -1
	v_mov_b32_e32 v2, v0
	s_and_saveexec_b64 s[4:5], vcc
	s_cbranch_execz .LBB8_10
; %bb.2:
	v_lshrrev_b32_e32 v6, 6, v1
	s_lshl_b64 s[6:7], s[0:1], 3
	v_add_u32_e32 v2, -1, v6
	s_add_u32 s6, s10, s6
	v_or_b32_e32 v1, 64, v0
	v_lshrrev_b32_e32 v3, 1, v2
	s_addc_u32 s7, s11, s7
	v_add_u32_e32 v7, 1, v3
	v_cmp_lt_u32_e32 vcc, 13, v2
	v_mov_b32_e32 v4, 0
	v_mov_b64_e32 v[2:3], v[0:1]
	s_and_saveexec_b64 s[12:13], vcc
	s_cbranch_execz .LBB8_6
; %bb.3:
	v_and_b32_e32 v8, -8, v7
	s_mov_b32 s21, 0
	v_lshl_add_u32 v9, v0, 2, 0
	s_mov_b64 s[16:17], 0
	v_mov_b32_e32 v5, 0
	v_mov_b64_e32 v[2:3], v[0:1]
.LBB8_4:                                ; =>This Inner Loop Header: Depth=1
	v_mov_b32_e32 v4, v2
	v_lshl_add_u64 v[24:25], v[4:5], 2, s[6:7]
	v_mov_b32_e32 v4, v3
	v_lshl_add_u64 v[26:27], v[4:5], 2, s[6:7]
	v_add_u32_e32 v4, 0x80, v2
	v_add_u32_e32 v10, 0x80, v3
	v_mov_b32_e32 v11, v5
	global_load_dword v1, v[24:25], off
	global_load_dword v28, v[26:27], off
	v_lshl_add_u64 v[24:25], v[4:5], 2, s[6:7]
	v_add_u32_e32 v4, 0x100, v2
	v_lshl_add_u64 v[10:11], v[10:11], 2, s[6:7]
	v_lshl_add_u64 v[26:27], v[4:5], 2, s[6:7]
	v_add_u32_e32 v4, 0x180, v2
	v_add_u32_e32 v12, 0x100, v3
	v_mov_b32_e32 v13, v5
	v_add_u32_e32 v14, 0x180, v3
	v_mov_b32_e32 v15, v5
	global_load_dword v29, v[24:25], off
	global_load_dword v30, v[10:11], off
	v_lshl_add_u64 v[10:11], v[4:5], 2, s[6:7]
	v_add_u32_e32 v4, 0x200, v2
	v_lshl_add_u64 v[12:13], v[12:13], 2, s[6:7]
	v_lshl_add_u64 v[14:15], v[14:15], 2, s[6:7]
	global_load_dword v24, v[26:27], off
	global_load_dword v25, v[12:13], off
	;; [unrolled: 1-line block ×4, first 2 shown]
	v_lshl_add_u64 v[10:11], v[4:5], 2, s[6:7]
	v_add_u32_e32 v4, 0x280, v2
	v_add_u32_e32 v16, 0x200, v3
	v_mov_b32_e32 v17, v5
	v_add_u32_e32 v18, 0x280, v3
	v_mov_b32_e32 v19, v5
	v_lshl_add_u64 v[12:13], v[4:5], 2, s[6:7]
	v_add_u32_e32 v4, 0x300, v2
	v_add_u32_e32 v20, 0x300, v3
	v_mov_b32_e32 v21, v5
	v_add_u32_e32 v22, 0x380, v3
	v_mov_b32_e32 v23, v5
	v_lshl_add_u64 v[16:17], v[16:17], 2, s[6:7]
	v_lshl_add_u64 v[18:19], v[18:19], 2, s[6:7]
	global_load_dword v14, v[10:11], off
	global_load_dword v15, v[16:17], off
	v_lshl_add_u64 v[10:11], v[4:5], 2, s[6:7]
	v_add_u32_e32 v4, 0x380, v2
	v_lshl_add_u64 v[20:21], v[20:21], 2, s[6:7]
	v_lshl_add_u64 v[22:23], v[22:23], 2, s[6:7]
	global_load_dword v16, v[12:13], off
	global_load_dword v17, v[18:19], off
	v_lshl_add_u64 v[12:13], v[4:5], 2, s[6:7]
	global_load_dword v18, v[10:11], off
	global_load_dword v19, v[20:21], off
	;; [unrolled: 1-line block ×4, first 2 shown]
	v_add_u32_e32 v8, -8, v8
	s_add_i32 s21, s21, 16
	v_cmp_eq_u32_e32 vcc, 0, v8
	v_add_u32_e32 v3, 0x400, v3
	v_mov_b32_e32 v4, s21
	s_or_b64 s[16:17], vcc, s[16:17]
	v_add_u32_e32 v2, 0x400, v2
	s_waitcnt vmcnt(14)
	ds_write2st64_b32 v9, v1, v28 offset1:1
	s_waitcnt vmcnt(12)
	ds_write2st64_b32 v9, v29, v30 offset0:2 offset1:3
	s_waitcnt vmcnt(10)
	ds_write2st64_b32 v9, v24, v25 offset0:4 offset1:5
	;; [unrolled: 2-line block ×7, first 2 shown]
	v_add_u32_e32 v9, 0x1000, v9
	s_andn2_b64 exec, exec, s[16:17]
	s_cbranch_execnz .LBB8_4
; %bb.5:
	s_or_b64 exec, exec, s[16:17]
.LBB8_6:
	s_or_b64 exec, exec, s[12:13]
	v_and_b32_e32 v1, 7, v7
	v_cmp_ne_u32_e32 vcc, 0, v1
	s_and_saveexec_b64 s[12:13], vcc
	s_cbranch_execz .LBB8_9
; %bb.7:
	v_lshlrev_b32_e32 v5, 2, v0
	v_lshl_or_b32 v4, v4, 8, v5
	v_add_u32_e32 v7, 0, v4
	s_mov_b64 s[16:17], 0
	v_mov_b32_e32 v5, 0
.LBB8_8:                                ; =>This Inner Loop Header: Depth=1
	v_mov_b32_e32 v4, v2
	v_lshl_add_u64 v[8:9], v[4:5], 2, s[6:7]
	v_mov_b32_e32 v4, v3
	v_lshl_add_u64 v[10:11], v[4:5], 2, s[6:7]
	global_load_dword v4, v[8:9], off
	global_load_dword v12, v[10:11], off
	v_add_u32_e32 v1, -1, v1
	v_cmp_eq_u32_e32 vcc, 0, v1
	v_add_u32_e32 v2, 0x80, v2
	v_add_u32_e32 v3, 0x80, v3
	s_or_b64 s[16:17], vcc, s[16:17]
	s_waitcnt vmcnt(0)
	ds_write2st64_b32 v7, v4, v12 offset1:1
	v_add_u32_e32 v7, 0x200, v7
	s_andn2_b64 exec, exec, s[16:17]
	s_cbranch_execnz .LBB8_8
.LBB8_9:
	s_or_b64 exec, exec, s[12:13]
	v_add_u32_e32 v1, 1, v6
	v_and_b32_e32 v3, 0x7fffffe, v1
	v_cmp_ne_u32_e32 vcc, v1, v3
	v_lshl_or_b32 v2, v3, 6, v0
	s_orn2_b64 s[6:7], vcc, exec
.LBB8_10:
	s_or_b64 exec, exec, s[4:5]
	s_and_b64 exec, exec, s[6:7]
	s_cbranch_execz .LBB8_13
; %bb.11:
	s_lshl_b64 s[4:5], s[0:1], 3
	s_add_u32 s4, s10, s4
	v_mov_b32_e32 v3, 0
	s_addc_u32 s5, s11, s5
	v_lshl_add_u64 v[4:5], v[2:3], 2, s[4:5]
	v_lshl_add_u32 v1, v2, 2, 0
	s_mov_b64 s[4:5], 0
	s_mov_b64 s[6:7], 0x100
.LBB8_12:                               ; =>This Inner Loop Header: Depth=1
	global_load_dword v3, v[4:5], off
	v_add_u32_e32 v2, 64, v2
	v_cmp_le_i32_e32 vcc, s20, v2
	v_lshl_add_u64 v[4:5], v[4:5], 0, s[6:7]
	s_or_b64 s[4:5], vcc, s[4:5]
	s_waitcnt vmcnt(0)
	ds_write_b32 v1, v3
	v_add_u32_e32 v1, 0x100, v1
	s_andn2_b64 exec, exec, s[4:5]
	s_cbranch_execnz .LBB8_12
.LBB8_13:
	s_or_b64 exec, exec, s[2:3]
	v_mov_b32_e32 v1, 0
	s_waitcnt lgkmcnt(0)
	; wave barrier
	s_waitcnt lgkmcnt(0)
	ds_read_b32 v1, v1
	s_cmp_lt_i32 s19, 2
	s_cbranch_scc1 .LBB8_21
; %bb.14:
	s_add_i32 s1, s19, -1
	s_add_i32 s2, s19, -2
	s_cmp_lt_u32 s2, 7
	s_cbranch_scc1 .LBB8_18
; %bb.15:
	s_mov_b32 s4, 0
	s_add_i32 s2, 0, 8
	s_and_b32 s3, s1, -8
.LBB8_16:                               ; =>This Inner Loop Header: Depth=1
	v_mov_b32_e32 v8, s2
	ds_read2_b32 v[2:3], v8 offset1:2
	ds_read2_b32 v[4:5], v8 offset0:4 offset1:6
	ds_read2_b32 v[6:7], v8 offset0:8 offset1:10
	;; [unrolled: 1-line block ×3, first 2 shown]
	s_mov_b32 s5, s4
	s_waitcnt lgkmcnt(3)
	v_max3_f32 v1, v1, v2, v3
	s_waitcnt lgkmcnt(2)
	v_max3_f32 v1, v1, v4, v5
	s_add_i32 s2, s2, 64
	s_add_i32 s4, s4, 8
	s_waitcnt lgkmcnt(1)
	v_max3_f32 v1, v1, v6, v7
	s_cmp_eq_u32 s3, s4
	s_waitcnt lgkmcnt(0)
	v_max3_f32 v1, v1, v8, v9
	s_cbranch_scc0 .LBB8_16
; %bb.17:
	s_add_i32 s2, s5, 9
	s_and_b32 s1, s1, 7
	s_cmp_eq_u32 s1, 0
	s_cbranch_scc0 .LBB8_19
	s_branch .LBB8_21
.LBB8_18:
	s_mov_b32 s2, 1
	s_and_b32 s1, s1, 7
	s_cmp_eq_u32 s1, 0
	s_cbranch_scc1 .LBB8_21
.LBB8_19:
	s_lshl_b32 s2, s2, 3
	s_add_i32 s2, s2, 0
.LBB8_20:                               ; =>This Inner Loop Header: Depth=1
	v_mov_b32_e32 v2, s2
	ds_read_b32 v2, v2
	s_waitcnt lgkmcnt(1)
	v_max_f32_e32 v1, v1, v1
	s_add_i32 s2, s2, 8
	s_add_i32 s1, s1, -1
	s_cmp_lg_u32 s1, 0
	s_waitcnt lgkmcnt(0)
	v_max_f32_e32 v2, v2, v2
	v_max_f32_e32 v1, v1, v2
	s_cbranch_scc1 .LBB8_20
.LBB8_21:
	s_cmp_lt_i32 s19, 1
	s_cbranch_scc1 .LBB8_26
; %bb.22:
	s_lshl_b32 s0, s0, 6
	s_ashr_i32 s1, s0, 31
	s_lshl_b64 s[0:1], s[0:1], 2
	s_add_u32 s16, s8, s0
	s_addc_u32 s17, s9, s1
	s_cmp_lt_u32 s19, 8
	v_mov_b32_e32 v6, 0
	s_cbranch_scc1 .LBB8_27
; %bb.23:
	s_and_b32 s20, s19, 0x7ffffff8
	v_or_b32_e32 v2, 0x1c0, v0
	s_mov_b32 s21, 0
	v_mov_b32_e32 v5, 0
	s_mov_b32 s22, 0x3fb8aa3b
	s_mov_b32 s23, 0xc2ce8ed0
	;; [unrolled: 1-line block ×3, first 2 shown]
	v_mov_b32_e32 v8, 0x7f800000
	s_mov_b32 s25, 0
	v_mov_b32_e32 v7, 0
	v_mov_b32_e32 v6, 0
.LBB8_24:                               ; =>This Inner Loop Header: Depth=1
	v_add_u32_e32 v4, 0xfffffe40, v2
	v_mov_b32_e32 v9, s21
	v_mov_b32_e32 v3, v5
	v_lshl_add_u64 v[26:27], v[4:5], 2, s[16:17]
	v_add_u32_e32 v4, 0xfffffe80, v2
	ds_read2_b64 v[10:13], v9 offset1:1
	ds_read2_b64 v[14:17], v9 offset0:2 offset1:3
	ds_read2_b64 v[18:21], v9 offset0:4 offset1:5
	;; [unrolled: 1-line block ×3, first 2 shown]
	v_lshl_add_u64 v[28:29], v[2:3], 2, s[16:17]
	v_lshl_add_u64 v[30:31], v[4:5], 2, s[16:17]
	v_add_u32_e32 v4, 0xfffffec0, v2
	global_load_dword v3, v[26:27], off
	global_load_dword v9, v[30:31], off
	s_waitcnt lgkmcnt(3)
	v_sub_f32_e32 v10, v10, v1
	global_load_dword v28, v[28:29], off
	v_lshl_add_u64 v[26:27], v[4:5], 2, s[16:17]
	global_load_dword v32, v[26:27], off
	v_add_u32_e32 v4, 0xffffff00, v2
	v_lshl_add_u64 v[30:31], v[4:5], 2, s[16:17]
	v_add_u32_e32 v4, 0xffffff40, v2
	v_lshl_add_u64 v[26:27], v[4:5], 2, s[16:17]
	v_add_u32_e32 v4, 0xffffff80, v2
	global_load_dword v33, v[30:31], off
	global_load_dword v34, v[26:27], off
	v_lshl_add_u64 v[30:31], v[4:5], 2, s[16:17]
	v_subrev_u32_e32 v4, 64, v2
	v_lshl_add_u64 v[26:27], v[4:5], 2, s[16:17]
	global_load_dword v30, v[30:31], off
	v_sub_f32_e32 v12, v12, v1
	global_load_dword v26, v[26:27], off
	v_mul_f32_e32 v35, 0x3fb8aa3b, v10
	v_mul_f32_e32 v36, 0x3fb8aa3b, v12
	s_waitcnt lgkmcnt(2)
	v_sub_f32_e32 v14, v14, v1
	v_sub_f32_e32 v16, v16, v1
	s_waitcnt lgkmcnt(1)
	v_sub_f32_e32 v18, v18, v1
	v_sub_f32_e32 v20, v20, v1
	s_waitcnt lgkmcnt(0)
	v_sub_f32_e32 v22, v22, v1
	v_fma_f32 v31, v10, s22, -v35
	v_rndne_f32_e32 v42, v35
	v_fma_f32 v43, v12, s22, -v36
	v_rndne_f32_e32 v44, v36
	v_mul_f32_e32 v37, 0x3fb8aa3b, v14
	v_mul_f32_e32 v38, 0x3fb8aa3b, v16
	v_mul_f32_e32 v39, 0x3fb8aa3b, v18
	v_mul_f32_e32 v40, 0x3fb8aa3b, v20
	v_mul_f32_e32 v41, 0x3fb8aa3b, v22
	v_fmac_f32_e32 v31, 0x32a5705f, v10
	v_sub_f32_e32 v35, v35, v42
	v_fmac_f32_e32 v43, 0x32a5705f, v12
	v_sub_f32_e32 v36, v36, v44
	v_fma_f32 v45, v14, s22, -v37
	v_rndne_f32_e32 v46, v37
	v_fma_f32 v47, v16, s22, -v38
	v_rndne_f32_e32 v48, v38
	;; [unrolled: 2-line block ×4, first 2 shown]
	v_add_f32_e32 v31, v35, v31
	v_fma_f32 v35, v22, s22, -v41
	v_add_f32_e32 v36, v36, v43
	v_rndne_f32_e32 v43, v41
	v_fmac_f32_e32 v45, 0x32a5705f, v14
	v_sub_f32_e32 v37, v37, v46
	v_fmac_f32_e32 v47, 0x32a5705f, v16
	v_sub_f32_e32 v38, v38, v48
	v_cvt_i32_f32_e32 v42, v42
	v_fmac_f32_e32 v49, 0x32a5705f, v18
	v_sub_f32_e32 v39, v39, v50
	v_fmac_f32_e32 v27, 0x32a5705f, v20
	v_sub_f32_e32 v40, v40, v29
	;; [unrolled: 2-line block ×3, first 2 shown]
	v_exp_f32_e32 v31, v31
	v_add_f32_e32 v37, v37, v45
	v_add_f32_e32 v38, v38, v47
	v_cvt_i32_f32_e32 v44, v44
	v_add_f32_e32 v39, v39, v49
	v_add_f32_e32 v27, v40, v27
	;; [unrolled: 1-line block ×3, first 2 shown]
	v_exp_f32_e32 v36, v36
	v_sub_f32_e32 v24, v24, v1
	v_cvt_i32_f32_e32 v46, v46
	v_cvt_i32_f32_e32 v48, v48
	;; [unrolled: 1-line block ×5, first 2 shown]
	v_exp_f32_e32 v37, v37
	v_exp_f32_e32 v38, v38
	;; [unrolled: 1-line block ×5, first 2 shown]
	v_mul_f32_e32 v4, 0x3fb8aa3b, v24
	v_fma_f32 v45, v24, s22, -v4
	v_rndne_f32_e32 v47, v4
	v_ldexp_f32 v31, v31, v42
	v_cmp_ngt_f32_e64 s[12:13], s23, v10
	v_fmac_f32_e32 v45, 0x32a5705f, v24
	v_sub_f32_e32 v4, v4, v47
	v_ldexp_f32 v36, v36, v44
	v_cmp_ngt_f32_e32 vcc, s23, v12
	v_cndmask_b32_e64 v31, 0, v31, s[12:13]
	v_cmp_nlt_f32_e64 s[12:13], s24, v10
	v_add_f32_e32 v4, v4, v45
	v_ldexp_f32 v37, v37, v46
	v_cmp_ngt_f32_e64 s[0:1], s23, v14
	v_ldexp_f32 v38, v38, v48
	v_cmp_ngt_f32_e64 s[2:3], s23, v16
	;; [unrolled: 2-line block ×5, first 2 shown]
	v_cndmask_b32_e32 v35, 0, v36, vcc
	v_cmp_nlt_f32_e32 vcc, s24, v12
	v_cndmask_b32_e64 v10, v8, v31, s[12:13]
	v_cvt_i32_f32_e32 v47, v47
	v_exp_f32_e32 v4, v4
	v_cndmask_b32_e64 v12, 0, v37, s[0:1]
	v_cmp_nlt_f32_e64 s[0:1], s24, v14
	v_cndmask_b32_e64 v14, 0, v38, s[2:3]
	v_cmp_nlt_f32_e64 s[2:3], s24, v16
	;; [unrolled: 2-line block ×5, first 2 shown]
	v_cndmask_b32_e32 v22, v8, v35, vcc
	v_fmac_f32_e32 v7, v10, v11
	s_waitcnt vmcnt(7)
	v_fmac_f32_e32 v6, v3, v10
	v_cndmask_b32_e64 v12, v8, v12, s[0:1]
	v_fmac_f32_e32 v7, v22, v13
	s_waitcnt vmcnt(6)
	v_fmac_f32_e32 v6, v9, v22
	v_cndmask_b32_e64 v14, v8, v14, s[2:3]
	;; [unrolled: 4-line block ×3, first 2 shown]
	v_fmac_f32_e32 v7, v14, v17
	s_waitcnt vmcnt(3)
	v_fmac_f32_e32 v6, v33, v14
	v_ldexp_f32 v4, v4, v47
	v_cmp_ngt_f32_e64 s[10:11], s23, v24
	v_cndmask_b32_e64 v18, v8, v18, s[6:7]
	v_fmac_f32_e32 v7, v16, v19
	s_waitcnt vmcnt(2)
	v_fmac_f32_e32 v6, v34, v16
	v_cndmask_b32_e64 v4, 0, v4, s[10:11]
	v_cmp_nlt_f32_e64 s[10:11], s24, v24
	v_cndmask_b32_e64 v20, v8, v20, s[8:9]
	v_fmac_f32_e32 v7, v18, v21
	s_waitcnt vmcnt(1)
	v_fmac_f32_e32 v6, v30, v18
	s_add_i32 s25, s25, 8
	s_add_i32 s21, s21, 64
	v_cndmask_b32_e64 v4, v8, v4, s[10:11]
	v_fmac_f32_e32 v7, v20, v23
	s_waitcnt vmcnt(0)
	v_fmac_f32_e32 v6, v26, v20
	s_cmp_eq_u32 s20, s25
	v_add_u32_e32 v2, 0x200, v2
	v_fmac_f32_e32 v7, v4, v25
	v_fmac_f32_e32 v6, v28, v4
	s_cbranch_scc0 .LBB8_24
; %bb.25:
	s_and_b32 s0, s19, 7
	s_cmp_eq_u32 s0, 0
	s_cbranch_scc0 .LBB8_28
	s_branch .LBB8_30
.LBB8_26:
	s_waitcnt lgkmcnt(0)
	v_mov_b32_e32 v1, 0x7fc00000
	s_branch .LBB8_31
.LBB8_27:
	s_mov_b32 s20, 0
	v_mov_b32_e32 v7, 0
	s_and_b32 s0, s19, 7
	s_cmp_eq_u32 s0, 0
	s_cbranch_scc1 .LBB8_30
.LBB8_28:
	s_lshl_b32 s1, s20, 3
	v_lshl_or_b32 v2, s20, 6, v0
	s_add_i32 s1, s1, 0
	s_mov_b32 s2, 0x3fb8aa3b
	s_mov_b32 s3, 0xc2ce8ed0
	;; [unrolled: 1-line block ×3, first 2 shown]
	v_mov_b32_e32 v4, 0x7f800000
	v_mov_b32_e32 v3, 0
.LBB8_29:                               ; =>This Inner Loop Header: Depth=1
	v_lshl_add_u64 v[8:9], v[2:3], 2, s[16:17]
	global_load_dword v5, v[8:9], off
	v_mov_b32_e32 v8, s1
	ds_read_b64 v[8:9], v8
	s_add_i32 s1, s1, 8
	s_add_i32 s0, s0, -1
	v_add_u32_e32 v2, 64, v2
	s_cmp_lg_u32 s0, 0
	s_waitcnt lgkmcnt(0)
	v_sub_f32_e32 v8, v8, v1
	v_mul_f32_e32 v10, 0x3fb8aa3b, v8
	v_fma_f32 v11, v8, s2, -v10
	v_rndne_f32_e32 v12, v10
	v_fmac_f32_e32 v11, 0x32a5705f, v8
	v_sub_f32_e32 v10, v10, v12
	v_add_f32_e32 v10, v10, v11
	v_cvt_i32_f32_e32 v12, v12
	v_exp_f32_e32 v10, v10
	v_cmp_ngt_f32_e32 vcc, s3, v8
	v_ldexp_f32 v10, v10, v12
	s_nop 0
	v_cndmask_b32_e32 v10, 0, v10, vcc
	v_cmp_nlt_f32_e32 vcc, s4, v8
	s_nop 1
	v_cndmask_b32_e32 v8, v4, v10, vcc
	v_fmac_f32_e32 v7, v8, v9
	s_waitcnt vmcnt(0)
	v_fmac_f32_e32 v6, v5, v8
	s_cbranch_scc1 .LBB8_29
.LBB8_30:
	s_waitcnt lgkmcnt(0)
	v_div_scale_f32 v1, s[0:1], v7, v7, v6
	v_rcp_f32_e32 v2, v1
	v_div_scale_f32 v3, vcc, v6, v7, v6
	v_fma_f32 v4, -v1, v2, 1.0
	v_fmac_f32_e32 v2, v4, v2
	v_mul_f32_e32 v4, v3, v2
	v_fma_f32 v5, -v1, v4, v3
	v_fmac_f32_e32 v4, v5, v2
	v_fma_f32 v1, -v1, v4, v3
	v_div_fmas_f32 v1, v1, v2, v4
	v_div_fixup_f32 v1, v1, v7, v6
.LBB8_31:
	s_lshl_b32 s0, s18, 6
	s_ashr_i32 s1, s0, 31
	s_lshl_b64 s[0:1], s[0:1], 2
	s_add_u32 s0, s14, s0
	s_addc_u32 s1, s15, s1
	v_lshlrev_b32_e32 v0, 2, v0
	global_store_dword v0, v1, s[0:1]
	s_endpgm
	.section	.rodata,"a",@progbits
	.p2align	6, 0x0
	.amdhsa_kernel _ZL26flash_attn_combine_resultsILi64EEvPKfPK15HIP_vector_typeIfLj2EEPfi
		.amdhsa_group_segment_fixed_size 0
		.amdhsa_private_segment_fixed_size 0
		.amdhsa_kernarg_size 288
		.amdhsa_user_sgpr_count 2
		.amdhsa_user_sgpr_dispatch_ptr 0
		.amdhsa_user_sgpr_queue_ptr 0
		.amdhsa_user_sgpr_kernarg_segment_ptr 1
		.amdhsa_user_sgpr_dispatch_id 0
		.amdhsa_user_sgpr_kernarg_preload_length 0
		.amdhsa_user_sgpr_kernarg_preload_offset 0
		.amdhsa_user_sgpr_private_segment_size 0
		.amdhsa_uses_dynamic_stack 0
		.amdhsa_enable_private_segment 0
		.amdhsa_system_sgpr_workgroup_id_x 1
		.amdhsa_system_sgpr_workgroup_id_y 1
		.amdhsa_system_sgpr_workgroup_id_z 1
		.amdhsa_system_sgpr_workgroup_info 0
		.amdhsa_system_vgpr_workitem_id 0
		.amdhsa_next_free_vgpr 51
		.amdhsa_next_free_sgpr 26
		.amdhsa_accum_offset 52
		.amdhsa_reserve_vcc 1
		.amdhsa_float_round_mode_32 0
		.amdhsa_float_round_mode_16_64 0
		.amdhsa_float_denorm_mode_32 3
		.amdhsa_float_denorm_mode_16_64 3
		.amdhsa_dx10_clamp 1
		.amdhsa_ieee_mode 1
		.amdhsa_fp16_overflow 0
		.amdhsa_tg_split 0
		.amdhsa_exception_fp_ieee_invalid_op 0
		.amdhsa_exception_fp_denorm_src 0
		.amdhsa_exception_fp_ieee_div_zero 0
		.amdhsa_exception_fp_ieee_overflow 0
		.amdhsa_exception_fp_ieee_underflow 0
		.amdhsa_exception_fp_ieee_inexact 0
		.amdhsa_exception_int_div_zero 0
	.end_amdhsa_kernel
	.section	.text._ZL26flash_attn_combine_resultsILi64EEvPKfPK15HIP_vector_typeIfLj2EEPfi,"axG",@progbits,_ZL26flash_attn_combine_resultsILi64EEvPKfPK15HIP_vector_typeIfLj2EEPfi,comdat
.Lfunc_end8:
	.size	_ZL26flash_attn_combine_resultsILi64EEvPKfPK15HIP_vector_typeIfLj2EEPfi, .Lfunc_end8-_ZL26flash_attn_combine_resultsILi64EEvPKfPK15HIP_vector_typeIfLj2EEPfi
                                        ; -- End function
	.section	.AMDGPU.csdata,"",@progbits
; Kernel info:
; codeLenInByte = 2788
; NumSgprs: 32
; NumVgprs: 51
; NumAgprs: 0
; TotalNumVgprs: 51
; ScratchSize: 0
; MemoryBound: 0
; FloatMode: 240
; IeeeMode: 1
; LDSByteSize: 0 bytes/workgroup (compile time only)
; SGPRBlocks: 3
; VGPRBlocks: 6
; NumSGPRsForWavesPerEU: 32
; NumVGPRsForWavesPerEU: 51
; AccumOffset: 52
; Occupancy: 8
; WaveLimiterHint : 0
; COMPUTE_PGM_RSRC2:SCRATCH_EN: 0
; COMPUTE_PGM_RSRC2:USER_SGPR: 2
; COMPUTE_PGM_RSRC2:TRAP_HANDLER: 0
; COMPUTE_PGM_RSRC2:TGID_X_EN: 1
; COMPUTE_PGM_RSRC2:TGID_Y_EN: 1
; COMPUTE_PGM_RSRC2:TGID_Z_EN: 1
; COMPUTE_PGM_RSRC2:TIDIG_COMP_CNT: 0
; COMPUTE_PGM_RSRC3_GFX90A:ACCUM_OFFSET: 12
; COMPUTE_PGM_RSRC3_GFX90A:TG_SPLIT: 0
	.section	.text._ZL18flash_attn_ext_f16ILi80ELi80ELi32ELi1ELb0ELb0EEvPKcS1_S1_S1_S1_PKiPfP15HIP_vector_typeIfLj2EEffffjfiS5_IjLj3EEiiiiiiiiiiiliiliiiiil,"axG",@progbits,_ZL18flash_attn_ext_f16ILi80ELi80ELi32ELi1ELb0ELb0EEvPKcS1_S1_S1_S1_PKiPfP15HIP_vector_typeIfLj2EEffffjfiS5_IjLj3EEiiiiiiiiiiiliiliiiiil,comdat
	.globl	_ZL18flash_attn_ext_f16ILi80ELi80ELi32ELi1ELb0ELb0EEvPKcS1_S1_S1_S1_PKiPfP15HIP_vector_typeIfLj2EEffffjfiS5_IjLj3EEiiiiiiiiiiiliiliiiiil ; -- Begin function _ZL18flash_attn_ext_f16ILi80ELi80ELi32ELi1ELb0ELb0EEvPKcS1_S1_S1_S1_PKiPfP15HIP_vector_typeIfLj2EEffffjfiS5_IjLj3EEiiiiiiiiiiiliiliiiiil
	.p2align	8
	.type	_ZL18flash_attn_ext_f16ILi80ELi80ELi32ELi1ELb0ELb0EEvPKcS1_S1_S1_S1_PKiPfP15HIP_vector_typeIfLj2EEffffjfiS5_IjLj3EEiiiiiiiiiiiliiliiiiil,@function
_ZL18flash_attn_ext_f16ILi80ELi80ELi32ELi1ELb0ELb0EEvPKcS1_S1_S1_S1_PKiPfP15HIP_vector_typeIfLj2EEffffjfiS5_IjLj3EEiiiiiiiiiiiliiliiiiil: ; @_ZL18flash_attn_ext_f16ILi80ELi80ELi32ELi1ELb0ELb0EEvPKcS1_S1_S1_S1_PKiPfP15HIP_vector_typeIfLj2EEffffjfiS5_IjLj3EEiiiiiiiiiiiliiliiiiil
; %bb.0:
	s_load_dwordx2 s[10:11], s[0:1], 0x80
	s_load_dwordx4 s[72:75], s[0:1], 0x64
	s_mov_b32 s51, s2
                                        ; implicit-def: $vgpr221 : SGPR spill to VGPR lane
	s_load_dword s54, s[0:1], 0xd0
	s_mov_b32 s4, 0
	s_waitcnt lgkmcnt(0)
	s_abs_i32 s2, s11
	v_cvt_f32_u32_e32 v1, s2
	s_sub_i32 s6, 0, s2
	s_abs_i32 s5, s73
	s_xor_b32 s3, s73, s11
	v_rcp_iflag_f32_e32 v1, v1
	s_ashr_i32 s3, s3, 31
	v_cvt_f32_u32_e32 v2, s54
	v_cvt_f32_ubyte0_e32 v3, 0
	v_mul_f32_e32 v1, 0x4f7ffffe, v1
	v_cvt_u32_f32_e32 v1, v1
	s_nop 0
	v_readfirstlane_b32 s7, v1
	s_mul_i32 s6, s6, s7
	s_mul_hi_u32 s6, s7, s6
	s_add_i32 s7, s7, s6
	s_mul_hi_u32 s6, s5, s7
	s_mul_i32 s7, s6, s2
	s_sub_i32 s5, s5, s7
	s_add_i32 s8, s6, 1
	s_sub_i32 s7, s5, s2
	s_cmp_ge_u32 s5, s2
	s_cselect_b32 s6, s8, s6
	s_cselect_b32 s5, s7, s5
	s_add_i32 s7, s6, 1
	s_cmp_ge_u32 s5, s2
	s_cselect_b32 s2, s7, s6
	s_add_i32 s5, s10, 63
	s_xor_b32 s2, s2, s3
	s_ashr_i32 s6, s5, 31
	s_sub_i32 s3, s2, s3
	s_lshr_b32 s2, s6, 26
	s_add_i32 s5, s5, s2
	s_add_i32 s2, s72, 31
	s_lshr_b32 s2, s2, 5
	s_ashr_i32 s5, s5, 6
	v_writelane_b32 v221, s2, 0
	v_writelane_b32 v221, s5, 1
	s_mul_i32 s2, s2, s5
	v_writelane_b32 v221, s3, 2
	v_writelane_b32 v221, s2, 3
	s_mul_i32 s3, s2, s3
	s_mov_b32 s2, s10
	v_writelane_b32 v221, s2, 4
	s_nop 1
	v_writelane_b32 v221, s3, 5
	s_mul_i32 s2, s3, s11
	s_mul_i32 s6, s2, s74
	v_writelane_b32 v221, s3, 6
	s_ashr_i32 s7, s6, 31
	v_writelane_b32 v221, s2, 7
	s_mul_i32 s2, s7, s51
	s_mul_hi_u32 s3, s6, s51
	s_add_i32 s5, s3, s2
	s_mul_i32 s8, s6, s51
	s_cmp_lg_u64 s[4:5], 0
	s_cbranch_scc0 .LBB9_2
; %bb.1:
	v_fmamk_f32 v1, v3, 0x4f800000, v2
	v_rcp_f32_e32 v1, v1
	s_sub_u32 s4, 0, s54
	s_subb_u32 s9, 0, 0
	s_mov_b64 s[2:3], 0
	v_mul_f32_e32 v1, 0x5f7ffffc, v1
	v_mul_f32_e32 v4, 0x2f800000, v1
	v_trunc_f32_e32 v4, v4
	v_fmamk_f32 v1, v4, 0xcf800000, v1
	v_cvt_u32_f32_e32 v4, v4
	v_cvt_u32_f32_e32 v1, v1
	v_readfirstlane_b32 s10, v4
	v_readfirstlane_b32 s11, v1
	s_mul_hi_u32 s13, s4, s11
	s_mul_i32 s14, s4, s10
	s_mul_i32 s12, s9, s11
	s_add_i32 s13, s13, s14
	s_add_i32 s13, s13, s12
	s_mul_i32 s15, s4, s11
	s_mul_hi_u32 s12, s11, s13
	s_mul_i32 s14, s11, s13
	s_mul_hi_u32 s11, s11, s15
	s_add_u32 s11, s11, s14
	s_addc_u32 s12, 0, s12
	s_mul_hi_u32 s16, s10, s15
	s_mul_i32 s15, s10, s15
	s_add_u32 s11, s11, s15
	s_mul_hi_u32 s14, s10, s13
	s_addc_u32 s11, s12, s16
	s_addc_u32 s12, s14, 0
	s_mul_i32 s13, s10, s13
	s_add_u32 s11, s11, s13
	s_addc_u32 s12, 0, s12
	v_add_co_u32_e32 v1, vcc, s11, v1
	s_cmp_lg_u64 vcc, 0
	s_addc_u32 s10, s10, s12
	v_readfirstlane_b32 s12, v1
	s_mul_i32 s11, s4, s10
	s_mul_hi_u32 s13, s4, s12
	s_add_i32 s11, s13, s11
	s_mul_i32 s9, s9, s12
	s_add_i32 s11, s11, s9
	s_mul_i32 s4, s4, s12
	s_mul_hi_u32 s13, s10, s4
	s_mul_i32 s14, s10, s4
	s_mul_i32 s16, s12, s11
	s_mul_hi_u32 s4, s12, s4
	s_mul_hi_u32 s15, s12, s11
	s_add_u32 s4, s4, s16
	s_addc_u32 s12, 0, s15
	s_add_u32 s4, s4, s14
	s_mul_hi_u32 s9, s10, s11
	s_addc_u32 s4, s12, s13
	s_addc_u32 s9, s9, 0
	s_mul_i32 s11, s10, s11
	s_add_u32 s4, s4, s11
	s_addc_u32 s9, 0, s9
	v_add_co_u32_e32 v1, vcc, s4, v1
	s_cmp_lg_u64 vcc, 0
	s_addc_u32 s9, s10, s9
	s_ashr_i32 s10, s5, 31
	s_add_u32 s4, s8, s10
	s_mov_b32 s11, s10
	s_addc_u32 s5, s5, s10
	s_xor_b64 s[4:5], s[4:5], s[10:11]
	v_readfirstlane_b32 s14, v1
	s_mul_i32 s13, s4, s9
	s_mul_hi_u32 s15, s4, s14
	s_mul_hi_u32 s12, s4, s9
	s_add_u32 s13, s15, s13
	s_addc_u32 s12, 0, s12
	s_mul_hi_u32 s16, s5, s14
	s_mul_i32 s14, s5, s14
	s_add_u32 s13, s13, s14
	s_mul_hi_u32 s15, s5, s9
	s_addc_u32 s12, s12, s16
	s_addc_u32 s13, s15, 0
	s_mul_i32 s9, s5, s9
	s_add_u32 s9, s12, s9
	s_addc_u32 s12, 0, s13
	s_add_u32 s13, s9, 1
	s_addc_u32 s14, s12, 0
	s_add_u32 s15, s9, 2
	s_mul_i32 s17, s54, s12
	s_mul_hi_u32 s18, s54, s9
	s_addc_u32 s16, s12, 0
	s_add_i32 s18, s18, s17
	s_mul_i32 s17, s54, s9
	v_mov_b32_e32 v1, s17
	v_sub_co_u32_e32 v1, vcc, s4, v1
	s_cmp_lg_u64 vcc, 0
	s_subb_u32 s4, s5, s18
	v_subrev_co_u32_e32 v4, vcc, s54, v1
	s_cmp_lg_u64 vcc, 0
	s_subb_u32 s5, s4, 0
	v_readfirstlane_b32 s17, v4
	s_cmp_ge_u32 s17, s54
	s_cselect_b32 s17, -1, 0
	s_cmp_eq_u32 s5, 0
	s_cselect_b32 s5, s17, -1
	s_cmp_lg_u32 s5, 0
	s_cselect_b32 s5, s16, s14
	v_readfirstlane_b32 s14, v1
	s_cselect_b32 s13, s15, s13
	s_cmp_ge_u32 s14, s54
	s_cselect_b32 s14, -1, 0
	s_cmp_eq_u32 s4, 0
	s_cselect_b32 s4, s14, -1
	s_cmp_lg_u32 s4, 0
	s_cselect_b32 s5, s5, s12
	s_cselect_b32 s4, s13, s9
	s_xor_b64 s[4:5], s[4:5], s[10:11]
	s_sub_u32 s98, s4, s10
	s_branch .LBB9_3
.LBB9_2:
	s_mov_b64 s[2:3], -1
                                        ; implicit-def: $sgpr98_sgpr99
.LBB9_3:
	s_load_dwordx2 s[4:5], s[0:1], 0x74
	v_cvt_f32_u32_e32 v1, s54
	s_andn2_b64 vcc, exec, s[2:3]
	s_waitcnt lgkmcnt(0)
	v_writelane_b32 v221, s4, 8
	s_nop 1
	v_writelane_b32 v221, s5, 9
	s_cbranch_vccnz .LBB9_5
; %bb.4:
	v_rcp_iflag_f32_e32 v4, v1
	s_sub_i32 s2, 0, s54
	v_mul_f32_e32 v4, 0x4f7ffffe, v4
	v_cvt_u32_f32_e32 v4, v4
	s_nop 0
	v_readfirstlane_b32 s3, v4
	s_mul_i32 s2, s2, s3
	s_mul_hi_u32 s2, s3, s2
	s_add_i32 s3, s3, s2
	s_mul_hi_u32 s2, s8, s3
	s_mul_i32 s4, s2, s54
	s_sub_i32 s4, s8, s4
	s_add_i32 s3, s2, 1
	s_sub_i32 s5, s4, s54
	s_cmp_ge_u32 s4, s54
	s_cselect_b32 s2, s3, s2
	s_cselect_b32 s4, s5, s4
	s_add_i32 s3, s2, 1
	s_cmp_ge_u32 s4, s54
	s_cselect_b32 s98, s3, s2
.LBB9_5:
	s_add_i32 s4, s51, 1
	s_mul_i32 s2, s7, s4
	s_mul_hi_u32 s3, s6, s4
	s_add_i32 s3, s3, s2
	s_mov_b32 s2, 0
	s_cmp_lg_u64 s[2:3], 0
	s_mul_i32 s2, s6, s4
	s_cbranch_scc0 .LBB9_279
; %bb.6:
	v_fmamk_f32 v2, v3, 0x4f800000, v2
	v_rcp_f32_e32 v2, v2
	s_sub_u32 s6, 0, s54
	s_subb_u32 s7, 0, 0
	v_mul_f32_e32 v2, 0x5f7ffffc, v2
	v_mul_f32_e32 v3, 0x2f800000, v2
	v_trunc_f32_e32 v3, v3
	v_fmamk_f32 v2, v3, 0xcf800000, v2
	v_cvt_u32_f32_e32 v3, v3
	v_cvt_u32_f32_e32 v2, v2
	v_readfirstlane_b32 s8, v3
	v_readfirstlane_b32 s9, v2
	s_mul_hi_u32 s11, s6, s9
	s_mul_i32 s12, s6, s8
	s_mul_i32 s10, s7, s9
	s_add_i32 s11, s11, s12
	s_add_i32 s11, s11, s10
	s_mul_i32 s13, s6, s9
	s_mul_hi_u32 s10, s9, s11
	s_mul_i32 s12, s9, s11
	s_mul_hi_u32 s9, s9, s13
	s_add_u32 s9, s9, s12
	s_addc_u32 s10, 0, s10
	s_mul_hi_u32 s14, s8, s13
	s_mul_i32 s13, s8, s13
	s_add_u32 s9, s9, s13
	s_mul_hi_u32 s12, s8, s11
	s_addc_u32 s9, s10, s14
	s_addc_u32 s10, s12, 0
	s_mul_i32 s11, s8, s11
	s_add_u32 s9, s9, s11
	s_addc_u32 s10, 0, s10
	v_add_co_u32_e32 v2, vcc, s9, v2
	s_cmp_lg_u64 vcc, 0
	s_addc_u32 s8, s8, s10
	v_readfirstlane_b32 s10, v2
	s_mul_i32 s9, s6, s8
	s_mul_hi_u32 s11, s6, s10
	s_add_i32 s9, s11, s9
	s_mul_i32 s7, s7, s10
	s_add_i32 s9, s9, s7
	s_mul_i32 s6, s6, s10
	s_mul_hi_u32 s11, s8, s6
	s_mul_i32 s12, s8, s6
	s_mul_i32 s14, s10, s9
	s_mul_hi_u32 s6, s10, s6
	s_mul_hi_u32 s13, s10, s9
	s_add_u32 s6, s6, s14
	s_addc_u32 s10, 0, s13
	s_add_u32 s6, s6, s12
	s_mul_hi_u32 s7, s8, s9
	s_addc_u32 s6, s10, s11
	s_addc_u32 s7, s7, 0
	s_mul_i32 s9, s8, s9
	s_add_u32 s6, s6, s9
	s_addc_u32 s7, 0, s7
	v_add_co_u32_e32 v2, vcc, s6, v2
	s_cmp_lg_u64 vcc, 0
	s_addc_u32 s10, s8, s7
	s_ashr_i32 s6, s3, 31
	s_add_u32 s8, s2, s6
	s_mov_b32 s7, s6
	s_addc_u32 s9, s3, s6
	s_xor_b64 s[8:9], s[8:9], s[6:7]
	v_readfirstlane_b32 s12, v2
	s_mul_i32 s11, s8, s10
	s_mul_hi_u32 s13, s8, s12
	s_mul_hi_u32 s3, s8, s10
	s_add_u32 s11, s13, s11
	s_addc_u32 s3, 0, s3
	s_mul_hi_u32 s14, s9, s12
	s_mul_i32 s12, s9, s12
	s_add_u32 s11, s11, s12
	s_mul_hi_u32 s13, s9, s10
	s_addc_u32 s3, s3, s14
	s_addc_u32 s11, s13, 0
	s_mul_i32 s10, s9, s10
	s_add_u32 s3, s3, s10
	s_addc_u32 s10, 0, s11
	s_add_u32 s11, s3, 1
	s_addc_u32 s12, s10, 0
	s_add_u32 s13, s3, 2
	s_mul_i32 s15, s54, s10
	s_mul_hi_u32 s16, s54, s3
	s_addc_u32 s14, s10, 0
	s_add_i32 s16, s16, s15
	s_mul_i32 s15, s54, s3
	v_mov_b32_e32 v2, s15
	v_sub_co_u32_e32 v2, vcc, s8, v2
	s_cmp_lg_u64 vcc, 0
	s_subb_u32 s8, s9, s16
	v_subrev_co_u32_e32 v3, vcc, s54, v2
	s_cmp_lg_u64 vcc, 0
	s_subb_u32 s9, s8, 0
	v_readfirstlane_b32 s15, v3
	s_cmp_ge_u32 s15, s54
	s_cselect_b32 s15, -1, 0
	s_cmp_eq_u32 s9, 0
	s_cselect_b32 s9, s15, -1
	s_cmp_lg_u32 s9, 0
	s_cselect_b32 s9, s14, s12
	v_readfirstlane_b32 s12, v2
	s_cselect_b32 s11, s13, s11
	s_cmp_ge_u32 s12, s54
	s_cselect_b32 s12, -1, 0
	s_cmp_eq_u32 s8, 0
	s_cselect_b32 s8, s12, -1
	s_cmp_lg_u32 s8, 0
	s_cselect_b32 s9, s9, s10
	s_cselect_b32 s8, s11, s3
	s_xor_b64 s[8:9], s[8:9], s[6:7]
	s_sub_u32 s6, s8, s6
	v_writelane_b32 v221, s6, 10
	s_nop 1
	v_writelane_b32 v221, s7, 11
	s_load_dwordx2 s[86:87], s[0:1], 0x5c
	s_cbranch_execnz .LBB9_8
.LBB9_7:
	v_rcp_iflag_f32_e32 v1, v1
	s_sub_i32 s3, 0, s54
	v_mul_f32_e32 v1, 0x4f7ffffe, v1
	v_cvt_u32_f32_e32 v1, v1
	s_nop 0
	v_readfirstlane_b32 s4, v1
	s_mul_i32 s3, s3, s4
	s_mul_hi_u32 s3, s4, s3
	s_add_i32 s4, s4, s3
	s_mul_hi_u32 s3, s2, s4
	s_mul_i32 s5, s3, s54
	s_sub_i32 s2, s2, s5
	s_add_i32 s4, s3, 1
	s_sub_i32 s5, s2, s54
	s_cmp_ge_u32 s2, s54
	s_cselect_b32 s3, s4, s3
	s_cselect_b32 s2, s5, s2
	s_add_i32 s4, s3, 1
	s_cmp_ge_u32 s2, s54
	s_cselect_b32 s2, s4, s3
	v_writelane_b32 v221, s2, 10
	s_nop 1
	v_writelane_b32 v221, s3, 11
.LBB9_8:
	s_load_dwordx16 s[56:71], s[0:1], 0x0
	s_load_dwordx4 s[12:15], s[0:1], 0x40
	s_load_dword s2, s[0:1], 0x50
	s_ashr_i32 s90, s75, 3
	v_bfe_u32 v98, v0, 10, 10
	s_mov_b32 s81, 0
	v_lshlrev_b32_e32 v100, 3, v98
	s_waitcnt lgkmcnt(0)
	v_writelane_b32 v221, s2, 12
	s_load_dwordx2 s[2:3], s[0:1], 0x8c
	s_load_dwordx4 s[4:7], s[0:1], 0x98
	s_load_dwordx2 s[8:9], s[0:1], 0xa8
	s_load_dwordx2 s[34:35], s[0:1], 0xb8
	s_nop 0
	s_load_dwordx2 s[0:1], s[0:1], 0xc8
	v_lshlrev_b32_e32 v99, 4, v98
	s_waitcnt lgkmcnt(0)
	s_ashr_i32 s88, s2, 2
	s_ashr_i32 s74, s6, 2
	v_writelane_b32 v221, s8, 13
	s_ashr_i32 s76, s35, 1
	v_and_b32_e32 v101, 1, v98
	v_writelane_b32 v221, s9, 14
	v_writelane_b32 v221, s0, 15
	v_mbcnt_lo_u32_b32 v102, -1, 0
	s_nop 0
	v_writelane_b32 v221, s1, 16
	s_mov_b32 s1, s3
	v_readlane_b32 s8, v221, 1
	s_abs_i32 s33, s8
	v_cvt_f32_u32_e32 v1, s33
	v_writelane_b32 v221, s0, 17
	s_mov_b32 s3, s7
	v_rcp_iflag_f32_e32 v1, v1
	v_writelane_b32 v221, s1, 18
	s_mov_b64 s[0:1], s[4:5]
	v_writelane_b32 v221, s0, 19
	v_mul_f32_e32 v1, 0x4f7ffffe, v1
	v_cvt_u32_f32_e32 v1, v1
	v_writelane_b32 v221, s1, 20
	v_writelane_b32 v221, s2, 21
	;; [unrolled: 1-line block ×3, first 2 shown]
	s_sub_i32 s2, 0, s33
	v_readfirstlane_b32 s3, v1
	s_mul_i32 s2, s2, s3
	s_ashr_i32 s1, s8, 31
	s_mul_hi_u32 s2, s3, s2
	v_writelane_b32 v221, s1, 23
	s_abs_i32 s1, s98
	s_add_i32 s41, s3, s2
	s_mul_hi_u32 s2, s1, s41
	s_mul_i32 s2, s2, s33
	s_sub_i32 s1, s1, s2
	s_ashr_i32 s0, s98, 31
	s_sub_i32 s2, s1, s33
	s_cmp_ge_u32 s1, s33
	s_cselect_b32 s1, s2, s1
	s_sub_i32 s2, s1, s33
	s_cmp_ge_u32 s1, s33
	s_cselect_b32 s1, s2, s1
	s_xor_b32 s1, s1, s0
	s_sub_i32 s40, s1, s0
	v_readlane_b32 s0, v221, 10
	v_readlane_b32 s1, v221, 11
	v_writelane_b32 v221, s56, 24
	s_mov_b32 s4, s0
	s_sub_i32 s0, s0, s98
	v_writelane_b32 v221, s57, 25
	v_writelane_b32 v221, s58, 26
	;; [unrolled: 1-line block ×7, first 2 shown]
	s_add_i32 s2, s0, s40
	v_writelane_b32 v221, s64, 32
	s_min_i32 s92, s8, s2
	v_writelane_b32 v221, s65, 33
	s_cmp_gt_i32 s4, s98
	v_writelane_b32 v221, s66, 34
	s_cselect_b64 s[26:27], -1, 0
	s_cmp_le_i32 s4, s98
	v_writelane_b32 v221, s67, 35
	s_cselect_b64 s[0:1], -1, 0
	s_cmp_gt_i32 s8, s2
	v_writelane_b32 v221, s68, 36
	s_cselect_b64 s[2:3], -1, 0
	v_writelane_b32 v221, s69, 37
	v_cvt_f16_f32_e32 v1, s12
	s_or_b64 s[0:1], s[2:3], s[0:1]
	v_writelane_b32 v221, s70, 38
	s_and_b64 vcc, exec, s[0:1]
	v_writelane_b32 v221, s71, 39
	s_mov_b64 s[2:3], s[14:15]
	s_mov_b32 s1, s13
	v_writelane_b32 v221, s0, 40
	v_pack_b32_f16 v23, v1, v1
	s_nop 0
	v_writelane_b32 v221, s1, 41
	v_writelane_b32 v221, s2, 42
	;; [unrolled: 1-line block ×3, first 2 shown]
	s_cbranch_vccnz .LBB9_236
; %bb.9:
	s_cmp_lg_u64 s[62:63], 0
	v_writelane_b32 v221, s54, 44
	s_cselect_b64 s[0:1], -1, 0
	v_writelane_b32 v221, s0, 45
	s_cmp_eq_u64 s[64:65], 0
	v_and_b32_e32 v22, 0x3ff, v0
	v_writelane_b32 v221, s1, 46
	s_mul_i32 s0, s72, s73
	v_writelane_b32 v221, s0, 47
	s_cselect_b64 s[0:1], -1, 0
	v_writelane_b32 v221, s0, 48
	v_lshrrev_b32_e32 v2, 3, v22
	s_cmp_lg_u64 s[66:67], 0
	v_writelane_b32 v221, s1, 49
	v_cmp_nle_f32_e64 s[0:1], s13, 0
	v_and_b32_e32 v3, 15, v22
	v_and_b32_e32 v5, 30, v2
	v_writelane_b32 v221, s0, 50
	v_mul_u32_u24_e32 v4, 0xb0, v3
	v_lshlrev_b32_e32 v6, 2, v5
	v_writelane_b32 v221, s1, 51
	s_cselect_b64 s[0:1], -1, 0
	v_writelane_b32 v221, s0, 52
	v_add3_u32 v45, 0, v4, v6
	v_lshrrev_b32_e32 v4, 1, v22
	v_lshlrev_b32_e32 v6, 2, v22
	v_writelane_b32 v221, s1, 53
	s_movk_i32 s0, 0xb0
	v_lshl_add_u32 v103, v98, 5, v4
	v_and_b32_e32 v24, 4, v6
	v_mad_u32_u24 v4, v103, s0, 0
	v_lshlrev_b32_e32 v7, 2, v24
	s_movk_i32 s1, 0x80
	v_add3_u32 v104, v4, v7, s1
	v_lshrrev_b32_e32 v7, 2, v22
	v_and_b32_e32 v8, 60, v7
	v_mul_u32_u24_e32 v9, 0x58, v8
	v_and_b32_e32 v11, 8, v100
	s_movk_i32 s1, 0x160
	v_or_b32_e32 v7, 3, v7
	v_mul_u32_u24_e32 v10, 0xb0, v8
	v_or_b32_e32 v9, v9, v3
	v_mul_u32_u24_e32 v12, 0x160, v11
	v_mad_u32_u24 v13, v11, s1, 0
	v_lshlrev_b32_e32 v14, 1, v3
	v_mul_u32_u24_e32 v7, 0xb0, v7
	v_lshlrev_b32_e32 v9, 1, v9
	v_add3_u32 v106, v13, v10, v14
	v_add3_u32 v10, 0, 32, v12
	v_add_u32_e32 v105, v13, v9
	v_add3_u32 v107, v13, v7, v14
	v_add_u32_e32 v108, v10, v9
	v_mad_u32_u24 v13, v8, s0, v10
	v_add3_u32 v110, v10, v7, v14
	v_add3_u32 v10, 0, 64, v12
	s_add_i32 s3, 0, 0x60
	v_add_u32_e32 v111, v10, v9
	v_mad_u32_u24 v12, v8, s0, v10
	v_add3_u32 v113, v10, v7, v14
	v_mov_b32_e32 v10, s3
	v_lshrrev_b32_e32 v1, 5, v22
	v_add_u32_e32 v27, v100, v2
	s_movk_i32 s2, 0x1600
	v_mad_u32_u24 v10, v11, s1, v10
	s_add_i32 s3, 0, 0x80
	v_and_b32_e32 v26, 28, v6
	v_mul_u32_u24_e32 v4, 0xb0, v27
	v_add3_u32 v112, v12, v14, s2
	v_add_u32_e32 v114, v10, v9
	v_mad_u32_u24 v12, v8, s0, v10
	v_add3_u32 v116, v10, v7, v14
	v_mov_b32_e32 v10, s3
	v_lshlrev_b32_e32 v6, 2, v26
	v_add_u32_e32 v121, v1, v98
	v_lshl_add_u32 v25, v98, 1, v1
	v_mad_u32_u24 v10, v11, s1, v10
	v_add3_u32 v120, 0, v4, v6
	v_or_b32_e32 v4, v99, v3
	v_lshl_add_u32 v122, v98, 2, v2
	v_lshlrev_b32_e32 v1, 1, v121
	v_and_b32_e32 v2, 15, v121
	s_movk_i32 s1, 0x3e0
	v_add_u32_e32 v123, 4, v121
	v_mad_u32_u24 v6, v4, 44, v5
	v_and_or_b32 v1, v1, s1, v2
	v_lshlrev_b32_e32 v4, 1, v123
	v_and_b32_e32 v5, 15, v123
	s_movk_i32 s1, 0x7e0
	v_add_u32_e32 v124, 8, v121
	v_add_u32_e32 v117, v10, v9
	v_mad_u32_u24 v9, v8, s0, v10
	v_add3_u32 v119, v10, v7, v14
	v_and_or_b32 v7, v4, s1, v5
	v_lshlrev_b32_e32 v4, 1, v124
	v_and_b32_e32 v5, 15, v124
	v_add_u32_e32 v125, 12, v121
	v_add3_u32 v118, v9, v14, s2
	v_and_or_b32 v9, v4, s1, v5
	v_lshlrev_b32_e32 v4, 1, v125
	v_and_b32_e32 v5, 15, v125
	v_add_u32_e32 v126, 16, v121
	v_and_or_b32 v10, v4, s1, v5
	v_lshlrev_b32_e32 v4, 1, v126
	v_add_u32_e32 v127, 20, v121
	s_lshl_b32 s80, s51, 5
	v_and_or_b32 v11, v4, s1, v2
	v_lshlrev_b32_e32 v2, 1, v127
	v_and_b32_e32 v4, 15, v127
	v_add_u32_e32 v128, 24, v121
	s_ashr_i32 s77, s76, 31
	s_ashr_i32 s89, s88, 31
	;; [unrolled: 1-line block ×3, first 2 shown]
	v_add3_u32 v109, v13, v14, s2
	v_add3_u32 v115, v12, v14, s2
	v_writelane_b32 v221, s51, 54
	s_lshl_b64 s[2:3], s[80:81], 3
	v_and_or_b32 v12, v2, s1, v4
	v_lshlrev_b32_e32 v2, 1, v128
	v_and_b32_e32 v4, 15, v128
	v_add_u32_e32 v129, 28, v121
	s_add_u32 s14, s70, s2
	v_and_or_b32 v13, v2, s1, v4
	v_lshlrev_b32_e32 v2, 1, v129
	v_and_b32_e32 v4, 15, v129
	v_readlane_b32 s19, v221, 7
	s_addc_u32 s15, s71, s3
	v_and_or_b32 v14, v2, s1, v4
	v_lshlrev_b32_e32 v2, 1, v122
	v_and_b32_e32 v4, 15, v122
	s_movk_i32 s1, 0xfe0
	s_abs_i32 s20, s19
	v_readlane_b32 s18, v221, 6
	v_and_or_b32 v15, v2, s1, v4
	v_cvt_f32_u32_e32 v2, s20
	s_abs_i32 s21, s18
	v_cvt_f32_u32_e32 v5, s21
	v_add_u32_e32 v130, 16, v122
	v_rcp_iflag_f32_e32 v2, v2
	v_lshlrev_b32_e32 v16, 1, v130
	v_rcp_iflag_f32_e32 v5, v5
	s_movk_i32 s1, 0x1fe0
	v_readlane_b32 s17, v221, 3
	v_and_or_b32 v16, v16, s1, v4
	v_mul_f32_e32 v2, 0x4f7ffffe, v2
	s_abs_i32 s22, s17
	s_abs_i32 s1, s34
	v_cvt_u32_f32_e32 v2, v2
	v_mul_f32_e32 v4, 0x4f7ffffe, v5
	v_cvt_f32_u32_e32 v5, s22
	v_cvt_f32_u32_e32 v17, s1
	s_mov_b32 s2, s34
	v_writelane_b32 v221, s2, 55
	v_cvt_u32_f32_e32 v4, v4
	v_rcp_iflag_f32_e32 v5, v5
	v_writelane_b32 v221, s3, 56
	v_readfirstlane_b32 s2, v2
	v_rcp_iflag_f32_e32 v2, v17
	v_readfirstlane_b32 s3, v4
	v_mul_f32_e32 v4, 0x4f7ffffe, v5
	v_cvt_u32_f32_e32 v4, v4
	v_mul_f32_e32 v2, 0x4f7ffffe, v2
	v_cvt_u32_f32_e32 v2, v2
	v_writelane_b32 v221, s1, 57
	s_sub_i32 s1, 0, s1
	v_readfirstlane_b32 s16, v4
	v_mul_lo_u32 v4, s1, v2
	v_and_b32_e32 v28, 7, v22
	v_mul_hi_u32 v4, v2, v4
	v_add_u32_e32 v131, v2, v4
	v_mad_u32_u24 v2, v27, 44, v28
	v_lshl_add_u32 v132, v2, 2, 0
	v_and_b32_e32 v2, 0x7f0, v100
	v_or_b32_e32 v3, v2, v3
	v_mad_u32_u24 v133, v2, s0, v45
	v_mul_u32_u24_e32 v2, 0x90, v98
	v_lshlrev_b32_e32 v30, 1, v22
	v_add3_u32 v134, 0, v2, v30
	v_and_b32_e32 v2, 16, v99
	s_movk_i32 s8, 0x90
	v_add_u32_e32 v135, v2, v8
	v_add_u16_e32 v4, v2, v8
	v_mul_u32_u24_e32 v136, 0xb0, v2
	v_mad_u32_u24 v2, v3, s8, 0
	v_lshrrev_b16_e32 v3, 1, v4
	v_add_u32_e32 v138, 32, v135
	v_add_u32_e32 v140, 34, v135
	v_lshl_add_u32 v137, v3, 2, v2
	v_lshl_add_u32 v139, v138, 1, v2
	;; [unrolled: 1-line block ×3, first 2 shown]
	v_add_u32_e32 v2, v99, v22
	v_and_b32_e32 v44, 31, v22
	v_mul_u32_u24_e32 v143, 0xb0, v2
	v_add_u32_e32 v2, v99, v44
	v_mul_u32_u24_e32 v144, 0xb0, v2
	v_or_b32_e32 v2, v100, v22
	v_lshlrev_b32_e32 v4, 3, v2
	v_mov_b32_e32 v2, 0
	v_mov_b32_e32 v5, v2
	v_lshl_add_u64 v[46:47], s[14:15], 0, v[4:5]
	s_mul_i32 s14, s73, 40
	v_writelane_b32 v221, s14, 58
	s_ashr_i32 s14, s19, 31
	v_writelane_b32 v221, s14, 59
	s_sub_i32 s14, 0, s20
	s_mul_i32 s14, s14, s2
	s_mul_hi_u32 s14, s2, s14
	v_writelane_b32 v221, s20, 60
	s_add_i32 s2, s2, s14
	v_writelane_b32 v221, s2, 61
	s_ashr_i32 s2, s18, 31
	v_writelane_b32 v221, s2, 62
	s_sub_i32 s2, 0, s21
	s_mul_i32 s2, s2, s3
	s_mul_hi_u32 s2, s3, s2
	s_add_i32 s2, s3, s2
                                        ; implicit-def: $vgpr220 : SGPR spill to VGPR lane
	v_mul_u32_u24_e32 v147, 0xb0, v1
	v_writelane_b32 v220, s2, 0
	s_ashr_i32 s2, s17, 31
	v_writelane_b32 v220, s2, 1
	s_sub_i32 s2, 0, s22
	s_mul_i32 s2, s2, s16
	v_mad_u32_u24 v1, v1, 44, v44
	s_mul_hi_u32 s2, s16, s2
	v_lshl_add_u32 v148, v1, 2, 0
	v_mad_u32_u24 v1, v7, 44, v44
	v_writelane_b32 v220, s22, 2
	s_add_i32 s2, s16, s2
	v_lshl_add_u32 v150, v1, 2, 0
	v_mad_u32_u24 v1, v9, 44, v44
	v_writelane_b32 v220, s2, 3
	v_cmp_eq_u32_e64 s[2:3], 0, v101
	v_lshl_add_u32 v152, v1, 2, 0
	v_mad_u32_u24 v1, v10, 44, v44
	v_writelane_b32 v220, s2, 4
	v_lshl_add_u32 v154, v1, 2, 0
	v_mad_u32_u24 v1, v11, 44, v44
	v_writelane_b32 v220, s3, 5
	v_cmp_eq_u32_e64 s[2:3], 1, v101
	v_lshl_add_u32 v156, v1, 2, 0
	v_mad_u32_u24 v1, v12, 44, v44
	v_writelane_b32 v220, s2, 6
	v_lshl_add_u32 v158, v1, 2, 0
	v_mad_u32_u24 v1, v13, 44, v44
	v_writelane_b32 v220, s3, 7
	v_cmp_gt_u32_e64 s[2:3], 16, v22
	v_lshl_add_u32 v160, v1, 2, 0
	v_mad_u32_u24 v1, v14, 44, v44
	v_writelane_b32 v220, s2, 8
	v_lshl_add_u32 v162, v1, 2, 0
	v_mad_u32_u24 v1, v15, 44, v28
	v_writelane_b32 v220, s3, 9
	v_cmp_gt_u32_e64 s[2:3], 32, v22
	v_lshl_add_u32 v164, v1, 2, 0
	v_mad_u32_u24 v1, v16, 44, v28
	s_mov_b64 s[26:27], s[76:77]
	v_writelane_b32 v220, s2, 10
	v_mul_lo_u32 v32, s88, v103
	v_mul_lo_u32 v38, s74, v103
	v_lshl_add_u32 v166, v1, 2, 0
	v_and_b32_e32 v1, 1, v22
	v_writelane_b32 v220, s3, 11
	s_mov_b32 s2, s26
	v_ashrrev_i32_e32 v33, 31, v32
	v_mul_lo_u32 v34, s88, v27
	v_ashrrev_i32_e32 v39, 31, v38
	v_add_u32_e32 v142, 32, v27
	v_lshlrev_b32_e32 v4, 4, v1
	v_writelane_b32 v220, s2, 12
	v_lshl_add_u32 v36, s88, 5, v34
	v_mul_lo_u32 v40, s74, v142
	v_mul_lo_u32 v42, s74, v27
	v_lshl_add_u32 v145, v6, 2, 0
	v_mul_u32_u24_e32 v149, 0xb0, v7
	v_lshl_add_u64 v[6:7], v[38:39], 2, v[4:5]
	v_lshl_add_u64 v[4:5], v[32:33], 2, v[4:5]
	v_writelane_b32 v220, s3, 13
	s_lshl_b64 s[2:3], s[26:27], 1
	s_mov_b64 s[82:83], src_private_base
	v_ashrrev_i32_e32 v35, 31, v34
	v_ashrrev_i32_e32 v37, 31, v36
	;; [unrolled: 1-line block ×4, first 2 shown]
	v_mad_u32_u24 v3, v25, 44, v44
	v_lshl_add_u64 v[6:7], v[6:7], 0, s[60:61]
	s_mov_b64 s[30:31], 0x80
	v_lshl_add_u64 v[4:5], v[4:5], 0, s[58:59]
	v_writelane_b32 v220, s2, 14
	v_cmp_lt_u32_e64 s[0:1], 63, v22
	s_mov_b32 s79, 0
	v_cmp_gt_u32_e64 s[52:53], 64, v103
	v_cmp_gt_u32_e64 s[4:5], 64, v27
	;; [unrolled: 1-line block ×6, first 2 shown]
	v_lshl_add_u32 v146, v3, 2, 0
	v_mul_u32_u24_e32 v151, 0xb0, v9
	v_mul_u32_u24_e32 v153, 0xb0, v10
	;; [unrolled: 1-line block ×8, first 2 shown]
	v_writelane_b32 v221, s21, 63
	v_mov_b32_e32 v29, v2
	v_lshl_add_u64 v[48:49], v[6:7], 0, s[30:31]
	v_lshlrev_b32_e32 v50, 4, v28
	v_mov_b32_e32 v51, v2
	v_lshl_add_u64 v[52:53], v[4:5], 0, s[30:31]
	v_mov_b32_e32 v31, v2
	s_mov_b32 s82, 0x42b17218
	s_mov_b32 s73, 0x3fb8aa3b
	;; [unrolled: 1-line block ×5, first 2 shown]
	v_add_u32_e32 v167, 4, v98
	v_add_u32_e32 v168, 0x240, v134
	;; [unrolled: 1-line block ×20, first 2 shown]
	v_or_b32_e32 v187, 1, v135
	v_or_b32_e32 v188, 2, v135
	;; [unrolled: 1-line block ×3, first 2 shown]
	v_add_u32_e32 v190, 33, v135
	v_add_u32_e32 v191, 35, v135
	;; [unrolled: 1-line block ×5, first 2 shown]
	v_mov_b32_e32 v195, 0x3e91f4c4
	v_mov_b32_e32 v196, 0x37000000
	;; [unrolled: 1-line block ×4, first 2 shown]
	v_mbcnt_hi_u32_b32 v199, -1, v102
	v_lshl_add_u64 v[54:55], v[42:43], 2, s[60:61]
	v_lshl_add_u64 v[56:57], v[40:41], 2, s[60:61]
	;; [unrolled: 1-line block ×4, first 2 shown]
	v_cmp_gt_u32_e64 s[14:15], 61, v135
	v_cmp_gt_u32_e64 s[16:17], 32, v135
	;; [unrolled: 1-line block ×5, first 2 shown]
	s_lshl_b64 s[84:85], s[74:75], 8
	s_lshl_b64 s[94:95], s[88:89], 8
	v_writelane_b32 v220, s3, 15
                                        ; implicit-def: $vgpr1
	v_writelane_b32 v220, s41, 16
	s_branch .LBB9_12
.LBB9_10:                               ;   in Loop: Header=BB9_12 Depth=1
	s_or_b64 exec, exec, s[28:29]
	s_barrier
.LBB9_11:                               ;   in Loop: Header=BB9_12 Depth=1
	v_readlane_b32 s28, v221, 1
	s_add_i32 s2, s98, s28
	s_abs_i32 s25, s2
	v_readlane_b32 s41, v220, 16
	s_mul_hi_u32 s26, s25, s41
	s_mul_i32 s26, s26, s33
	s_sub_i32 s25, s25, s26
	s_ashr_i32 s3, s2, 31
	s_sub_i32 s26, s25, s33
	s_cmp_ge_u32 s25, s33
	s_cselect_b32 s25, s26, s25
	s_sub_i32 s26, s25, s33
	s_cmp_ge_u32 s25, s33
	s_cselect_b32 s25, s26, s25
	s_xor_b32 s25, s25, s3
	s_sub_i32 s3, s3, s25
	s_add_i32 s98, s2, s3
	v_readlane_b32 s2, v221, 10
	s_mov_b32 s26, s2
	s_sub_i32 s2, s2, s98
	s_min_i32 s92, s28, s2
	s_cmp_gt_i32 s26, s98
	v_readlane_b32 s3, v221, 11
	s_cselect_b64 s[26:27], -1, 0
	s_cmp_le_i32 s28, s2
	s_cselect_b64 s[2:3], -1, 0
	s_and_b64 s[2:3], s[2:3], s[26:27]
	s_mov_b32 s40, 0
	s_and_b64 vcc, exec, s[2:3]
	s_cbranch_vccz .LBB9_235
.LBB9_12:                               ; =>This Loop Header: Depth=1
                                        ;     Child Loop BB9_156 Depth 2
                                        ;     Child Loop BB9_41 Depth 2
	s_ashr_i32 s2, s98, 31
	v_readlane_b32 s3, v221, 59
	s_xor_b32 s2, s2, s3
	s_abs_i32 s3, s98
	v_readlane_b32 s25, v221, 61
	s_mul_hi_u32 s25, s3, s25
	v_readlane_b32 s28, v221, 60
	s_mul_i32 s26, s25, s28
	s_sub_i32 s3, s3, s26
	s_add_i32 s26, s25, 1
	s_sub_i32 s27, s3, s28
	s_cmp_ge_u32 s3, s28
	s_cselect_b32 s25, s26, s25
	s_cselect_b32 s3, s27, s3
	s_add_i32 s26, s25, 1
	s_cmp_ge_u32 s3, s28
	s_cselect_b32 s3, s26, s25
	s_xor_b32 s3, s3, s2
	v_readlane_b32 s26, v221, 45
	s_sub_i32 s2, s3, s2
	v_readlane_b32 s27, v221, 46
	s_andn2_b64 vcc, exec, s[26:27]
	s_ashr_i32 s3, s2, 31
	s_cbranch_vccnz .LBB9_14
; %bb.13:                               ;   in Loop: Header=BB9_12 Depth=1
	s_abs_i32 s25, s2
	v_mul_hi_u32 v1, s25, v131
	v_readlane_b32 s26, v221, 57
	v_readlane_b32 s56, v221, 24
	;; [unrolled: 1-line block ×3, first 2 shown]
	v_mul_lo_u32 v1, v1, s26
	v_sub_u32_e32 v1, s25, v1
	v_subrev_u32_e32 v3, s26, v1
	v_cmp_le_u32_e32 vcc, s26, v1
	v_readlane_b32 s63, v221, 31
	v_readlane_b32 s57, v221, 25
	v_cndmask_b32_e32 v1, v1, v3, vcc
	v_subrev_u32_e32 v3, s26, v1
	v_cmp_le_u32_e32 vcc, s26, v1
	v_readlane_b32 s26, v221, 15
	v_readlane_b32 s27, v221, 16
	v_cndmask_b32_e32 v1, v1, v3, vcc
	v_xor_b32_e32 v1, s3, v1
	v_subrev_u32_e32 v1, s3, v1
	v_ashrrev_i32_e32 v3, 31, v1
	v_mul_lo_u32 v4, v1, s27
	v_mul_hi_u32 v5, v1, s26
	v_add_u32_e32 v4, v5, v4
	v_mul_lo_u32 v3, v3, s26
	v_add_u32_e32 v5, v4, v3
	v_mul_lo_u32 v4, v1, s26
	v_lshl_add_u64 v[64:65], s[62:63], 0, v[4:5]
	v_readlane_b32 s58, v221, 26
	v_readlane_b32 s59, v221, 27
	;; [unrolled: 1-line block ×12, first 2 shown]
	s_branch .LBB9_15
.LBB9_14:                               ;   in Loop: Header=BB9_12 Depth=1
	v_mov_b64_e32 v[64:65], 0
.LBB9_15:                               ;   in Loop: Header=BB9_12 Depth=1
	v_readlane_b32 s25, v221, 7
	s_mul_i32 s25, s2, s25
	s_sub_i32 s26, s98, s25
	s_ashr_i32 s25, s26, 31
	v_readlane_b32 s27, v221, 62
	s_xor_b32 s25, s25, s27
	s_abs_i32 s27, s26
	v_readlane_b32 s28, v220, 0
	s_mul_hi_u32 s28, s27, s28
	v_readlane_b32 s35, v221, 63
	s_mul_i32 s29, s28, s35
	s_sub_i32 s27, s27, s29
	s_add_i32 s29, s28, 1
	s_sub_i32 s34, s27, s35
	s_cmp_ge_u32 s27, s35
	s_cselect_b32 s28, s29, s28
	s_cselect_b32 s27, s34, s27
	s_add_i32 s29, s28, 1
	s_cmp_ge_u32 s27, s35
	s_cselect_b32 s27, s29, s28
	s_xor_b32 s27, s27, s25
	s_sub_i32 s25, s27, s25
	v_readlane_b32 s27, v221, 6
	s_mul_i32 s27, s25, s27
	s_sub_i32 s27, s26, s27
	s_ashr_i32 s26, s27, 31
	v_readlane_b32 s28, v220, 1
	s_xor_b32 s26, s26, s28
	s_abs_i32 s28, s27
	v_readlane_b32 s29, v220, 3
	s_mul_hi_u32 s29, s28, s29
	v_readlane_b32 s36, v220, 2
	s_mul_i32 s34, s29, s36
	s_sub_i32 s28, s28, s34
	s_add_i32 s34, s29, 1
	s_sub_i32 s35, s28, s36
	s_cmp_ge_u32 s28, s36
	s_cselect_b32 s29, s34, s29
	s_cselect_b32 s28, s35, s28
	s_add_i32 s34, s29, 1
	s_cmp_ge_u32 s28, s36
	s_cselect_b32 s28, s34, s29
	s_xor_b32 s28, s28, s26
	s_sub_i32 s28, s28, s26
	v_readlane_b32 s26, v221, 2
	v_readlane_b32 s34, v221, 50
	s_mul_i32 s26, s25, s26
	v_readlane_b32 s35, v221, 51
	s_add_i32 s26, s26, s28
	s_andn2_b64 vcc, exec, s[34:35]
	v_mov_b32_e32 v62, 1.0
	s_cbranch_vccnz .LBB9_17
; %bb.16:                               ;   in Loop: Header=BB9_12 Depth=1
	v_readlane_b32 s35, v221, 12
	s_sub_i32 s34, s26, s35
	s_lshl_b32 s34, s34, 1
	s_add_i32 s29, s26, 1
	s_or_b32 s36, s34, 1
	s_cmp_lt_u32 s26, s35
	v_readlane_b32 s44, v221, 40
	v_readlane_b32 s46, v221, 42
	;; [unrolled: 1-line block ×3, first 2 shown]
	s_cselect_b64 vcc, -1, 0
	s_mov_b64 s[38:39], s[46:47]
	s_and_b64 s[34:35], vcc, exec
	v_mov_b32_e32 v1, s39
	v_mov_b32_e32 v3, s38
	s_cselect_b32 s29, s29, s36
	v_cndmask_b32_e32 v3, v1, v3, vcc
	v_cvt_f32_i32_e32 v1, s29
	v_cmp_neq_f32_e32 vcc, 1.0, v3
	s_mov_b32 s29, 0x3f2aaaab
	s_mov_b32 s36, 0x7f800000
	v_cndmask_b32_e32 v20, 1.0, v1, vcc
	v_cmp_eq_f32_e32 vcc, 0, v20
	v_cmp_gt_f32_e64 s[38:39], 0, v20
	v_readlane_b32 s45, v221, 41
	v_cndmask_b32_e64 v21, |v3|, 1.0, vcc
	v_frexp_mant_f32_e32 v1, v21
	v_cmp_gt_f32_e64 s[34:35], s29, v1
	s_mov_b32 s29, 0x3f317218
	v_cndmask_b32_e64 v3, v3, 1.0, vcc
	v_cndmask_b32_e64 v4, 1.0, 2.0, s[34:35]
	v_mul_f32_e32 v1, v1, v4
	v_add_f32_e32 v4, 1.0, v1
	v_rcp_f32_e32 v12, v4
	v_add_f32_e32 v5, -1.0, v4
	v_sub_f32_e32 v7, v1, v5
	v_add_f32_e32 v5, -1.0, v1
	v_mul_f32_e32 v1, v5, v12
	v_mul_f32_e32 v6, v4, v1
	v_fma_f32 v8, v1, v4, -v6
	v_fmac_f32_e32 v8, v1, v7
	v_add_f32_e32 v4, v6, v8
	v_sub_f32_e32 v7, v5, v4
	v_pk_add_f32 v[10:11], v[4:5], v[6:7] neg_lo:[0,1] neg_hi:[0,1]
	v_mov_b32_e32 v9, v4
	v_pk_add_f32 v[4:5], v[10:11], v[8:9] neg_lo:[0,1] neg_hi:[0,1]
	s_nop 0
	v_add_f32_e32 v4, v4, v5
	v_add_f32_e32 v4, v7, v4
	v_mul_f32_e32 v5, v12, v4
	v_add_f32_e32 v4, v1, v5
	v_sub_f32_e32 v1, v4, v1
	v_sub_f32_e32 v1, v5, v1
	v_mul_f32_e32 v5, v4, v4
	v_fma_f32 v7, v4, v4, -v5
	v_add_f32_e32 v6, v1, v1
	v_fmac_f32_e32 v7, v4, v6
	v_add_f32_e32 v6, v5, v7
	v_fmamk_f32 v8, v6, 0x3e76c4e1, v195
	v_fmaak_f32 v8, v6, v8, 0x3ecccdef
	v_sub_f32_e32 v5, v6, v5
	v_sub_f32_e32 v14, v7, v5
	v_mul_f32_e32 v5, v6, v8
	v_fma_f32 v7, v6, v8, -v5
	v_fmac_f32_e32 v7, v14, v8
	v_add_f32_e32 v8, v5, v7
	v_add_f32_e32 v9, 0x3f2aaaaa, v8
	v_sub_f32_e32 v5, v8, v5
	v_sub_f32_e32 v5, v7, v5
	v_add_f32_e32 v7, 0xbf2aaaaa, v9
	v_add_f32_e32 v5, 0x31739010, v5
	v_sub_f32_e32 v7, v8, v7
	v_pk_mul_f32 v[10:11], v[4:5], v[6:7]
	v_pk_add_f32 v[12:13], v[4:5], v[6:7]
	v_fma_f32 v8, v6, v4, -v10
	v_fmac_f32_e32 v8, v6, v1
	v_mov_b32_e32 v11, v13
	v_fmac_f32_e32 v8, v14, v4
	v_pk_add_f32 v[6:7], v[10:11], v[8:9]
	v_ldexp_f32 v1, v1, 1
	v_sub_f32_e32 v5, v6, v10
	v_sub_f32_e32 v5, v8, v5
	;; [unrolled: 1-line block ×3, first 2 shown]
	v_add_f32_e32 v12, v13, v8
	v_mov_b32_e32 v8, v7
	v_pk_mul_f32 v[8:9], v[6:7], v[8:9]
	v_cvt_f64_f32_e32 v[10:11], v21
	v_frexp_exp_i32_f64_e32 v9, v[10:11]
	v_subbrev_co_u32_e64 v9, s[34:35], 0, v9, s[34:35]
	v_cvt_f32_i32_e32 v9, v9
	v_fma_f32 v10, v6, v7, -v8
	v_fmac_f32_e32 v10, v6, v12
	v_fmac_f32_e32 v10, v5, v7
	v_mul_f32_e32 v6, 0x3f317218, v9
	v_fma_f32 v12, v9, s29, -v6
	v_fmac_f32_e32 v12, 0xb102e308, v9
	v_ldexp_f32 v13, v4, 1
	v_add_f32_e32 v7, v8, v10
	v_pk_add_f32 v[4:5], v[6:7], v[12:13]
	v_mov_b32_e32 v14, v7
	v_mov_b32_e32 v15, v5
	;; [unrolled: 1-line block ×3, first 2 shown]
	v_pk_add_f32 v[8:9], v[14:15], v[8:9] neg_lo:[0,1] neg_hi:[0,1]
	v_mov_b32_e32 v11, v7
	v_pk_add_f32 v[8:9], v[10:11], v[8:9] neg_lo:[0,1] neg_hi:[0,1]
	v_mov_b32_e32 v13, v4
	v_add_f32_e32 v1, v1, v8
	v_add_f32_e32 v7, v1, v9
	v_pk_add_f32 v[8:9], v[4:5], v[6:7] neg_lo:[0,1] neg_hi:[0,1]
	v_pk_add_f32 v[10:11], v[4:5], v[6:7]
	v_mov_b32_e32 v14, v8
	v_mov_b32_e32 v15, v11
	v_pk_add_f32 v[14:15], v[12:13], v[14:15]
	v_pk_add_f32 v[8:9], v[12:13], v[8:9] neg_lo:[0,1] neg_hi:[0,1]
	v_mov_b32_e32 v6, v15
	v_pk_add_f32 v[16:17], v[6:7], v[4:5] neg_lo:[0,1] neg_hi:[0,1]
	v_mov_b32_e32 v14, v11
	v_mov_b32_e32 v1, v16
	;; [unrolled: 1-line block ×4, first 2 shown]
	v_pk_add_f32 v[18:19], v[10:11], v[0:1] neg_lo:[0,1] neg_hi:[0,1]
	v_pk_add_f32 v[4:5], v[14:15], v[4:5] neg_lo:[0,1] neg_hi:[0,1]
	v_mov_b32_e32 v12, v7
	v_pk_add_f32 v[4:5], v[12:13], v[4:5] neg_lo:[0,1] neg_hi:[0,1]
	v_mov_b32_e32 v18, v8
	v_pk_add_f32 v[10:11], v[18:19], v[4:5]
	v_mov_b32_e32 v9, v15
	v_mov_b32_e32 v12, v11
	v_pk_add_f32 v[12:13], v[10:11], v[12:13]
	s_movk_i32 s29, 0x204
	v_pk_add_f32 v[6:7], v[6:7], v[12:13]
	v_mov_b32_e32 v5, v12
	v_mov_b32_e32 v11, v6
	v_pk_add_f32 v[14:15], v[10:11], v[8:9] neg_lo:[0,1] neg_hi:[0,1]
	s_nop 0
	v_sub_f32_e32 v1, v10, v14
	v_pk_add_f32 v[4:5], v[4:5], v[14:15] neg_lo:[0,1] neg_hi:[0,1]
	v_sub_f32_e32 v1, v8, v1
	v_add_f32_e32 v1, v4, v1
	v_add_f32_e32 v1, v1, v5
	;; [unrolled: 1-line block ×3, first 2 shown]
	v_sub_f32_e32 v5, v4, v6
	v_sub_f32_e32 v1, v1, v5
	v_mul_f32_e32 v5, v20, v4
	v_fma_f32 v4, v20, v4, -v5
	v_fmac_f32_e32 v4, v20, v1
	v_add_f32_e32 v1, v5, v4
	v_cmp_class_f32_e64 s[34:35], v5, s29
	v_sub_f32_e32 v6, v1, v5
	v_sub_f32_e32 v4, v4, v6
	v_cndmask_b32_e64 v1, v1, v5, s[34:35]
	v_cmp_eq_f32_e64 s[34:35], s82, v1
	s_nop 1
	v_cndmask_b32_e64 v5, 0, v196, s[34:35]
	v_sub_f32_e32 v6, v1, v5
	v_mul_f32_e32 v7, 0x3fb8aa3b, v6
	v_fma_f32 v8, v6, s73, -v7
	v_rndne_f32_e32 v9, v7
	v_fmac_f32_e32 v8, 0x32a5705f, v6
	v_sub_f32_e32 v7, v7, v9
	v_add_f32_e32 v7, v7, v8
	v_exp_f32_e32 v7, v7
	v_cvt_i32_f32_e32 v8, v9
	v_cmp_neq_f32_e64 s[34:35], |v1|, s36
	s_nop 1
	v_cndmask_b32_e64 v1, 0, v4, s[34:35]
	v_ldexp_f32 v4, v7, v8
	v_cmp_ngt_f32_e64 s[34:35], s99, v6
	v_add_f32_e32 v1, v5, v1
	s_nop 0
	v_cndmask_b32_e64 v4, 0, v4, s[34:35]
	v_cmp_nlt_f32_e64 s[34:35], s82, v6
	s_nop 1
	v_cndmask_b32_e64 v4, v197, v4, s[34:35]
	v_fma_f32 v1, v4, v1, v4
	v_cmp_class_f32_e64 s[34:35], v4, s29
	s_brev_b32 s29, -2
	s_nop 0
	v_cndmask_b32_e64 v1, v1, v4, s[34:35]
	v_trunc_f32_e32 v4, v20
	v_cmp_eq_f32_e32 vcc, v4, v20
	v_mul_f32_e32 v4, 0.5, v20
	v_trunc_f32_e32 v5, v4
	v_cmp_neq_f32_e64 s[34:35], v5, v4
	s_and_b64 s[34:35], vcc, s[34:35]
	s_nop 0
	v_cndmask_b32_e64 v4, 1.0, v3, s[34:35]
	v_bfi_b32 v1, s29, v1, v4
	v_cndmask_b32_e32 v4, v198, v1, vcc
	v_cmp_gt_f32_e32 vcc, 0, v3
	v_cndmask_b32_e64 v5, 0, v3, s[34:35]
	s_nop 0
	v_cndmask_b32_e32 v1, v1, v4, vcc
	v_cmp_eq_f32_e32 vcc, s36, v21
	v_cmp_eq_f32_e64 s[36:37], 0, v3
	s_xor_b64 s[38:39], s[38:39], s[36:37]
	v_cndmask_b32_e64 v4, v197, 0, s[38:39]
	v_bfi_b32 v4, s29, v4, v5
	s_or_b64 vcc, vcc, s[36:37]
	v_cndmask_b32_e32 v1, v1, v4, vcc
	v_cmp_o_f32_e32 vcc, v3, v3
	s_nop 1
	v_cndmask_b32_e32 v62, v198, v1, vcc
.LBB9_17:                               ;   in Loop: Header=BB9_12 Depth=1
	v_readlane_b32 s29, v221, 3
	s_mul_i32 s28, s28, s29
	s_sub_i32 s27, s27, s28
	s_ashr_i32 s28, s27, 31
	v_readlane_b32 s29, v221, 23
	s_abs_i32 s27, s27
	s_xor_b32 s28, s28, s29
	s_mul_hi_u32 s29, s27, s41
	s_mul_i32 s34, s29, s33
	s_sub_i32 s27, s27, s34
	s_add_i32 s34, s29, 1
	s_sub_i32 s35, s27, s33
	s_cmp_ge_u32 s27, s33
	s_cselect_b32 s29, s34, s29
	s_cselect_b32 s27, s35, s27
	s_add_i32 s34, s29, 1
	s_cmp_ge_u32 s27, s33
	s_cselect_b32 s27, s34, s29
	v_readlane_b32 s34, v221, 52
	s_xor_b32 s27, s27, s28
	v_readlane_b32 s35, v221, 53
	s_andn2_b64 vcc, exec, s[34:35]
	s_sub_i32 s93, s27, s28
	s_cbranch_vccnz .LBB9_19
; %bb.18:                               ;   in Loop: Header=BB9_12 Depth=1
	v_readlane_b32 s27, v221, 0
	s_mul_i32 s27, s2, s27
	s_add_i32 s28, s93, s27
	s_ashr_i32 s29, s28, 31
	v_readlane_b32 s56, v221, 24
	s_lshl_b64 s[28:29], s[28:29], 2
	v_readlane_b32 s66, v221, 34
	v_readlane_b32 s67, v221, 35
	s_add_u32 s28, s66, s28
	s_addc_u32 s29, s67, s29
	global_load_dword v1, v2, s[28:29]
	v_readlane_b32 s57, v221, 25
	v_readlane_b32 s58, v221, 26
	;; [unrolled: 1-line block ×13, first 2 shown]
	s_waitcnt vmcnt(0)
	v_readfirstlane_b32 s27, v1
	s_ashr_i32 s28, s27, 31
	s_lshr_b32 s28, s28, 26
	s_add_i32 s27, s27, s28
	s_ashr_i32 s27, s27, 6
	s_min_i32 s92, s92, s27
	s_branch .LBB9_20
.LBB9_19:                               ;   in Loop: Header=BB9_12 Depth=1
	v_readlane_b32 s56, v221, 24
	v_readlane_b32 s57, v221, 25
	;; [unrolled: 1-line block ×16, first 2 shown]
.LBB9_20:                               ;   in Loop: Header=BB9_12 Depth=1
	v_readlane_b32 s27, v221, 47
	s_mul_i32 s27, s27, s2
	s_add_i32 s27, s26, s27
	s_mul_i32 s80, s27, 40
	v_readlane_b32 s34, v221, 13
	s_lshl_b64 s[28:29], s[80:81], 3
	v_readlane_b32 s35, v221, 14
	s_add_u32 s62, s68, s28
	s_mul_i32 s27, s2, s35
	s_mul_hi_u32 s28, s2, s34
	s_addc_u32 s63, s69, s29
	s_add_i32 s27, s28, s27
	s_mul_i32 s28, s3, s34
	v_readlane_b32 s36, v221, 19
	s_add_i32 s66, s27, s28
	s_mul_i32 s67, s2, s34
	v_readlane_b32 s39, v221, 22
	s_add_u32 s27, s60, s67
	s_mul_i32 s60, s25, s39
	s_addc_u32 s28, s61, s66
	s_ashr_i32 s61, s60, 31
	s_add_u32 s91, s27, s60
	s_addc_u32 s78, s28, s61
	s_ashr_i32 s27, s26, 31
	s_lshl_b64 s[28:29], s[26:27], 2
	s_add_u32 s27, s64, s28
	v_readlane_b32 s38, v221, 21
	s_addc_u32 s34, s65, s29
	v_readlane_b32 s28, v221, 48
	v_readlane_b32 s29, v221, 49
	;; [unrolled: 1-line block ×3, first 2 shown]
	s_and_b64 s[28:29], s[28:29], exec
	v_readlane_b32 s39, v221, 9
	s_cselect_b32 s28, 0, s27
	s_mul_i32 s27, s2, s39
	s_cselect_b32 s29, 0, s34
	s_ashr_i32 s34, s27, 31
	s_add_u32 s27, s56, s27
	s_mul_i32 s26, s26, s38
	v_readlane_b32 s37, v221, 20
	s_addc_u32 s34, s57, s34
	s_ashr_i32 s35, s26, 31
	s_add_u32 s96, s27, s26
	s_mul_i32 s26, s2, s37
	s_mul_hi_u32 s27, s2, s36
	s_addc_u32 s97, s34, s35
	s_add_i32 s26, s27, s26
	s_mul_i32 s3, s3, s36
	s_add_i32 s57, s26, s3
	v_readlane_b32 s26, v221, 17
	s_mul_i32 s64, s2, s36
	v_readlane_b32 s27, v221, 18
	s_add_u32 s2, s58, s64
	s_mul_i32 s58, s25, s27
	s_addc_u32 s3, s59, s57
	s_ashr_i32 s59, s58, 31
	s_add_u32 s25, s2, s58
	s_addc_u32 s76, s3, s59
	s_cmp_lg_u32 s40, 0
	s_cbranch_scc0 .LBB9_55
; %bb.21:                               ;   in Loop: Header=BB9_12 Depth=1
	s_lshl_b32 s80, s93, 5
	v_add_u32_e32 v1, s80, v25
	v_cmp_le_i32_e32 vcc, s72, v1
	s_and_saveexec_b64 s[2:3], vcc
	s_xor_b64 s[2:3], exec, s[2:3]
	s_cbranch_execz .LBB9_23
; %bb.22:                               ;   in Loop: Header=BB9_12 Depth=1
	ds_write_b32 v146, v2
                                        ; implicit-def: $vgpr1
.LBB9_23:                               ;   in Loop: Header=BB9_12 Depth=1
	s_andn2_saveexec_b64 s[2:3], s[2:3]
	s_cbranch_execz .LBB9_25
; %bb.24:                               ;   in Loop: Header=BB9_12 Depth=1
	v_mad_u64_u32 v[4:5], s[26:27], v1, s90, v[44:45]
	v_ashrrev_i32_e32 v5, 31, v4
	v_lshl_add_u64 v[4:5], v[4:5], 3, s[96:97]
	global_load_dwordx2 v[4:5], v[4:5], off
	s_waitcnt vmcnt(0)
	v_cvt_f16_f32_e32 v1, v4
	v_cvt_f16_f32_e32 v3, v5
	v_pack_b32_f16 v1, v1, v3
	v_pk_mul_f16 v1, v23, v1
	ds_write_b32 v146, v1
.LBB9_25:                               ;   in Loop: Header=BB9_12 Depth=1
	s_or_b64 exec, exec, s[2:3]
	v_add_u32_e32 v1, s80, v192
	v_cmp_le_i32_e32 vcc, s72, v1
	s_and_saveexec_b64 s[2:3], vcc
	s_xor_b64 s[2:3], exec, s[2:3]
	s_cbranch_execz .LBB9_27
; %bb.26:                               ;   in Loop: Header=BB9_12 Depth=1
	ds_write_b32 v146, v2 offset:1408
                                        ; implicit-def: $vgpr1
.LBB9_27:                               ;   in Loop: Header=BB9_12 Depth=1
	s_andn2_saveexec_b64 s[2:3], s[2:3]
	s_cbranch_execz .LBB9_29
; %bb.28:                               ;   in Loop: Header=BB9_12 Depth=1
	v_mad_u64_u32 v[4:5], s[26:27], v1, s90, v[44:45]
	v_ashrrev_i32_e32 v5, 31, v4
	v_lshl_add_u64 v[4:5], v[4:5], 3, s[96:97]
	global_load_dwordx2 v[4:5], v[4:5], off
	s_waitcnt vmcnt(0)
	v_cvt_f16_f32_e32 v1, v4
	v_cvt_f16_f32_e32 v3, v5
	v_pack_b32_f16 v1, v1, v3
	v_pk_mul_f16 v1, v23, v1
	ds_write_b32 v146, v1 offset:1408
.LBB9_29:                               ;   in Loop: Header=BB9_12 Depth=1
	s_or_b64 exec, exec, s[2:3]
	v_add_u32_e32 v1, s80, v193
	v_cmp_le_i32_e32 vcc, s72, v1
	s_and_saveexec_b64 s[2:3], vcc
	s_xor_b64 s[2:3], exec, s[2:3]
	s_cbranch_execz .LBB9_31
; %bb.30:                               ;   in Loop: Header=BB9_12 Depth=1
	ds_write_b32 v146, v2 offset:2816
                                        ; implicit-def: $vgpr1
.LBB9_31:                               ;   in Loop: Header=BB9_12 Depth=1
	s_andn2_saveexec_b64 s[2:3], s[2:3]
	s_cbranch_execz .LBB9_33
; %bb.32:                               ;   in Loop: Header=BB9_12 Depth=1
	v_mad_u64_u32 v[4:5], s[26:27], v1, s90, v[44:45]
	v_ashrrev_i32_e32 v5, 31, v4
	v_lshl_add_u64 v[4:5], v[4:5], 3, s[96:97]
	global_load_dwordx2 v[4:5], v[4:5], off
	s_waitcnt vmcnt(0)
	v_cvt_f16_f32_e32 v1, v4
	v_cvt_f16_f32_e32 v3, v5
	v_pack_b32_f16 v1, v1, v3
	v_pk_mul_f16 v1, v23, v1
	ds_write_b32 v146, v1 offset:2816
.LBB9_33:                               ;   in Loop: Header=BB9_12 Depth=1
	;; [unrolled: 24-line block ×3, first 2 shown]
	s_or_b64 exec, exec, s[2:3]
	v_add_u32_e32 v3, s80, v27
	v_cmp_gt_i32_e32 vcc, s72, v3
	v_mov_b32_e32 v202, 0
	v_mov_b32_e32 v1, 0
	s_and_saveexec_b64 s[2:3], vcc
	s_cbranch_execz .LBB9_39
; %bb.38:                               ;   in Loop: Header=BB9_12 Depth=1
	v_mul_lo_u32 v4, v3, s90
	v_ashrrev_i32_e32 v5, 31, v4
	v_lshl_add_u64 v[4:5], v[4:5], 0, v[28:29]
	v_lshl_add_u64 v[4:5], v[4:5], 3, s[96:97]
	global_load_dwordx2 v[4:5], v[4:5], off offset:256
	s_waitcnt vmcnt(0)
	v_cvt_f16_f32_e32 v1, v4
	v_cvt_f16_f32_e32 v3, v5
	v_pack_b32_f16 v1, v1, v3
	v_pk_mul_f16 v1, v23, v1
.LBB9_39:                               ;   in Loop: Header=BB9_12 Depth=1
	s_or_b64 exec, exec, s[2:3]
	ds_write_b32 v132, v1 offset:128
	s_waitcnt lgkmcnt(0)
	s_barrier
	ds_read2_b64 v[10:13], v133 offset1:4
	ds_read2_b64 v[6:9], v133 offset0:8 offset1:12
	ds_read_b64 v[66:67], v133 offset:128
	s_add_i32 s41, s92, -1
	s_cmp_le_i32 s41, s40
	v_mov_b32_e32 v1, 0xfeffffff
	s_waitcnt lgkmcnt(0)
	s_barrier
	s_cbranch_scc1 .LBB9_56
; %bb.40:                               ;   in Loop: Header=BB9_12 Depth=1
	v_add_u32_e32 v1, s80, v98
	v_mul_hi_u32 v3, s86, v1
	v_add_u32_e32 v3, v1, v3
	v_lshrrev_b32_e32 v3, s87, v3
	v_mul_lo_u32 v3, v3, s72
	v_readlane_b32 s2, v220, 12
	v_sub_u32_e32 v1, v1, v3
	v_readlane_b32 s3, v220, 13
	s_mov_b32 s26, s2
	v_mad_i64_i32 v[70:71], s[2:3], v1, s26, 0
	v_add_u32_e32 v1, s80, v167
	v_mul_hi_u32 v3, s86, v1
	v_add_u32_e32 v3, v1, v3
	v_lshrrev_b32_e32 v3, s87, v3
	v_mul_lo_u32 v3, v3, s72
	v_sub_u32_e32 v1, v1, v3
	v_mad_i64_i32 v[72:73], s[2:3], v1, s26, 0
	v_add_u32_e32 v1, s80, v169
	v_mul_hi_u32 v3, s86, v1
	v_add_u32_e32 v3, v1, v3
	v_lshrrev_b32_e32 v3, s87, v3
	v_mul_lo_u32 v3, v3, s72
	v_sub_u32_e32 v1, v1, v3
	;; [unrolled: 7-line block ×7, first 2 shown]
	v_mad_i64_i32 v[84:85], s[2:3], v1, s26, 0
	v_and_b32_e32 v1, 64, v199
	v_add_u32_e32 v1, 64, v1
	v_xor_b32_e32 v3, 32, v199
	v_cmp_lt_i32_e32 vcc, v3, v1
	v_lshlrev_b32_e32 v4, 1, v22
	v_mov_b32_e32 v5, v2
	v_cndmask_b32_e32 v3, v199, v3, vcc
	v_lshlrev_b32_e32 v90, 2, v3
	v_xor_b32_e32 v3, 16, v199
	v_cmp_lt_i32_e32 vcc, v3, v1
	v_cmp_ne_u64_e64 s[34:35], 0, v[64:65]
	v_lshl_add_u64 v[68:69], v[64:65], 0, v[4:5]
	v_cndmask_b32_e32 v1, v199, v3, vcc
	v_mov_b32_e32 v94, 0
	v_lshlrev_b32_e32 v91, 2, v1
	v_mov_b32_e32 v86, v62
	v_mov_b32_e32 v87, v62
	s_lshl_b32 s38, s40, 6
	v_mov_b32_e32 v204, 0
	v_mov_b32_e32 v205, 0xfeffffff
	;; [unrolled: 1-line block ×11, first 2 shown]
.LBB9_41:                               ;   Parent Loop BB9_12 Depth=1
                                        ; =>  This Inner Loop Header: Depth=2
	v_cndmask_b32_e64 v1, 0, 1, s[34:35]
	v_cmp_ne_u32_e64 s[36:37], 1, v1
	s_andn2_b64 vcc, exec, s[34:35]
	s_ashr_i32 s39, s38, 31
	s_cbranch_vccnz .LBB9_47
; %bb.42:                               ;   in Loop: Header=BB9_41 Depth=2
                                        ; implicit-def: $sgpr42
	s_and_saveexec_b64 s[2:3], s[0:1]
	s_xor_b64 s[2:3], exec, s[2:3]
	s_cbranch_execz .LBB9_44
; %bb.43:                               ;   in Loop: Header=BB9_41 Depth=2
	ds_write_b16 v134, v2 offset:11264
	ds_write_b16 v168, v2 offset:11264
	;; [unrolled: 1-line block ×4, first 2 shown]
	s_mov_b32 s42, 0
.LBB9_44:                               ;   in Loop: Header=BB9_41 Depth=2
	s_or_saveexec_b64 s[26:27], s[2:3]
	v_mov_b32_e32 v1, s42
	v_mov_b32_e32 v3, s42
	;; [unrolled: 1-line block ×4, first 2 shown]
	s_xor_b64 exec, exec, s[26:27]
	s_cbranch_execz .LBB9_46
; %bb.45:                               ;   in Loop: Header=BB9_41 Depth=2
	v_lshl_add_u64 v[14:15], s[38:39], 1, v[68:69]
	v_lshl_add_u64 v[4:5], v[70:71], 1, v[14:15]
	flat_load_ushort v1, v[4:5]
	v_lshl_add_u64 v[4:5], v[72:73], 1, v[14:15]
	flat_load_ushort v3, v[4:5]
	;; [unrolled: 2-line block ×4, first 2 shown]
	s_waitcnt vmcnt(0) lgkmcnt(0)
	ds_write_b16 v134, v1 offset:11264
	ds_write_b16 v168, v3 offset:11264
	;; [unrolled: 1-line block ×4, first 2 shown]
	v_lshl_add_u64 v[4:5], v[78:79], 1, v[14:15]
	flat_load_ushort v1, v[4:5]
	v_lshl_add_u64 v[4:5], v[80:81], 1, v[14:15]
	flat_load_ushort v3, v[4:5]
	v_lshl_add_u64 v[4:5], v[82:83], 1, v[14:15]
	v_lshl_add_u64 v[14:15], v[84:85], 1, v[14:15]
	flat_load_ushort v4, v[4:5]
	s_nop 0
	flat_load_ushort v5, v[14:15]
.LBB9_46:                               ;   in Loop: Header=BB9_41 Depth=2
	s_or_b64 exec, exec, s[26:27]
	s_waitcnt vmcnt(0) lgkmcnt(0)
	ds_write_b16 v174, v1 offset:11264
	ds_write_b16 v176, v3 offset:11264
	;; [unrolled: 1-line block ×4, first 2 shown]
.LBB9_47:                               ;   in Loop: Header=BB9_41 Depth=2
	s_mul_hi_i32 s3, s38, s88
	s_mul_i32 s2, s38, s88
	s_lshl_b64 s[2:3], s[2:3], 2
	s_add_u32 s26, s25, s2
	s_addc_u32 s27, s76, s3
	v_mov_b32_e32 v3, v2
	v_mov_b32_e32 v4, v2
	;; [unrolled: 1-line block ×3, first 2 shown]
	scratch_store_dwordx4 off, v[2:5], off
	s_and_saveexec_b64 s[2:3], s[52:53]
	s_cbranch_execz .LBB9_49
; %bb.48:                               ;   in Loop: Header=BB9_41 Depth=2
	v_lshl_add_u64 v[4:5], v[32:33], 2, s[26:27]
	v_lshlrev_b32_e32 v14, 2, v24
	v_mov_b32_e32 v15, v2
	v_lshl_add_u64 v[4:5], v[4:5], 0, v[14:15]
	global_load_dwordx4 v[14:17], v[4:5], off offset:128
	s_waitcnt vmcnt(0)
	ds_write_b128 v104, v[14:17]
.LBB9_49:                               ;   in Loop: Header=BB9_41 Depth=2
	s_or_b64 exec, exec, s[2:3]
	v_lshl_add_u64 v[4:5], v[34:35], 2, s[26:27]
	v_lshlrev_b32_e32 v88, 2, v26
	v_mov_b32_e32 v89, v2
	v_lshl_add_u64 v[4:5], v[4:5], 0, v[88:89]
	v_mov_b32_e32 v1, s83
	v_mov_b32_e32 v3, s79
	v_cndmask_b32_e64 v5, v1, v5, s[4:5]
	v_cndmask_b32_e64 v4, v3, v4, s[4:5]
	flat_load_dwordx4 v[14:17], v[4:5]
	v_lshl_add_u64 v[4:5], v[36:37], 2, s[26:27]
	v_lshl_add_u64 v[4:5], v[4:5], 0, v[88:89]
	v_cndmask_b32_e64 v5, v1, v5, s[6:7]
	v_cndmask_b32_e64 v4, v3, v4, s[6:7]
	v_add_u32_e32 v1, v45, v136
	v_add_u32_e32 v3, 0x1000, v1
	s_and_b64 vcc, exec, s[36:37]
	s_waitcnt vmcnt(0) lgkmcnt(0)
	ds_write_b128 v120, v[14:17]
	flat_load_dwordx4 v[14:17], v[4:5]
	s_waitcnt vmcnt(0) lgkmcnt(0)
	ds_write_b128 v186, v[14:17]
	s_waitcnt lgkmcnt(0)
	s_barrier
	ds_read2_b64 v[14:17], v1 offset1:4
	s_waitcnt lgkmcnt(0)
	v_mfma_f32_16x16x16_f16 v[18:21], v[14:15], v[10:11], 0
	ds_read_b64 v[4:5], v1 offset:128
	v_mfma_f32_16x16x16_f16 v[14:17], v[16:17], v[12:13], v[18:21]
	s_nop 4
	ds_read2_b64 v[18:21], v1 offset0:8 offset1:12
	s_waitcnt lgkmcnt(0)
	v_mfma_f32_16x16x16_f16 v[14:17], v[18:19], v[6:7], v[14:17]
	v_mfma_f32_16x16x16_f16 v[14:17], v[20:21], v[8:9], v[14:17]
	;; [unrolled: 1-line block ×3, first 2 shown]
	ds_read_b64 v[4:5], v1 offset:5760
	s_nop 4
	ds_read2_b64 v[14:17], v3 offset0:192 offset1:196
	s_waitcnt lgkmcnt(0)
	v_mfma_f32_16x16x16_f16 v[206:209], v[14:15], v[10:11], 0
	v_mfma_f32_16x16x16_f16 v[14:17], v[16:17], v[12:13], v[206:209]
	s_nop 5
	ds_read2_b64 v[206:209], v3 offset0:200 offset1:204
	s_waitcnt lgkmcnt(0)
	v_mfma_f32_16x16x16_f16 v[14:17], v[206:207], v[6:7], v[14:17]
	s_barrier
	v_mfma_f32_16x16x16_f16 v[14:17], v[208:209], v[8:9], v[14:17]
	v_mfma_f32_16x16x16_f16 v[14:17], v[4:5], v[66:67], v[14:17]
	s_cbranch_vccnz .LBB9_51
; %bb.50:                               ;   in Loop: Header=BB9_41 Depth=2
	v_add_u32_e32 v1, 0x2c00, v137
	ds_read2_b32 v[4:5], v1 offset1:1
	ds_read_b32 v1, v139 offset:11264
	v_mov_b32_e32 v63, v62
	s_waitcnt lgkmcnt(1)
	v_cvt_f32_f16_e32 v206, v4
	v_cvt_f32_f16_sdwa v207, v4 dst_sel:DWORD dst_unused:UNUSED_PAD src0_sel:WORD_1
	v_cvt_f32_f16_e32 v4, v5
	v_cvt_f32_f16_sdwa v5, v5 dst_sel:DWORD dst_unused:UNUSED_PAD src0_sel:WORD_1
	v_pk_fma_f32 v[18:19], v[86:87], v[206:207], v[18:19]
	v_pk_fma_f32 v[20:21], v[62:63], v[4:5], v[20:21]
	s_waitcnt lgkmcnt(0)
	v_cvt_f32_f16_sdwa v5, v1 dst_sel:DWORD dst_unused:UNUSED_PAD src0_sel:WORD_1
	v_cvt_f32_f16_e32 v4, v1
	ds_read_b32 v1, v141 offset:11264
	v_pk_fma_f32 v[14:15], v[86:87], v[4:5], v[14:15]
	s_waitcnt lgkmcnt(0)
	v_cvt_f32_f16_sdwa v207, v1 dst_sel:DWORD dst_unused:UNUSED_PAD src0_sel:WORD_1
	v_cvt_f32_f16_e32 v206, v1
	v_pk_fma_f32 v[16:17], v[62:63], v[206:207], v[16:17]
.LBB9_51:                               ;   in Loop: Header=BB9_41 Depth=2
	v_add_f32_e32 v1, 0x40051340, v18
	v_max_f32_e32 v3, v205, v205
	v_max_f32_e32 v1, v3, v1
	v_cndmask_b32_e64 v1, v205, v1, s[8:9]
	v_add_f32_e32 v3, 0x40051340, v19
	v_max_f32_e32 v4, v1, v1
	v_max_f32_e32 v3, v4, v3
	v_cndmask_b32_e64 v1, v1, v3, s[10:11]
	;; [unrolled: 4-line block ×8, first 2 shown]
	ds_bpermute_b32 v3, v90, v1
	v_max_f32_e32 v1, v1, v1
	s_mul_hi_i32 s3, s38, s74
	s_mul_i32 s2, s38, s74
	s_lshl_b64 s[2:3], s[2:3], 2
	s_waitcnt lgkmcnt(0)
	v_max_f32_e32 v3, v3, v3
	v_max_f32_e32 v1, v1, v3
	ds_bpermute_b32 v63, v91, v1
	s_add_u32 s26, s91, s2
	s_addc_u32 s27, s78, s3
	v_mov_b32_e32 v3, v2
	v_mov_b32_e32 v4, v2
	;; [unrolled: 1-line block ×3, first 2 shown]
	scratch_store_dwordx4 off, v[2:5], off
	s_and_saveexec_b64 s[2:3], s[52:53]
	s_cbranch_execz .LBB9_53
; %bb.52:                               ;   in Loop: Header=BB9_41 Depth=2
	v_lshl_add_u64 v[4:5], v[38:39], 2, s[26:27]
	v_lshlrev_b32_e32 v206, 2, v24
	v_mov_b32_e32 v207, v2
	v_lshl_add_u64 v[4:5], v[4:5], 0, v[206:207]
	global_load_dwordx4 v[206:209], v[4:5], off offset:128
	s_waitcnt vmcnt(0)
	ds_write_b128 v104, v[206:209]
.LBB9_53:                               ;   in Loop: Header=BB9_41 Depth=2
	s_or_b64 exec, exec, s[2:3]
	s_waitcnt lgkmcnt(0)
	v_max_f32_e32 v3, v63, v63
	v_max_f32_e32 v1, v1, v1
	;; [unrolled: 1-line block ×3, first 2 shown]
	v_sub_f32_e32 v3, v18, v1
	v_mul_f32_e32 v4, 0x3fb8aa3b, v3
	v_fma_f32 v5, v3, s73, -v4
	v_rndne_f32_e32 v18, v4
	v_fmac_f32_e32 v5, 0x32a5705f, v3
	v_sub_f32_e32 v4, v4, v18
	v_add_f32_e32 v4, v4, v5
	v_exp_f32_e32 v4, v4
	v_cvt_i32_f32_e32 v5, v18
	v_cmp_ngt_f32_e32 vcc, s99, v3
	v_cndmask_b32_e64 v15, v15, v15, s[16:17]
	v_cndmask_b32_e64 v16, v16, v16, s[16:17]
	v_ldexp_f32 v4, v4, v5
	v_cndmask_b32_e32 v4, 0, v4, vcc
	v_cmp_nlt_f32_e32 vcc, s82, v3
	v_cndmask_b32_e64 v17, v17, v17, s[16:17]
	s_add_i32 s40, s40, 1
	v_cndmask_b32_e32 v3, v197, v4, vcc
	v_cndmask_b32_e64 v206, 0, v3, s[8:9]
	v_sub_f32_e32 v3, v19, v1
	v_mul_f32_e32 v4, 0x3fb8aa3b, v3
	v_fma_f32 v5, v3, s73, -v4
	v_rndne_f32_e32 v18, v4
	v_fmac_f32_e32 v5, 0x32a5705f, v3
	v_sub_f32_e32 v4, v4, v18
	v_add_f32_e32 v4, v4, v5
	v_exp_f32_e32 v4, v4
	v_cvt_i32_f32_e32 v5, v18
	v_cmp_ngt_f32_e32 vcc, s99, v3
	v_cndmask_b32_e64 v19, v20, v20, s[10:11]
	v_cndmask_b32_e64 v18, v21, v21, s[10:11]
	v_ldexp_f32 v4, v4, v5
	v_cndmask_b32_e32 v4, 0, v4, vcc
	v_cmp_nlt_f32_e32 vcc, s82, v3
	v_mov_b32_e32 v3, s81
	s_add_i32 s38, s38, 64
	v_cndmask_b32_e32 v4, v197, v4, vcc
	v_add_f32_e32 v5, v4, v206
	v_cndmask_b32_e64 v89, v3, v4, s[10:11]
	v_sub_f32_e32 v4, v19, v1
	v_cndmask_b32_e64 v3, v206, v5, s[10:11]
	v_mul_f32_e32 v5, 0x3fb8aa3b, v4
	v_fma_f32 v19, v4, s73, -v5
	v_rndne_f32_e32 v20, v5
	v_fmac_f32_e32 v19, 0x32a5705f, v4
	v_sub_f32_e32 v5, v5, v20
	v_add_f32_e32 v5, v5, v19
	v_exp_f32_e32 v5, v5
	v_cvt_i32_f32_e32 v19, v20
	v_cmp_ngt_f32_e32 vcc, s99, v4
	s_cmp_lt_i32 s40, s41
	v_ldexp_f32 v5, v5, v19
	v_cndmask_b32_e32 v5, 0, v5, vcc
	v_cmp_nlt_f32_e32 vcc, s82, v4
	v_mov_b32_e32 v4, s81
	s_nop 0
	v_cndmask_b32_e32 v5, v197, v5, vcc
	v_cndmask_b32_e64 v207, v4, v5, s[12:13]
	v_sub_f32_e32 v4, v18, v1
	v_add_f32_e32 v19, v3, v5
	v_mul_f32_e32 v5, 0x3fb8aa3b, v4
	v_cndmask_b32_e64 v3, v3, v19, s[12:13]
	v_fma_f32 v18, v4, s73, -v5
	v_rndne_f32_e32 v19, v5
	v_fmac_f32_e32 v18, 0x32a5705f, v4
	v_sub_f32_e32 v5, v5, v19
	v_add_f32_e32 v5, v5, v18
	v_exp_f32_e32 v5, v5
	v_cvt_i32_f32_e32 v18, v19
	v_cmp_ngt_f32_e32 vcc, s99, v4
	v_ldexp_f32 v5, v5, v18
	s_nop 0
	v_cndmask_b32_e32 v5, 0, v5, vcc
	v_cmp_nlt_f32_e32 vcc, s82, v4
	s_nop 1
	v_cndmask_b32_e32 v208, v197, v5, vcc
	v_add_f32_e32 v4, v3, v208
	v_cndmask_b32_e64 v3, v3, v4, s[14:15]
	v_sub_f32_e32 v4, v14, v1
	v_mul_f32_e32 v5, 0x3fb8aa3b, v4
	v_fma_f32 v14, v4, s73, -v5
	v_rndne_f32_e32 v18, v5
	v_fmac_f32_e32 v14, 0x32a5705f, v4
	v_sub_f32_e32 v5, v5, v18
	v_add_f32_e32 v5, v5, v14
	v_exp_f32_e32 v5, v5
	v_cvt_i32_f32_e32 v14, v18
	v_cmp_ngt_f32_e32 vcc, s99, v4
	v_ldexp_f32 v5, v5, v14
	s_nop 0
	v_cndmask_b32_e32 v5, 0, v5, vcc
	v_cmp_nlt_f32_e32 vcc, s82, v4
	v_mov_b32_e32 v4, s81
	s_nop 0
	v_cndmask_b32_e32 v5, v197, v5, vcc
	v_add_f32_e32 v14, v5, v3
	v_cndmask_b32_e64 v209, v4, v5, s[16:17]
	v_cndmask_b32_e64 v4, v3, v14, s[16:17]
	v_sub_f32_e32 v3, v15, v1
	v_mul_f32_e32 v5, 0x3fb8aa3b, v3
	v_fma_f32 v14, v3, s73, -v5
	v_rndne_f32_e32 v15, v5
	v_fmac_f32_e32 v14, 0x32a5705f, v3
	v_sub_f32_e32 v5, v5, v15
	v_add_f32_e32 v5, v5, v14
	v_exp_f32_e32 v5, v5
	v_cvt_i32_f32_e32 v14, v15
	v_cmp_ngt_f32_e32 vcc, s99, v3
	v_ldexp_f32 v5, v5, v14
	s_nop 0
	v_cndmask_b32_e32 v5, 0, v5, vcc
	v_cmp_nlt_f32_e32 vcc, s82, v3
	v_mov_b32_e32 v3, s81
	s_nop 0
	v_cndmask_b32_e32 v5, v197, v5, vcc
	v_add_f32_e32 v14, v5, v4
	v_cndmask_b32_e64 v15, v3, v5, s[18:19]
	v_cndmask_b32_e64 v3, v4, v14, s[18:19]
	v_sub_f32_e32 v4, v16, v1
	v_mul_f32_e32 v5, 0x3fb8aa3b, v4
	v_fma_f32 v14, v4, s73, -v5
	v_rndne_f32_e32 v16, v5
	v_fmac_f32_e32 v14, 0x32a5705f, v4
	v_sub_f32_e32 v5, v5, v16
	v_add_f32_e32 v5, v5, v14
	v_exp_f32_e32 v5, v5
	v_cvt_i32_f32_e32 v14, v16
	v_cmp_ngt_f32_e32 vcc, s99, v4
	v_ldexp_f32 v5, v5, v14
	s_nop 0
	v_cndmask_b32_e32 v5, 0, v5, vcc
	v_cmp_nlt_f32_e32 vcc, s82, v4
	v_mov_b32_e32 v4, s81
	s_nop 0
	v_cndmask_b32_e32 v5, v197, v5, vcc
	v_cndmask_b32_e64 v210, v4, v5, s[20:21]
	v_sub_f32_e32 v4, v17, v1
	v_add_f32_e32 v14, v5, v3
	v_mul_f32_e32 v5, 0x3fb8aa3b, v4
	v_cndmask_b32_e64 v3, v3, v14, s[20:21]
	v_fma_f32 v14, v4, s73, -v5
	v_rndne_f32_e32 v16, v5
	v_fmac_f32_e32 v14, 0x32a5705f, v4
	v_sub_f32_e32 v5, v5, v16
	v_add_f32_e32 v5, v5, v14
	v_exp_f32_e32 v5, v5
	v_cvt_i32_f32_e32 v14, v16
	v_cmp_ngt_f32_e32 vcc, s99, v4
	v_ldexp_f32 v5, v5, v14
	s_nop 0
	v_cndmask_b32_e32 v5, 0, v5, vcc
	v_cmp_nlt_f32_e32 vcc, s82, v4
	s_nop 1
	v_cndmask_b32_e32 v4, v197, v5, vcc
	v_add_f32_e32 v5, v4, v3
	v_cndmask_b32_e64 v16, v3, v5, s[22:23]
	v_sub_f32_e32 v3, v205, v1
	v_mul_f32_e32 v5, 0x3fb8aa3b, v3
	v_fma_f32 v14, v3, s73, -v5
	v_rndne_f32_e32 v17, v5
	v_fmac_f32_e32 v14, 0x32a5705f, v3
	v_sub_f32_e32 v5, v5, v17
	v_add_f32_e32 v5, v5, v14
	v_exp_f32_e32 v5, v5
	v_cvt_i32_f32_e32 v14, v17
	v_cmp_ngt_f32_e32 vcc, s99, v3
	v_ldexp_f32 v5, v5, v14
	s_nop 0
	v_cndmask_b32_e32 v5, 0, v5, vcc
	v_cmp_nlt_f32_e32 vcc, s82, v3
	s_nop 1
	v_cndmask_b32_e32 v5, v197, v5, vcc
	v_cmp_le_f32_e32 vcc, s24, v3
	s_nop 1
	v_cndmask_b32_e32 v3, 0, v5, vcc
	v_fmac_f32_e32 v16, v204, v3
	v_cvt_f16_f32_e32 v3, v3
	v_mov_b32_e32 v5, s81
	v_cndmask_b32_e64 v14, v5, v4, s[22:23]
	v_cvt_f16_f32_e32 v4, v209
	v_pk_mul_f16 v63, v3, v95 op_sel_hi:[0,1]
	v_cndmask_b32_e64 v95, v5, v208, s[14:15]
	v_cvt_f16_f32_e32 v5, v15
	v_cvt_f16_f32_e32 v14, v14
	;; [unrolled: 1-line block ×4, first 2 shown]
	v_pack_b32_f16 v4, v4, v5
	v_cvt_f16_f32_e32 v5, v210
	v_pk_mul_f16 v21, v3, v97 op_sel_hi:[0,1]
	v_pk_mul_f16 v20, v3, v96 op_sel_hi:[0,1]
	v_lshl_add_u64 v[96:97], v[42:43], 2, s[26:27]
	v_pack_b32_f16 v5, v5, v14
	v_cvt_f16_f32_e32 v14, v206
	v_mov_b32_e32 v95, s83
	v_mov_b32_e32 v204, s79
	v_pk_mul_f16 v93, v3, v93 op_sel_hi:[0,1]
	v_pack_b32_f16 v14, v14, v15
	v_cvt_f16_f32_e32 v15, v207
	v_pk_mul_f16 v92, v3, v92 op_sel_hi:[0,1]
	v_pk_mul_f16 v94, v3, v94 op_sel_hi:[0,1]
	;; [unrolled: 1-line block ×3, first 2 shown]
	v_pack_b32_f16 v15, v15, v89
	v_mov_b32_e32 v89, v2
	v_lshl_add_u64 v[96:97], v[96:97], 0, v[88:89]
	v_cndmask_b32_e64 v97, v95, v97, s[4:5]
	v_cndmask_b32_e64 v96, v204, v96, s[4:5]
	v_pk_mul_f16 v18, v3, v200 op_sel_hi:[0,1]
	v_pk_mul_f16 v17, v3, v203 op_sel_hi:[0,1]
	;; [unrolled: 1-line block ×3, first 2 shown]
	flat_load_dwordx4 v[200:203], v[96:97]
	v_lshl_add_u64 v[96:97], v[40:41], 2, s[26:27]
	v_lshl_add_u64 v[88:89], v[96:97], 0, v[88:89]
	v_cndmask_b32_e64 v89, v95, v89, s[6:7]
	v_cndmask_b32_e64 v88, v204, v88, s[6:7]
	s_waitcnt vmcnt(0) lgkmcnt(0)
	ds_write_b128 v120, v[200:203]
	flat_load_dwordx4 v[200:203], v[88:89]
	s_waitcnt vmcnt(0) lgkmcnt(0)
	ds_write_b128 v186, v[200:203]
	s_waitcnt lgkmcnt(0)
	s_barrier
	ds_read_u16 v88, v106 offset:176
	ds_read_u16 v89, v106 offset:352
	v_cvt_f32_f16_e32 v202, v92
	v_cvt_f32_f16_sdwa v203, v92 dst_sel:DWORD dst_unused:UNUSED_PAD src0_sel:WORD_1
	ds_read_u16 v92, v107
	ds_read_u16 v95, v107 offset:32
	v_cvt_f32_f16_e32 v200, v93
	v_cvt_f32_f16_sdwa v201, v93 dst_sel:DWORD dst_unused:UNUSED_PAD src0_sel:WORD_1
	s_waitcnt lgkmcnt(1)
	v_perm_b32 v89, v92, v89, s77
	ds_read_u16 v92, v105
	ds_read_u16 v96, v105 offset:32
	ds_read_u16 v97, v105 offset:5632
	;; [unrolled: 1-line block ×5, first 2 shown]
	s_waitcnt lgkmcnt(5)
	v_perm_b32 v88, v88, v92, s77
	s_nop 1
	v_mfma_f32_16x16x16_f16 v[200:203], v[88:89], v[14:15], v[200:203]
	s_nop 6
	v_cvt_f16_f32_e32 v88, v200
	v_cvt_f16_f32_e32 v89, v201
	;; [unrolled: 1-line block ×4, first 2 shown]
	v_cvt_f32_f16_e32 v200, v88
	v_cvt_f32_f16_e32 v201, v89
	s_waitcnt lgkmcnt(0)
	v_perm_b32 v89, v206, v205, s77
	v_perm_b32 v88, v204, v97, s77
	v_cvt_f32_f16_e32 v202, v92
	v_cvt_f32_f16_e32 v203, v93
	s_nop 1
	v_mfma_f32_16x16x16_f16 v[200:203], v[88:89], v[4:5], v[200:203]
	s_nop 6
	v_cvt_f16_f32_e32 v88, v200
	v_cvt_f16_f32_e32 v89, v201
	;; [unrolled: 1-line block ×4, first 2 shown]
	v_cvt_f32_f16_e32 v200, v94
	v_pack_b32_f16 v93, v88, v89
	ds_read_u16 v88, v182 offset:176
	ds_read_u16 v89, v182 offset:352
	v_cvt_f32_f16_sdwa v201, v94 dst_sel:DWORD dst_unused:UNUSED_PAD src0_sel:WORD_1
	v_cvt_f32_f16_e32 v202, v63
	v_cvt_f32_f16_sdwa v203, v63 dst_sel:DWORD dst_unused:UNUSED_PAD src0_sel:WORD_1
	s_waitcnt lgkmcnt(1)
	v_perm_b32 v88, v88, v96, s77
	s_waitcnt lgkmcnt(0)
	v_perm_b32 v89, v95, v89, s77
	v_pack_b32_f16 v92, v92, v97
	s_nop 0
	v_mfma_f32_16x16x16_f16 v[94:97], v[88:89], v[14:15], v[200:203]
	s_nop 2
	ds_read_u16 v200, v108 offset:5632
	ds_read_u16 v201, v109 offset:176
	;; [unrolled: 1-line block ×4, first 2 shown]
	v_cvt_f16_f32_e32 v88, v95
	v_cvt_f16_f32_e32 v89, v96
	;; [unrolled: 1-line block ×4, first 2 shown]
	v_cvt_f32_f16_e32 v95, v88
	v_cvt_f32_f16_e32 v96, v89
	s_waitcnt lgkmcnt(0)
	v_perm_b32 v89, v203, v202, s77
	v_perm_b32 v88, v201, v200, s77
	v_cvt_f32_f16_e32 v94, v63
	v_cvt_f32_f16_e32 v97, v97
	;; [unrolled: 1-line block ×3, first 2 shown]
	v_cvt_f32_f16_sdwa v201, v21 dst_sel:DWORD dst_unused:UNUSED_PAD src0_sel:WORD_1
	v_mfma_f32_16x16x16_f16 v[94:97], v[88:89], v[4:5], v[94:97]
	v_cvt_f32_f16_e32 v202, v20
	v_cvt_f32_f16_sdwa v203, v20 dst_sel:DWORD dst_unused:UNUSED_PAD src0_sel:WORD_1
	s_nop 4
	v_cvt_f16_f32_e32 v63, v94
	v_cvt_f16_f32_e32 v88, v95
	;; [unrolled: 1-line block ×4, first 2 shown]
	v_pack_b32_f16 v94, v63, v88
	v_pack_b32_f16 v95, v89, v95
	ds_read_u16 v63, v105 offset:64
	ds_read_u16 v88, v183 offset:176
	;; [unrolled: 1-line block ×4, first 2 shown]
	s_waitcnt lgkmcnt(2)
	v_perm_b32 v20, v88, v63, s77
	s_waitcnt lgkmcnt(0)
	v_perm_b32 v21, v96, v89, s77
	ds_read_u16 v89, v111 offset:5632
	ds_read_u16 v96, v112 offset:176
	;; [unrolled: 1-line block ×4, first 2 shown]
	v_mfma_f32_16x16x16_f16 v[200:203], v[20:21], v[14:15], v[200:203]
	s_nop 6
	v_cvt_f16_f32_e32 v20, v200
	v_cvt_f16_f32_e32 v21, v201
	;; [unrolled: 1-line block ×4, first 2 shown]
	v_cvt_f32_f16_e32 v200, v20
	v_cvt_f32_f16_e32 v201, v21
	s_waitcnt lgkmcnt(0)
	v_perm_b32 v21, v204, v97, s77
	v_perm_b32 v20, v96, v89, s77
	v_cvt_f32_f16_e32 v202, v63
	v_cvt_f32_f16_e32 v203, v88
	s_nop 1
	v_mfma_f32_16x16x16_f16 v[200:203], v[20:21], v[4:5], v[200:203]
	s_nop 6
	v_cvt_f16_f32_e32 v20, v200
	v_cvt_f16_f32_e32 v21, v201
	;; [unrolled: 1-line block ×4, first 2 shown]
	v_cvt_f32_f16_e32 v200, v19
	v_pack_b32_f16 v97, v20, v21
	v_cvt_f32_f16_sdwa v201, v19 dst_sel:DWORD dst_unused:UNUSED_PAD src0_sel:WORD_1
	v_pack_b32_f16 v96, v63, v88
	ds_read_u16 v20, v105 offset:96
	ds_read_u16 v21, v184 offset:176
	;; [unrolled: 1-line block ×4, first 2 shown]
	v_cvt_f32_f16_e32 v202, v18
	v_cvt_f32_f16_sdwa v203, v18 dst_sel:DWORD dst_unused:UNUSED_PAD src0_sel:WORD_1
	s_waitcnt lgkmcnt(2)
	v_perm_b32 v18, v21, v20, s77
	s_waitcnt lgkmcnt(0)
	v_perm_b32 v19, v88, v63, s77
	s_nop 1
	v_mfma_f32_16x16x16_f16 v[18:21], v[18:19], v[14:15], v[200:203]
	ds_read_u16 v63, v114 offset:5632
	ds_read_u16 v88, v115 offset:176
	;; [unrolled: 1-line block ×4, first 2 shown]
	s_nop 2
	v_cvt_f16_f32_e32 v18, v18
	v_cvt_f16_f32_e32 v19, v19
	v_cvt_f16_f32_e32 v20, v20
	v_cvt_f16_f32_e32 v21, v21
	s_waitcnt lgkmcnt(0)
	v_perm_b32 v89, v200, v89, s77
	v_perm_b32 v88, v88, v63, s77
	v_cvt_f32_f16_e32 v18, v18
	v_cvt_f32_f16_e32 v19, v19
	;; [unrolled: 1-line block ×4, first 2 shown]
	s_nop 1
	v_mfma_f32_16x16x16_f16 v[18:21], v[88:89], v[4:5], v[18:21]
	ds_read_u16 v63, v105 offset:128
	ds_read_u16 v88, v185 offset:176
	;; [unrolled: 1-line block ×4, first 2 shown]
	s_nop 2
	v_cvt_f16_f32_e32 v18, v18
	v_cvt_f16_f32_e32 v19, v19
	;; [unrolled: 1-line block ×4, first 2 shown]
	s_waitcnt lgkmcnt(0)
	v_perm_b32 v89, v202, v89, s77
	v_perm_b32 v88, v88, v63, s77
	v_pack_b32_f16 v201, v18, v19
	v_pack_b32_f16 v200, v20, v21
	v_cvt_f32_f16_e32 v18, v17
	v_cvt_f32_f16_sdwa v19, v17 dst_sel:DWORD dst_unused:UNUSED_PAD src0_sel:WORD_1
	v_cvt_f32_f16_e32 v20, v3
	v_cvt_f32_f16_sdwa v21, v3 dst_sel:DWORD dst_unused:UNUSED_PAD src0_sel:WORD_1
	s_nop 1
	v_mfma_f32_16x16x16_f16 v[18:21], v[88:89], v[14:15], v[18:21]
	ds_read_u16 v63, v117 offset:5632
	ds_read_u16 v88, v118 offset:176
	ds_read_u16 v89, v118 offset:352
	ds_read_u16 v202, v119 offset:5632
	s_waitcnt lgkmcnt(0)
	s_barrier
	s_nop 0
	v_cvt_f16_f32_e32 v14, v19
	v_cvt_f16_f32_e32 v15, v20
	;; [unrolled: 1-line block ×4, first 2 shown]
	v_cvt_f32_f16_e32 v19, v14
	v_cvt_f32_f16_e32 v20, v15
	v_perm_b32 v15, v202, v89, s77
	v_perm_b32 v14, v88, v63, s77
	v_cvt_f32_f16_e32 v18, v3
	v_cvt_f32_f16_e32 v21, v17
	s_nop 1
	v_mfma_f32_16x16x16_f16 v[18:21], v[14:15], v[4:5], v[18:21]
	s_nop 6
	v_cvt_f16_f32_e32 v3, v18
	v_cvt_f16_f32_e32 v4, v19
	;; [unrolled: 1-line block ×4, first 2 shown]
	v_pack_b32_f16 v203, v3, v4
	v_pack_b32_f16 v202, v5, v14
	s_cbranch_scc0 .LBB9_57
; %bb.54:                               ;   in Loop: Header=BB9_41 Depth=2
	v_mov_b32_e32 v204, v16
	v_mov_b32_e32 v205, v1
	s_branch .LBB9_41
.LBB9_55:                               ;   in Loop: Header=BB9_12 Depth=1
	s_cbranch_execz .LBB9_11
	s_branch .LBB9_131
.LBB9_56:                               ;   in Loop: Header=BB9_12 Depth=1
	v_mov_b32_e32 v203, 0
	v_mov_b32_e32 v200, 0
	;; [unrolled: 1-line block ×10, first 2 shown]
.LBB9_57:                               ;   in Loop: Header=BB9_12 Depth=1
	s_lshl_b32 s26, s40, 6
	v_readlane_b32 s2, v221, 4
	v_cmp_eq_u64_e32 vcc, 0, v[64:65]
	s_mov_b32 s56, s90
	s_sub_i32 s90, s2, s26
	v_cmp_ne_u64_e64 s[38:39], 0, v[64:65]
	s_ashr_i32 s27, s26, 31
	v_readlane_b32 s3, v221, 5
	s_cbranch_vccnz .LBB9_67
; %bb.58:                               ;   in Loop: Header=BB9_12 Depth=1
	v_cmp_le_i32_e32 vcc, s90, v22
                                        ; implicit-def: $sgpr36
	s_and_saveexec_b64 s[2:3], vcc
	s_xor_b64 s[2:3], exec, s[2:3]
	s_cbranch_execz .LBB9_60
; %bb.59:                               ;   in Loop: Header=BB9_12 Depth=1
	ds_write_b16 v134, v2 offset:11264
	ds_write_b16 v168, v2 offset:11264
	s_mov_b32 s36, 0
.LBB9_60:                               ;   in Loop: Header=BB9_12 Depth=1
	s_or_saveexec_b64 s[34:35], s[2:3]
	s_lshl_b64 s[2:3], s[26:27], 1
	v_lshl_add_u64 v[4:5], v[64:65], 0, s[2:3]
	v_lshlrev_b32_e32 v14, 1, v22
	v_mov_b32_e32 v15, v2
	v_lshl_add_u64 v[4:5], v[4:5], 0, v[14:15]
	v_mov_b32_e32 v3, s36
	v_mov_b32_e32 v14, s36
	s_xor_b64 exec, exec, s[34:35]
	s_cbranch_execz .LBB9_62
; %bb.61:                               ;   in Loop: Header=BB9_12 Depth=1
	v_add_u32_e32 v3, s80, v98
	v_mul_hi_u32 v14, s86, v3
	v_add_u32_e32 v14, v3, v14
	v_lshrrev_b32_e32 v14, s87, v14
	v_mul_lo_u32 v14, v14, s72
	v_readlane_b32 s2, v220, 12
	v_sub_u32_e32 v3, v3, v14
	v_readlane_b32 s3, v220, 13
	s_mov_b32 s36, s2
	v_mad_i64_i32 v[14:15], s[2:3], v3, s36, 0
	v_lshl_add_u64 v[14:15], v[14:15], 1, v[4:5]
	flat_load_ushort v3, v[14:15]
	v_add_u32_e32 v14, s80, v167
	v_mul_hi_u32 v15, s86, v14
	v_add_u32_e32 v15, v14, v15
	v_lshrrev_b32_e32 v15, s87, v15
	v_mul_lo_u32 v15, v15, s72
	v_sub_u32_e32 v14, v14, v15
	v_mad_i64_i32 v[14:15], s[2:3], v14, s36, 0
	v_lshl_add_u64 v[14:15], v[14:15], 1, v[4:5]
	flat_load_ushort v14, v[14:15]
	s_waitcnt vmcnt(0) lgkmcnt(0)
	ds_write_b16 v134, v3 offset:11264
	ds_write_b16 v168, v14 offset:11264
	v_add_u32_e32 v3, s80, v169
	v_mul_hi_u32 v14, s86, v3
	v_add_u32_e32 v14, v3, v14
	v_lshrrev_b32_e32 v14, s87, v14
	v_mul_lo_u32 v14, v14, s72
	v_sub_u32_e32 v3, v3, v14
	v_mad_i64_i32 v[14:15], s[2:3], v3, s36, 0
	v_lshl_add_u64 v[14:15], v[14:15], 1, v[4:5]
	flat_load_ushort v3, v[14:15]
	v_add_u32_e32 v14, s80, v171
	v_mul_hi_u32 v15, s86, v14
	v_add_u32_e32 v15, v14, v15
	v_lshrrev_b32_e32 v15, s87, v15
	v_mul_lo_u32 v15, v15, s72
	v_sub_u32_e32 v14, v14, v15
	v_mad_i64_i32 v[14:15], s[2:3], v14, s36, 0
	v_lshl_add_u64 v[14:15], v[14:15], 1, v[4:5]
	flat_load_ushort v14, v[14:15]
.LBB9_62:                               ;   in Loop: Header=BB9_12 Depth=1
	s_or_b64 exec, exec, s[34:35]
	s_waitcnt vmcnt(0) lgkmcnt(0)
	ds_write_b16 v170, v3 offset:11264
	ds_write_b16 v172, v14 offset:11264
                                        ; implicit-def: $sgpr27
	s_and_saveexec_b64 s[2:3], vcc
	s_xor_b64 s[2:3], exec, s[2:3]
	s_cbranch_execz .LBB9_64
; %bb.63:                               ;   in Loop: Header=BB9_12 Depth=1
	ds_write_b16 v174, v2 offset:11264
	ds_write_b16 v176, v2 offset:11264
	s_mov_b32 s27, 0
                                        ; implicit-def: $vgpr4_vgpr5
.LBB9_64:                               ;   in Loop: Header=BB9_12 Depth=1
	s_or_saveexec_b64 s[34:35], s[2:3]
	v_mov_b32_e32 v3, s27
	v_mov_b32_e32 v14, s27
	s_xor_b64 exec, exec, s[34:35]
	s_cbranch_execz .LBB9_66
; %bb.65:                               ;   in Loop: Header=BB9_12 Depth=1
	v_add_u32_e32 v3, s80, v173
	v_mul_hi_u32 v14, s86, v3
	v_add_u32_e32 v14, v3, v14
	v_lshrrev_b32_e32 v14, s87, v14
	v_mul_lo_u32 v14, v14, s72
	v_readlane_b32 s2, v220, 12
	v_sub_u32_e32 v3, v3, v14
	v_readlane_b32 s3, v220, 13
	s_mov_b32 s36, s2
	v_mad_i64_i32 v[14:15], s[2:3], v3, s36, 0
	v_lshl_add_u64 v[14:15], v[14:15], 1, v[4:5]
	flat_load_ushort v3, v[14:15]
	v_add_u32_e32 v14, s80, v175
	v_mul_hi_u32 v15, s86, v14
	v_add_u32_e32 v15, v14, v15
	v_lshrrev_b32_e32 v15, s87, v15
	v_mul_lo_u32 v15, v15, s72
	v_sub_u32_e32 v14, v14, v15
	v_mad_i64_i32 v[14:15], s[2:3], v14, s36, 0
	v_lshl_add_u64 v[14:15], v[14:15], 1, v[4:5]
	flat_load_ushort v14, v[14:15]
	s_waitcnt vmcnt(0) lgkmcnt(0)
	ds_write_b16 v174, v3 offset:11264
	ds_write_b16 v176, v14 offset:11264
	v_add_u32_e32 v3, s80, v177
	v_mul_hi_u32 v14, s86, v3
	v_add_u32_e32 v14, v3, v14
	v_lshrrev_b32_e32 v14, s87, v14
	v_mul_lo_u32 v14, v14, s72
	v_sub_u32_e32 v3, v3, v14
	v_mad_i64_i32 v[14:15], s[2:3], v3, s36, 0
	v_lshl_add_u64 v[14:15], v[14:15], 1, v[4:5]
	flat_load_ushort v3, v[14:15]
	v_add_u32_e32 v14, s80, v179
	v_mul_hi_u32 v15, s86, v14
	v_add_u32_e32 v15, v14, v15
	v_lshrrev_b32_e32 v15, s87, v15
	v_mul_lo_u32 v15, v15, s72
	v_sub_u32_e32 v14, v14, v15
	v_mad_i64_i32 v[14:15], s[2:3], v14, s36, 0
	v_lshl_add_u64 v[4:5], v[14:15], 1, v[4:5]
	flat_load_ushort v14, v[4:5]
.LBB9_66:                               ;   in Loop: Header=BB9_12 Depth=1
	s_or_b64 exec, exec, s[34:35]
	s_waitcnt vmcnt(0) lgkmcnt(0)
	ds_write_b16 v178, v3 offset:11264
	ds_write_b16 v180, v14 offset:11264
.LBB9_67:                               ;   in Loop: Header=BB9_12 Depth=1
	s_mul_hi_i32 s3, s26, s88
	s_mul_i32 s2, s26, s88
	s_lshl_b64 s[2:3], s[2:3], 2
	s_add_u32 s34, s25, s2
	s_addc_u32 s35, s76, s3
	v_mov_b32_e32 v3, v2
	v_mov_b32_e32 v4, v2
	;; [unrolled: 1-line block ×3, first 2 shown]
	scratch_store_dwordx4 off, v[2:5], off
	s_and_saveexec_b64 s[36:37], s[52:53]
	s_cbranch_execz .LBB9_69
; %bb.68:                               ;   in Loop: Header=BB9_12 Depth=1
	v_lshl_add_u64 v[4:5], v[32:33], 2, s[34:35]
	v_lshlrev_b32_e32 v14, 2, v24
	v_mov_b32_e32 v15, v2
	v_lshl_add_u64 v[4:5], v[4:5], 0, v[14:15]
	v_lshl_add_u64 v[4:5], v[4:5], 0, s[30:31]
	v_mov_b32_e32 v3, s83
	v_cmp_gt_i32_e32 vcc, s90, v103
	s_nop 1
	v_cndmask_b32_e32 v5, v3, v5, vcc
	v_mov_b32_e32 v3, s79
	v_cndmask_b32_e32 v4, v3, v4, vcc
	flat_load_dwordx4 v[18:21], v[4:5]
	s_waitcnt vmcnt(0) lgkmcnt(0)
	ds_write_b128 v104, v[18:21]
.LBB9_69:                               ;   in Loop: Header=BB9_12 Depth=1
	s_or_b64 exec, exec, s[36:37]
	v_lshl_add_u64 v[4:5], v[34:35], 2, s[34:35]
	v_lshlrev_b32_e32 v14, 2, v26
	v_mov_b32_e32 v15, v2
	v_lshl_add_u64 v[4:5], v[4:5], 0, v[14:15]
	v_mov_b32_e32 v3, s83
	v_cmp_gt_i32_e64 s[36:37], s90, v27
	v_mov_b32_e32 v17, s79
	s_andn2_b64 vcc, exec, s[38:39]
	v_cndmask_b32_e64 v5, v3, v5, s[36:37]
	v_cndmask_b32_e64 v4, v17, v4, s[36:37]
	flat_load_dwordx4 v[18:21], v[4:5]
	v_lshl_add_u64 v[4:5], v[36:37], 2, s[34:35]
	v_lshl_add_u64 v[4:5], v[4:5], 0, v[14:15]
	v_cmp_gt_i32_e64 s[34:35], s90, v142
	s_waitcnt vmcnt(0) lgkmcnt(0)
	ds_write_b128 v120, v[18:21]
	v_cndmask_b32_e64 v5, v3, v5, s[34:35]
	v_cndmask_b32_e64 v4, v17, v4, s[34:35]
	flat_load_dwordx4 v[18:21], v[4:5]
	v_add_u32_e32 v3, v45, v136
	v_add_u32_e32 v4, 0x1000, v3
	s_waitcnt vmcnt(0) lgkmcnt(0)
	ds_write_b128 v186, v[18:21]
	s_waitcnt lgkmcnt(0)
	s_barrier
	ds_read2_b64 v[18:21], v3 offset1:4
	ds_read2_b64 v[72:75], v4 offset0:192 offset1:196
	s_waitcnt lgkmcnt(1)
	v_mfma_f32_16x16x16_f16 v[68:71], v[18:19], v[10:11], 0
	s_waitcnt lgkmcnt(0)
	v_mfma_f32_16x16x16_f16 v[76:79], v[72:73], v[10:11], 0
	v_mfma_f32_16x16x16_f16 v[18:21], v[20:21], v[12:13], v[68:71]
	;; [unrolled: 1-line block ×3, first 2 shown]
	s_nop 2
	ds_read2_b64 v[68:71], v3 offset0:8 offset1:12
	ds_read2_b64 v[72:75], v4 offset0:200 offset1:204
	s_waitcnt lgkmcnt(1)
	v_mfma_f32_16x16x16_f16 v[18:21], v[68:69], v[6:7], v[18:21]
	s_waitcnt lgkmcnt(0)
	v_mfma_f32_16x16x16_f16 v[4:7], v[72:73], v[6:7], v[10:13]
	v_mfma_f32_16x16x16_f16 v[10:13], v[70:71], v[8:9], v[18:21]
	s_nop 3
	ds_read_b64 v[18:19], v3 offset:128
	v_mfma_f32_16x16x16_f16 v[4:7], v[74:75], v[8:9], v[4:7]
	ds_read_b64 v[8:9], v3 offset:5760
	s_waitcnt lgkmcnt(0)
	s_barrier
	v_mfma_f32_16x16x16_f16 v[10:13], v[18:19], v[66:67], v[10:13]
	v_mfma_f32_16x16x16_f16 v[6:9], v[8:9], v[66:67], v[4:7]
	s_cbranch_vccnz .LBB9_71
; %bb.70:                               ;   in Loop: Header=BB9_12 Depth=1
	v_add_u32_e32 v3, 0x2c00, v137
	s_nop 0
	ds_read2_b32 v[4:5], v3 offset1:1
	ds_read_b32 v3, v139 offset:11264
	s_waitcnt lgkmcnt(1)
	v_cvt_f32_f16_e32 v18, v4
	v_cvt_f32_f16_sdwa v19, v4 dst_sel:DWORD dst_unused:UNUSED_PAD src0_sel:WORD_1
	v_cvt_f32_f16_e32 v4, v5
	v_cvt_f32_f16_sdwa v5, v5 dst_sel:DWORD dst_unused:UNUSED_PAD src0_sel:WORD_1
	v_pk_fma_f32 v[10:11], v[62:63], v[18:19], v[10:11] op_sel_hi:[0,1,1]
	v_pk_fma_f32 v[12:13], v[62:63], v[4:5], v[12:13] op_sel_hi:[0,1,1]
	s_waitcnt lgkmcnt(0)
	v_cvt_f32_f16_sdwa v5, v3 dst_sel:DWORD dst_unused:UNUSED_PAD src0_sel:WORD_1
	v_cvt_f32_f16_e32 v4, v3
	ds_read_b32 v3, v141 offset:11264
	v_pk_fma_f32 v[6:7], v[62:63], v[4:5], v[6:7] op_sel_hi:[0,1,1]
	s_waitcnt lgkmcnt(0)
	v_cvt_f32_f16_sdwa v19, v3 dst_sel:DWORD dst_unused:UNUSED_PAD src0_sel:WORD_1
	v_cvt_f32_f16_e32 v18, v3
	v_pk_fma_f32 v[8:9], v[62:63], v[18:19], v[8:9] op_sel_hi:[0,1,1]
.LBB9_71:                               ;   in Loop: Header=BB9_12 Depth=1
	s_nop 4
	v_add_f32_e32 v3, 0x40051340, v10
	v_max_f32_e32 v4, v1, v1
	v_max_f32_e32 v3, v4, v3
	v_cmp_gt_u32_e64 s[50:51], s90, v135
	v_add_f32_e32 v4, 0x40051340, v11
	v_cmp_gt_u32_e64 s[48:49], s90, v187
	v_cndmask_b32_e64 v3, v1, v3, s[50:51]
	v_max_f32_e32 v5, v3, v3
	v_max_f32_e32 v4, v5, v4
	v_cndmask_b32_e64 v3, v3, v4, s[48:49]
	v_add_f32_e32 v4, 0x40051340, v12
	v_max_f32_e32 v5, v3, v3
	v_max_f32_e32 v4, v5, v4
	v_cmp_gt_u32_e64 s[46:47], s90, v188
	v_cmp_gt_u32_e32 vcc, s90, v189
	v_cmp_gt_u32_e64 s[44:45], s90, v138
	v_cndmask_b32_e64 v3, v3, v4, s[46:47]
	v_add_f32_e32 v4, 0x40051340, v13
	v_max_f32_e32 v5, v3, v3
	v_max_f32_e32 v4, v5, v4
	v_cndmask_b32_e32 v3, v3, v4, vcc
	v_add_f32_e32 v4, 0x40051340, v6
	v_max_f32_e32 v5, v3, v3
	v_max_f32_e32 v4, v5, v4
	v_cndmask_b32_e64 v3, v3, v4, s[44:45]
	v_add_f32_e32 v4, 0x40051340, v7
	v_max_f32_e32 v5, v3, v3
	v_max_f32_e32 v4, v5, v4
	v_cmp_gt_u32_e64 s[42:43], s90, v190
	v_cmp_gt_u32_e64 s[40:41], s90, v140
	v_cmp_gt_u32_e64 s[38:39], s90, v191
	v_cndmask_b32_e64 v3, v3, v4, s[42:43]
	v_add_f32_e32 v4, 0x40051340, v8
	v_max_f32_e32 v5, v3, v3
	v_max_f32_e32 v4, v5, v4
	v_cndmask_b32_e64 v3, v3, v4, s[40:41]
	v_add_f32_e32 v4, 0x40051340, v9
	v_max_f32_e32 v5, v3, v3
	v_max_f32_e32 v4, v5, v4
	v_cndmask_b32_e64 v3, v3, v4, s[38:39]
	v_and_b32_e32 v4, 64, v199
	v_add_u32_e32 v4, 64, v4
	v_xor_b32_e32 v5, 32, v199
	v_cmp_lt_i32_e64 s[54:55], v5, v4
	s_mul_hi_i32 s3, s26, s74
	s_mul_i32 s2, s26, s74
	v_cndmask_b32_e64 v5, v199, v5, s[54:55]
	v_lshlrev_b32_e32 v18, 2, v5
	ds_bpermute_b32 v5, v18, v3
	v_max_f32_e32 v3, v3, v3
	s_lshl_b64 s[2:3], s[2:3], 2
	s_add_u32 s26, s91, s2
	s_addc_u32 s27, s78, s3
	s_waitcnt lgkmcnt(0)
	v_max_f32_e32 v5, v5, v5
	v_max_f32_e32 v15, v3, v5
	v_xor_b32_e32 v3, 16, v199
	v_cmp_lt_i32_e64 s[54:55], v3, v4
	v_mov_b32_e32 v4, v2
	v_mov_b32_e32 v5, v2
	v_cndmask_b32_e64 v3, v199, v3, s[54:55]
	v_lshlrev_b32_e32 v17, 2, v3
	ds_bpermute_b32 v19, v17, v15
	v_mov_b32_e32 v3, v2
	scratch_store_dwordx4 off, v[2:5], off
	s_and_saveexec_b64 s[2:3], s[52:53]
	s_cbranch_execz .LBB9_73
; %bb.72:                               ;   in Loop: Header=BB9_12 Depth=1
	v_lshl_add_u64 v[4:5], v[38:39], 2, s[26:27]
	v_lshlrev_b32_e32 v20, 2, v24
	v_mov_b32_e32 v21, v2
	v_lshl_add_u64 v[4:5], v[4:5], 0, v[20:21]
	v_lshl_add_u64 v[4:5], v[4:5], 0, s[30:31]
	v_mov_b32_e32 v3, s83
	v_cmp_gt_i32_e64 s[54:55], s90, v103
	s_nop 1
	v_cndmask_b32_e64 v5, v3, v5, s[54:55]
	v_mov_b32_e32 v3, s79
	v_cndmask_b32_e64 v4, v3, v4, s[54:55]
	flat_load_dwordx4 v[66:69], v[4:5]
	s_waitcnt vmcnt(0) lgkmcnt(0)
	ds_write_b128 v104, v[66:69]
.LBB9_73:                               ;   in Loop: Header=BB9_12 Depth=1
	s_or_b64 exec, exec, s[2:3]
	s_waitcnt lgkmcnt(0)
	v_max_f32_e32 v3, v19, v19
	v_max_f32_e32 v4, v15, v15
	;; [unrolled: 1-line block ×3, first 2 shown]
	v_sub_f32_e32 v3, v10, v4
	v_mul_f32_e32 v5, 0x3fb8aa3b, v3
	v_fma_f32 v10, v3, s73, -v5
	v_rndne_f32_e32 v15, v5
	v_fmac_f32_e32 v10, 0x32a5705f, v3
	v_sub_f32_e32 v5, v5, v15
	v_add_f32_e32 v5, v5, v10
	v_exp_f32_e32 v5, v5
	v_cvt_i32_f32_e32 v10, v15
	v_cmp_ngt_f32_e64 s[54:55], s99, v3
	v_cndmask_b32_e64 v12, v12, v12, s[48:49]
	v_cndmask_b32_e64 v7, v7, v7, s[44:45]
	v_ldexp_f32 v5, v5, v10
	v_cndmask_b32_e64 v5, 0, v5, s[54:55]
	v_cmp_nlt_f32_e64 s[54:55], s82, v3
	v_cndmask_b32_e64 v9, v9, v9, s[44:45]
	v_cndmask_b32_e64 v8, v8, v8, s[44:45]
	;; [unrolled: 1-line block ×4, first 2 shown]
	v_sub_f32_e32 v3, v11, v4
	v_mul_f32_e32 v5, 0x3fb8aa3b, v3
	v_fma_f32 v10, v3, s73, -v5
	v_rndne_f32_e32 v11, v5
	v_fmac_f32_e32 v10, 0x32a5705f, v3
	v_sub_f32_e32 v5, v5, v11
	v_add_f32_e32 v5, v5, v10
	v_exp_f32_e32 v5, v5
	v_cvt_i32_f32_e32 v10, v11
	v_cmp_ngt_f32_e64 s[50:51], s99, v3
	v_cndmask_b32_e64 v11, v13, v13, s[48:49]
	v_sub_f32_e32 v1, v1, v4
	v_ldexp_f32 v5, v5, v10
	v_cndmask_b32_e64 v5, 0, v5, s[50:51]
	v_cmp_nlt_f32_e64 s[50:51], s82, v3
	v_mov_b32_e32 v3, s81
	v_mov_b32_e32 v70, s79
	v_cndmask_b32_e64 v5, v197, v5, s[50:51]
	v_add_f32_e32 v10, v5, v66
	v_cndmask_b32_e64 v15, v3, v5, s[48:49]
	v_sub_f32_e32 v5, v12, v4
	v_cndmask_b32_e64 v3, v66, v10, s[48:49]
	v_mul_f32_e32 v10, 0x3fb8aa3b, v5
	v_fma_f32 v12, v5, s73, -v10
	v_rndne_f32_e32 v13, v10
	v_fmac_f32_e32 v12, 0x32a5705f, v5
	v_sub_f32_e32 v10, v10, v13
	v_add_f32_e32 v10, v10, v12
	v_exp_f32_e32 v10, v10
	v_cvt_i32_f32_e32 v12, v13
	v_cmp_ngt_f32_e64 s[48:49], s99, v5
	s_cmp_eq_u64 s[28:29], 0
	s_cselect_b64 s[2:3], -1, 0
	v_ldexp_f32 v10, v10, v12
	v_cndmask_b32_e64 v10, 0, v10, s[48:49]
	v_cmp_nlt_f32_e64 s[48:49], s82, v5
	s_nop 1
	v_cndmask_b32_e64 v5, v197, v10, s[48:49]
	v_mov_b32_e32 v10, s81
	v_add_f32_e32 v12, v3, v5
	v_cndmask_b32_e64 v63, v10, v5, s[46:47]
	v_sub_f32_e32 v5, v11, v4
	v_mul_f32_e32 v10, 0x3fb8aa3b, v5
	v_cndmask_b32_e64 v3, v3, v12, s[46:47]
	v_fma_f32 v11, v5, s73, -v10
	v_rndne_f32_e32 v12, v10
	v_fmac_f32_e32 v11, 0x32a5705f, v5
	v_sub_f32_e32 v10, v10, v12
	v_add_f32_e32 v10, v10, v11
	v_exp_f32_e32 v10, v10
	v_cvt_i32_f32_e32 v11, v12
	v_cmp_ngt_f32_e64 s[46:47], s99, v5
	v_ldexp_f32 v10, v10, v11
	s_nop 0
	v_cndmask_b32_e64 v10, 0, v10, s[46:47]
	v_cmp_nlt_f32_e64 s[46:47], s82, v5
	s_nop 1
	v_cndmask_b32_e64 v67, v197, v10, s[46:47]
	v_add_f32_e32 v5, v3, v67
	v_cndmask_b32_e32 v3, v3, v5, vcc
	v_sub_f32_e32 v5, v6, v4
	v_mul_f32_e32 v6, 0x3fb8aa3b, v5
	v_fma_f32 v10, v5, s73, -v6
	v_rndne_f32_e32 v11, v6
	v_fmac_f32_e32 v10, 0x32a5705f, v5
	v_sub_f32_e32 v6, v6, v11
	v_add_f32_e32 v6, v6, v10
	v_exp_f32_e32 v6, v6
	v_cvt_i32_f32_e32 v10, v11
	v_cmp_ngt_f32_e64 s[46:47], s99, v5
	v_ldexp_f32 v6, v6, v10
	s_nop 0
	v_cndmask_b32_e64 v6, 0, v6, s[46:47]
	v_cmp_nlt_f32_e64 s[46:47], s82, v5
	s_nop 1
	v_cndmask_b32_e64 v5, v197, v6, s[46:47]
	v_add_f32_e32 v10, v5, v3
	v_mov_b32_e32 v6, s81
	v_cndmask_b32_e64 v68, v6, v5, s[44:45]
	v_cndmask_b32_e64 v5, v3, v10, s[44:45]
	v_sub_f32_e32 v3, v7, v4
	v_mul_f32_e32 v6, 0x3fb8aa3b, v3
	v_fma_f32 v7, v3, s73, -v6
	v_rndne_f32_e32 v10, v6
	v_fmac_f32_e32 v7, 0x32a5705f, v3
	v_sub_f32_e32 v6, v6, v10
	v_add_f32_e32 v6, v6, v7
	v_exp_f32_e32 v6, v6
	v_cvt_i32_f32_e32 v7, v10
	v_cmp_ngt_f32_e64 s[44:45], s99, v3
	v_ldexp_f32 v6, v6, v7
	s_nop 0
	v_cndmask_b32_e64 v6, 0, v6, s[44:45]
	v_cmp_nlt_f32_e64 s[44:45], s82, v3
	v_mov_b32_e32 v3, s81
	s_nop 0
	v_cndmask_b32_e64 v6, v197, v6, s[44:45]
	v_add_f32_e32 v7, v6, v5
	v_cndmask_b32_e64 v69, v3, v6, s[42:43]
	v_cndmask_b32_e64 v3, v5, v7, s[42:43]
	v_sub_f32_e32 v5, v8, v4
	v_mul_f32_e32 v6, 0x3fb8aa3b, v5
	v_fma_f32 v7, v5, s73, -v6
	v_rndne_f32_e32 v8, v6
	v_fmac_f32_e32 v7, 0x32a5705f, v5
	v_sub_f32_e32 v6, v6, v8
	v_add_f32_e32 v6, v6, v7
	v_exp_f32_e32 v6, v6
	v_cvt_i32_f32_e32 v7, v8
	v_cmp_ngt_f32_e64 s[42:43], s99, v5
	v_ldexp_f32 v6, v6, v7
	s_nop 0
	v_cndmask_b32_e64 v6, 0, v6, s[42:43]
	v_cmp_nlt_f32_e64 s[42:43], s82, v5
	s_nop 1
	v_cndmask_b32_e64 v5, v197, v6, s[42:43]
	v_mov_b32_e32 v6, s81
	v_add_f32_e32 v7, v5, v3
	v_cndmask_b32_e64 v8, v6, v5, s[40:41]
	v_sub_f32_e32 v5, v9, v4
	v_mul_f32_e32 v6, 0x3fb8aa3b, v5
	v_cndmask_b32_e64 v3, v3, v7, s[40:41]
	v_fma_f32 v7, v5, s73, -v6
	v_rndne_f32_e32 v9, v6
	v_fmac_f32_e32 v7, 0x32a5705f, v5
	v_sub_f32_e32 v6, v6, v9
	v_add_f32_e32 v6, v6, v7
	v_exp_f32_e32 v6, v6
	v_cvt_i32_f32_e32 v7, v9
	v_cmp_ngt_f32_e64 s[40:41], s99, v5
	v_ldexp_f32 v6, v6, v7
	s_nop 0
	v_cndmask_b32_e64 v6, 0, v6, s[40:41]
	v_cmp_nlt_f32_e64 s[40:41], s82, v5
	s_nop 1
	v_cndmask_b32_e64 v6, v197, v6, s[40:41]
	v_add_f32_e32 v5, v6, v3
	v_cndmask_b32_e64 v5, v3, v5, s[38:39]
	v_mul_f32_e32 v3, 0x3fb8aa3b, v1
	v_fma_f32 v7, v1, s73, -v3
	v_rndne_f32_e32 v9, v3
	v_fmac_f32_e32 v7, 0x32a5705f, v1
	v_sub_f32_e32 v3, v3, v9
	v_add_f32_e32 v3, v3, v7
	v_exp_f32_e32 v3, v3
	v_cvt_i32_f32_e32 v7, v9
	v_cmp_ngt_f32_e64 s[40:41], s99, v1
	v_ldexp_f32 v3, v3, v7
	s_nop 0
	v_cndmask_b32_e64 v3, 0, v3, s[40:41]
	v_cmp_nlt_f32_e64 s[40:41], s82, v1
	s_nop 1
	v_cndmask_b32_e64 v3, v197, v3, s[40:41]
	v_cmp_le_f32_e64 s[40:41], s24, v1
	s_nop 1
	v_cndmask_b32_e64 v1, 0, v3, s[40:41]
	v_cvt_f16_f32_e32 v7, v1
	v_fmac_f32_e32 v5, v16, v1
	v_pk_mul_f16 v10, v7, v93 op_sel_hi:[0,1]
	v_pk_mul_f16 v1, v7, v92 op_sel_hi:[0,1]
	;; [unrolled: 1-line block ×10, first 2 shown]
	v_mov_b32_e32 v7, s81
	v_cndmask_b32_e64 v9, v7, v6, s[38:39]
	v_cndmask_b32_e32 v67, v7, v67, vcc
	v_cvt_f16_f32_e32 v6, v68
	v_cvt_f16_f32_e32 v7, v69
	v_pack_b32_f16 v6, v6, v7
	v_cvt_f16_f32_e32 v7, v8
	v_cvt_f16_f32_e32 v8, v9
	;; [unrolled: 1-line block ×4, first 2 shown]
	v_pack_b32_f16 v7, v7, v8
	v_cvt_f16_f32_e32 v8, v66
	v_lshl_add_u64 v[66:67], v[42:43], 2, s[26:27]
	v_pack_b32_f16 v8, v8, v9
	v_cvt_f16_f32_e32 v9, v63
	v_mov_b32_e32 v63, s83
	v_pack_b32_f16 v9, v9, v15
	v_mov_b32_e32 v15, v2
	v_lshl_add_u64 v[66:67], v[66:67], 0, v[14:15]
	v_cndmask_b32_e64 v67, v63, v67, s[36:37]
	v_cndmask_b32_e64 v66, v70, v66, s[36:37]
	flat_load_dwordx4 v[66:69], v[66:67]
	v_readlane_b32 s36, v220, 4
	v_readlane_b32 s37, v220, 5
	s_waitcnt vmcnt(0) lgkmcnt(0)
	ds_write_b128 v120, v[66:69]
	v_lshl_add_u64 v[66:67], v[40:41], 2, s[26:27]
	v_lshl_add_u64 v[14:15], v[66:67], 0, v[14:15]
	v_cndmask_b32_e64 v15, v63, v15, s[34:35]
	v_cndmask_b32_e64 v14, v70, v14, s[34:35]
	flat_load_dwordx4 v[66:69], v[14:15]
	s_xor_b64 s[26:27], s[36:37], -1
	s_or_b64 s[2:3], s[26:27], s[2:3]
	s_waitcnt vmcnt(0) lgkmcnt(0)
	ds_write_b128 v186, v[66:69]
	s_waitcnt lgkmcnt(0)
	s_barrier
	ds_read_u16 v14, v106 offset:176
	ds_read_u16 v15, v106 offset:352
	v_cvt_f32_f16_e32 v68, v1
	v_cvt_f32_f16_sdwa v69, v1 dst_sel:DWORD dst_unused:UNUSED_PAD src0_sel:WORD_1
	ds_read_u16 v1, v107
	ds_read_u16 v63, v107 offset:32
	v_cvt_f32_f16_e32 v66, v10
	v_cvt_f32_f16_sdwa v67, v10 dst_sel:DWORD dst_unused:UNUSED_PAD src0_sel:WORD_1
	s_waitcnt lgkmcnt(1)
	v_perm_b32 v15, v1, v15, s77
	ds_read_u16 v1, v105
	ds_read_u16 v70, v105 offset:32
	ds_read_u16 v71, v105 offset:5632
	;; [unrolled: 1-line block ×5, first 2 shown]
	s_waitcnt lgkmcnt(5)
	v_perm_b32 v14, v14, v1, s77
	s_nop 1
	v_mfma_f32_16x16x16_f16 v[66:69], v[14:15], v[8:9], v[66:69]
	s_nop 6
	v_cvt_f16_f32_e32 v14, v68
	v_cvt_f16_f32_e32 v15, v69
	;; [unrolled: 1-line block ×4, first 2 shown]
	v_cvt_f32_f16_e32 v68, v14
	v_cvt_f32_f16_e32 v69, v15
	s_waitcnt lgkmcnt(0)
	v_perm_b32 v15, v74, v73, s77
	v_perm_b32 v14, v72, v71, s77
	v_cvt_f32_f16_e32 v66, v1
	v_cvt_f32_f16_e32 v67, v10
	s_nop 1
	v_mfma_f32_16x16x16_f16 v[66:69], v[14:15], v[6:7], v[66:69]
	s_nop 6
	v_cvt_f16_f32_e32 v1, v66
	v_cvt_f16_f32_e32 v10, v67
	;; [unrolled: 1-line block ×4, first 2 shown]
	v_cvt_f32_f16_e32 v66, v12
	v_pack_b32_f16 v10, v1, v10
	v_cvt_f32_f16_sdwa v67, v12 dst_sel:DWORD dst_unused:UNUSED_PAD src0_sel:WORD_1
	v_pack_b32_f16 v1, v14, v15
	ds_read_u16 v14, v182 offset:176
	ds_read_u16 v15, v182 offset:352
	v_cvt_f32_f16_e32 v68, v3
	v_cvt_f32_f16_sdwa v69, v3 dst_sel:DWORD dst_unused:UNUSED_PAD src0_sel:WORD_1
	s_waitcnt lgkmcnt(1)
	v_perm_b32 v14, v14, v70, s77
	s_waitcnt lgkmcnt(0)
	v_perm_b32 v15, v63, v15, s77
	ds_read_u16 v63, v108 offset:5632
	ds_read_u16 v70, v109 offset:176
	;; [unrolled: 1-line block ×4, first 2 shown]
	v_mfma_f32_16x16x16_f16 v[66:69], v[14:15], v[8:9], v[66:69]
	s_nop 6
	v_cvt_f16_f32_e32 v14, v68
	v_cvt_f16_f32_e32 v15, v69
	;; [unrolled: 1-line block ×4, first 2 shown]
	v_cvt_f32_f16_e32 v68, v14
	v_cvt_f32_f16_e32 v69, v15
	s_waitcnt lgkmcnt(0)
	v_perm_b32 v15, v72, v71, s77
	v_perm_b32 v14, v70, v63, s77
	v_cvt_f32_f16_e32 v66, v3
	v_cvt_f32_f16_e32 v67, v12
	s_nop 1
	v_mfma_f32_16x16x16_f16 v[66:69], v[14:15], v[6:7], v[66:69]
	s_nop 6
	v_cvt_f16_f32_e32 v3, v66
	v_cvt_f16_f32_e32 v12, v67
	;; [unrolled: 1-line block ×4, first 2 shown]
	v_cvt_f32_f16_e32 v66, v21
	v_pack_b32_f16 v12, v3, v12
	v_cvt_f32_f16_sdwa v67, v21 dst_sel:DWORD dst_unused:UNUSED_PAD src0_sel:WORD_1
	v_pack_b32_f16 v3, v14, v15
	ds_read_u16 v14, v105 offset:64
	ds_read_u16 v63, v183 offset:176
	;; [unrolled: 1-line block ×4, first 2 shown]
	v_cvt_f32_f16_e32 v68, v11
	v_cvt_f32_f16_sdwa v69, v11 dst_sel:DWORD dst_unused:UNUSED_PAD src0_sel:WORD_1
	s_waitcnt lgkmcnt(2)
	v_perm_b32 v14, v63, v14, s77
	s_waitcnt lgkmcnt(0)
	v_perm_b32 v15, v70, v15, s77
	ds_read_u16 v63, v111 offset:5632
	ds_read_u16 v70, v112 offset:176
	;; [unrolled: 1-line block ×4, first 2 shown]
	v_mfma_f32_16x16x16_f16 v[66:69], v[14:15], v[8:9], v[66:69]
	s_nop 6
	v_cvt_f16_f32_e32 v14, v67
	v_cvt_f16_f32_e32 v15, v68
	;; [unrolled: 1-line block ×4, first 2 shown]
	v_cvt_f32_f16_e32 v67, v14
	v_cvt_f32_f16_e32 v68, v15
	s_waitcnt lgkmcnt(0)
	v_perm_b32 v15, v72, v71, s77
	v_perm_b32 v14, v70, v63, s77
	v_cvt_f32_f16_e32 v66, v11
	v_cvt_f32_f16_e32 v69, v21
	s_nop 1
	v_mfma_f32_16x16x16_f16 v[66:69], v[14:15], v[6:7], v[66:69]
	s_nop 6
	v_cvt_f16_f32_e32 v11, v66
	v_cvt_f16_f32_e32 v14, v67
	;; [unrolled: 1-line block ×4, first 2 shown]
	v_cvt_f32_f16_e32 v66, v16
	v_pack_b32_f16 v14, v11, v14
	v_cvt_f32_f16_sdwa v67, v16 dst_sel:DWORD dst_unused:UNUSED_PAD src0_sel:WORD_1
	v_pack_b32_f16 v11, v15, v21
	ds_read_u16 v15, v105 offset:96
	ds_read_u16 v21, v184 offset:176
	ds_read_u16 v63, v184 offset:352
	ds_read_u16 v70, v107 offset:96
	v_cvt_f32_f16_e32 v68, v13
	v_cvt_f32_f16_sdwa v69, v13 dst_sel:DWORD dst_unused:UNUSED_PAD src0_sel:WORD_1
	s_waitcnt lgkmcnt(0)
	v_perm_b32 v71, v70, v63, s77
	v_perm_b32 v70, v21, v15, s77
	s_nop 1
	v_mfma_f32_16x16x16_f16 v[66:69], v[70:71], v[8:9], v[66:69]
	ds_read_u16 v63, v114 offset:5632
	ds_read_u16 v70, v115 offset:176
	;; [unrolled: 1-line block ×4, first 2 shown]
	s_nop 2
	v_cvt_f16_f32_e32 v13, v66
	v_cvt_f16_f32_e32 v15, v67
	;; [unrolled: 1-line block ×4, first 2 shown]
	s_waitcnt lgkmcnt(0)
	v_perm_b32 v71, v72, v71, s77
	v_perm_b32 v70, v70, v63, s77
	v_cvt_f32_f16_e32 v66, v13
	v_cvt_f32_f16_e32 v67, v15
	;; [unrolled: 1-line block ×4, first 2 shown]
	s_nop 1
	v_mfma_f32_16x16x16_f16 v[66:69], v[70:71], v[6:7], v[66:69]
	s_nop 6
	v_cvt_f16_f32_e32 v13, v66
	v_cvt_f16_f32_e32 v15, v67
	;; [unrolled: 1-line block ×4, first 2 shown]
	v_cvt_f32_f16_e32 v66, v20
	v_pack_b32_f16 v16, v13, v15
	v_cvt_f32_f16_sdwa v67, v20 dst_sel:DWORD dst_unused:UNUSED_PAD src0_sel:WORD_1
	v_pack_b32_f16 v13, v21, v63
	ds_read_u16 v15, v105 offset:128
	ds_read_u16 v63, v185 offset:176
	;; [unrolled: 1-line block ×4, first 2 shown]
	v_cvt_f32_f16_e32 v68, v19
	v_cvt_f32_f16_sdwa v69, v19 dst_sel:DWORD dst_unused:UNUSED_PAD src0_sel:WORD_1
	s_waitcnt lgkmcnt(2)
	v_perm_b32 v20, v63, v15, s77
	s_waitcnt lgkmcnt(0)
	v_perm_b32 v21, v70, v21, s77
	s_nop 1
	v_mfma_f32_16x16x16_f16 v[66:69], v[20:21], v[8:9], v[66:69]
	ds_read_u16 v20, v117 offset:5632
	ds_read_u16 v21, v118 offset:176
	;; [unrolled: 1-line block ×4, first 2 shown]
	s_waitcnt lgkmcnt(0)
	s_barrier
	s_nop 0
	v_cvt_f16_f32_e32 v8, v66
	v_cvt_f16_f32_e32 v9, v67
	;; [unrolled: 1-line block ×4, first 2 shown]
	v_cvt_f32_f16_e32 v66, v8
	v_cvt_f32_f16_e32 v67, v9
	v_perm_b32 v9, v70, v63, s77
	v_perm_b32 v8, v21, v20, s77
	v_cvt_f32_f16_e32 v68, v15
	v_cvt_f32_f16_e32 v69, v19
	s_nop 1
	v_mfma_f32_16x16x16_f16 v[6:9], v[8:9], v[6:7], v[66:69]
	s_nop 6
	v_cvt_f16_f32_e32 v6, v6
	v_cvt_f16_f32_e32 v7, v7
	;; [unrolled: 1-line block ×4, first 2 shown]
	v_pack_b32_f16 v6, v6, v7
	v_pack_b32_f16 v7, v8, v9
	ds_bpermute_b32 v8, v18, v5
	s_waitcnt lgkmcnt(0)
	v_add_f32_e32 v5, v5, v8
	ds_bpermute_b32 v8, v17, v5
	s_waitcnt lgkmcnt(0)
	v_add_f32_e32 v5, v5, v8
	s_and_saveexec_b64 s[26:27], s[2:3]
	s_xor_b64 s[26:27], exec, s[26:27]
	s_or_saveexec_b64 s[26:27], s[26:27]
	s_mov_b32 s90, s56
	s_xor_b64 exec, exec, s[26:27]
	s_cbranch_execz .LBB9_75
; %bb.74:                               ;   in Loop: Header=BB9_12 Depth=1
	global_load_dword v9, v2, s[28:29]
	v_max_f32_e32 v15, v4, v4
	s_waitcnt vmcnt(0)
	v_max_f32_e32 v8, v9, v9
	v_max_f32_e32 v8, v15, v8
	v_sub_f32_e32 v4, v4, v8
	v_mul_f32_e32 v15, 0x3fb8aa3b, v4
	v_fma_f32 v18, v4, s73, -v15
	v_rndne_f32_e32 v19, v15
	v_fmac_f32_e32 v18, 0x32a5705f, v4
	v_sub_f32_e32 v15, v15, v19
	v_add_f32_e32 v15, v15, v18
	v_exp_f32_e32 v15, v15
	v_cvt_i32_f32_e32 v18, v19
	v_cmp_ngt_f32_e32 vcc, s99, v4
	v_sub_f32_e32 v9, v9, v8
	v_ldexp_f32 v15, v15, v18
	v_cndmask_b32_e32 v15, 0, v15, vcc
	v_cmp_nlt_f32_e32 vcc, s82, v4
	s_nop 1
	v_cndmask_b32_e32 v15, v197, v15, vcc
	v_cmp_le_f32_e32 vcc, s24, v4
	s_nop 1
	v_cndmask_b32_e32 v4, 0, v15, vcc
	v_cvt_f16_f32_e32 v15, v4
	v_cmp_ngt_f32_e32 vcc, s99, v9
	v_pk_mul_f16 v10, v15, v10 op_sel_hi:[0,1]
	v_pk_mul_f16 v1, v15, v1 op_sel_hi:[0,1]
	;; [unrolled: 1-line block ×10, first 2 shown]
	v_mul_f32_e32 v15, 0x3fb8aa3b, v9
	v_fma_f32 v18, v9, s73, -v15
	v_rndne_f32_e32 v19, v15
	v_fmac_f32_e32 v18, 0x32a5705f, v9
	v_sub_f32_e32 v15, v15, v19
	v_add_f32_e32 v15, v15, v18
	v_exp_f32_e32 v15, v15
	v_cvt_i32_f32_e32 v18, v19
	v_ldexp_f32 v15, v15, v18
	v_cndmask_b32_e32 v15, 0, v15, vcc
	v_cmp_nlt_f32_e32 vcc, s82, v9
	s_nop 1
	v_cndmask_b32_e32 v9, v197, v15, vcc
	v_fmac_f32_e32 v9, v5, v4
	v_mov_b64_e32 v[4:5], v[8:9]
.LBB9_75:                               ;   in Loop: Header=BB9_12 Depth=1
	s_or_b64 exec, exec, s[26:27]
	s_mov_b64 s[2:3], exec
	v_readlane_b32 s26, v220, 8
	v_readlane_b32 s27, v220, 9
	s_and_b64 s[26:27], s[2:3], s[26:27]
	s_mov_b64 exec, s[26:27]
	s_cbranch_execz .LBB9_77
; %bb.76:                               ;   in Loop: Header=BB9_12 Depth=1
	v_add_u32_e32 v8, 0, v143
	ds_write2_b32 v8, v4, v5 offset0:40 offset1:41
.LBB9_77:                               ;   in Loop: Header=BB9_12 Depth=1
	s_or_b64 exec, exec, s[2:3]
	s_waitcnt lgkmcnt(0)
	s_barrier
	s_mov_b64 s[2:3], exec
	v_readlane_b32 s26, v220, 6
	v_readlane_b32 s27, v220, 7
	s_and_b64 s[26:27], s[2:3], s[26:27]
	s_xor_b64 s[2:3], s[26:27], s[2:3]
	s_mov_b64 exec, s[26:27]
	s_cbranch_execz .LBB9_79
; %bb.78:                               ;   in Loop: Header=BB9_12 Depth=1
	s_barrier
	s_waitcnt lgkmcnt(0)
                                        ; implicit-def: $vgpr17
.LBB9_79:                               ;   in Loop: Header=BB9_12 Depth=1
	s_andn2_saveexec_b64 s[26:27], s[2:3]
	s_cbranch_execz .LBB9_85
; %bb.80:                               ;   in Loop: Header=BB9_12 Depth=1
	v_add_u32_e32 v5, 0, v144
	ds_read_b64 v[18:19], v5 offset:160
	s_waitcnt lgkmcnt(0)
	s_barrier
	ds_bpermute_b32 v4, v17, v18
	v_max_f32_e32 v8, v18, v18
	s_waitcnt lgkmcnt(0)
	v_max_f32_e32 v4, v4, v4
	v_max_f32_e32 v4, v8, v4
	v_sub_f32_e32 v8, v18, v4
	v_mul_f32_e32 v9, 0x3fb8aa3b, v8
	v_fma_f32 v15, v8, s73, -v9
	v_rndne_f32_e32 v18, v9
	v_fmac_f32_e32 v15, 0x32a5705f, v8
	v_sub_f32_e32 v9, v9, v18
	v_add_f32_e32 v9, v9, v15
	v_cvt_i32_f32_e32 v18, v18
	v_exp_f32_e32 v9, v9
	v_cmp_ngt_f32_e32 vcc, s99, v8
	v_ldexp_f32 v9, v9, v18
	s_nop 0
	v_cndmask_b32_e32 v9, 0, v9, vcc
	v_cmp_nlt_f32_e32 vcc, s82, v8
	s_nop 1
	v_cndmask_b32_e32 v8, v197, v9, vcc
	v_mul_f32_e32 v9, v19, v8
	ds_bpermute_b32 v9, v17, v9
	s_waitcnt lgkmcnt(0)
	v_fmac_f32_e32 v9, v19, v8
	s_mov_b64 s[2:3], exec
	v_readlane_b32 s34, v220, 10
	v_readlane_b32 s35, v220, 11
	s_and_b64 s[34:35], s[2:3], s[34:35]
	s_mov_b64 exec, s[34:35]
	s_cbranch_execz .LBB9_82
; %bb.81:                               ;   in Loop: Header=BB9_12 Depth=1
	ds_write_b64 v5, v[8:9] offset:160
.LBB9_82:                               ;   in Loop: Header=BB9_12 Depth=1
	s_or_b64 exec, exec, s[2:3]
	s_mov_b64 s[2:3], exec
	v_readlane_b32 s34, v220, 8
	v_readlane_b32 s35, v220, 9
	s_and_b64 s[34:35], s[2:3], s[34:35]
	s_mov_b64 exec, s[34:35]
	s_cbranch_execz .LBB9_84
; %bb.83:                               ;   in Loop: Header=BB9_12 Depth=1
	v_mov_b32_e32 v5, v9
	global_store_dwordx2 v[46:47], v[4:5], off
.LBB9_84:                               ;   in Loop: Header=BB9_12 Depth=1
	s_or_b64 exec, exec, s[2:3]
.LBB9_85:                               ;   in Loop: Header=BB9_12 Depth=1
	s_or_b64 exec, exec, s[26:27]
	ds_write2_b32 v145, v10, v1 offset1:1
	ds_write2_b32 v145, v12, v3 offset0:8 offset1:9
	ds_write2_b32 v145, v14, v11 offset0:16 offset1:17
	;; [unrolled: 1-line block ×4, first 2 shown]
	s_waitcnt lgkmcnt(0)
	s_barrier
	s_and_saveexec_b64 s[26:27], s[36:37]
	s_cbranch_execz .LBB9_130
; %bb.86:                               ;   in Loop: Header=BB9_12 Depth=1
	v_add_u32_e32 v1, s80, v121
	v_cmp_gt_i32_e32 vcc, s72, v1
	v_mov_b32_e32 v3, 0x47
	s_and_saveexec_b64 s[34:35], vcc
	s_cbranch_execz .LBB9_88
; %bb.87:                               ;   in Loop: Header=BB9_12 Depth=1
	v_add_u32_e32 v3, 0, v147
	v_add_u32_e32 v3, 0xa0, v3
	ds_read2st64_b32 v[4:5], v3 offset1:11
	ds_read2st64_b32 v[6:7], v148 offset1:11
	v_readlane_b32 s2, v221, 58
	v_mov_b32_e32 v3, 0
	s_waitcnt lgkmcnt(0)
	v_cvt_f32_f16_sdwa v11, v6 dst_sel:DWORD dst_unused:UNUSED_PAD src0_sel:WORD_1
	v_cvt_f32_f16_e32 v10, v6
	v_cvt_f32_f16_sdwa v13, v7 dst_sel:DWORD dst_unused:UNUSED_PAD src0_sel:WORD_1
	v_cvt_f32_f16_e32 v12, v7
	v_mad_u64_u32 v[8:9], s[2:3], v1, s2, v[44:45]
	v_ashrrev_i32_e32 v9, 31, v8
	v_pk_fma_f32 v[10:11], v[4:5], v[10:11], 0 op_sel_hi:[0,1,0]
	v_mov_b32_e32 v4, v5
	v_lshl_add_u64 v[8:9], v[8:9], 3, s[62:63]
	v_pk_fma_f32 v[4:5], v[4:5], v[12:13], v[10:11] op_sel_hi:[0,1,1]
	global_store_dwordx2 v[8:9], v[4:5], off
.LBB9_88:                               ;   in Loop: Header=BB9_12 Depth=1
	s_or_b64 exec, exec, s[34:35]
	s_movk_i32 s2, 0x47
	v_cmp_gt_i32_e32 vcc, s2, v3
	s_mov_b64 s[2:3], -1
	s_and_saveexec_b64 s[34:35], vcc
; %bb.89:                               ;   in Loop: Header=BB9_12 Depth=1
	v_cmp_eq_u32_e32 vcc, 0, v3
	s_orn2_b64 s[2:3], vcc, exec
; %bb.90:                               ;   in Loop: Header=BB9_12 Depth=1
	s_or_b64 exec, exec, s[34:35]
	s_and_saveexec_b64 s[34:35], s[2:3]
	s_cbranch_execz .LBB9_123
; %bb.91:                               ;   in Loop: Header=BB9_12 Depth=1
	v_add_u32_e32 v1, s80, v123
	v_cmp_gt_i32_e32 vcc, s72, v1
	v_mov_b32_e32 v3, 0x47
	s_and_saveexec_b64 s[36:37], vcc
	s_cbranch_execz .LBB9_93
; %bb.92:                               ;   in Loop: Header=BB9_12 Depth=1
	v_add_u32_e32 v3, 0, v149
	v_add_u32_e32 v3, 0xa0, v3
	ds_read2st64_b32 v[4:5], v3 offset1:11
	ds_read2st64_b32 v[6:7], v150 offset1:11
	v_readlane_b32 s2, v221, 58
	v_mov_b32_e32 v3, 0
	s_waitcnt lgkmcnt(0)
	v_cvt_f32_f16_sdwa v11, v6 dst_sel:DWORD dst_unused:UNUSED_PAD src0_sel:WORD_1
	v_cvt_f32_f16_e32 v10, v6
	v_cvt_f32_f16_sdwa v13, v7 dst_sel:DWORD dst_unused:UNUSED_PAD src0_sel:WORD_1
	v_cvt_f32_f16_e32 v12, v7
	v_mad_u64_u32 v[8:9], s[2:3], v1, s2, v[44:45]
	v_ashrrev_i32_e32 v9, 31, v8
	v_pk_fma_f32 v[10:11], v[4:5], v[10:11], 0 op_sel_hi:[0,1,0]
	v_mov_b32_e32 v4, v5
	v_lshl_add_u64 v[8:9], v[8:9], 3, s[62:63]
	v_pk_fma_f32 v[4:5], v[4:5], v[12:13], v[10:11] op_sel_hi:[0,1,1]
	global_store_dwordx2 v[8:9], v[4:5], off
.LBB9_93:                               ;   in Loop: Header=BB9_12 Depth=1
	s_or_b64 exec, exec, s[36:37]
	s_movk_i32 s2, 0x47
	v_cmp_gt_i32_e32 vcc, s2, v3
	s_mov_b64 s[2:3], -1
	s_and_saveexec_b64 s[36:37], vcc
; %bb.94:                               ;   in Loop: Header=BB9_12 Depth=1
	v_cmp_eq_u32_e32 vcc, 0, v3
	s_orn2_b64 s[2:3], vcc, exec
; %bb.95:                               ;   in Loop: Header=BB9_12 Depth=1
	s_or_b64 exec, exec, s[36:37]
	s_and_b64 exec, exec, s[2:3]
	s_cbranch_execz .LBB9_123
; %bb.96:                               ;   in Loop: Header=BB9_12 Depth=1
	v_add_u32_e32 v1, s80, v124
	v_cmp_gt_i32_e32 vcc, s72, v1
	v_mov_b32_e32 v3, 0x47
	s_and_saveexec_b64 s[36:37], vcc
	s_cbranch_execz .LBB9_98
; %bb.97:                               ;   in Loop: Header=BB9_12 Depth=1
	v_add_u32_e32 v3, 0, v151
	v_add_u32_e32 v3, 0xa0, v3
	ds_read2st64_b32 v[4:5], v3 offset1:11
	ds_read2st64_b32 v[6:7], v152 offset1:11
	v_readlane_b32 s2, v221, 58
	v_mov_b32_e32 v3, 0
	s_waitcnt lgkmcnt(0)
	v_cvt_f32_f16_sdwa v11, v6 dst_sel:DWORD dst_unused:UNUSED_PAD src0_sel:WORD_1
	v_cvt_f32_f16_e32 v10, v6
	v_cvt_f32_f16_sdwa v13, v7 dst_sel:DWORD dst_unused:UNUSED_PAD src0_sel:WORD_1
	v_cvt_f32_f16_e32 v12, v7
	v_mad_u64_u32 v[8:9], s[2:3], v1, s2, v[44:45]
	v_ashrrev_i32_e32 v9, 31, v8
	v_pk_fma_f32 v[10:11], v[4:5], v[10:11], 0 op_sel_hi:[0,1,0]
	v_mov_b32_e32 v4, v5
	v_lshl_add_u64 v[8:9], v[8:9], 3, s[62:63]
	v_pk_fma_f32 v[4:5], v[4:5], v[12:13], v[10:11] op_sel_hi:[0,1,1]
	global_store_dwordx2 v[8:9], v[4:5], off
.LBB9_98:                               ;   in Loop: Header=BB9_12 Depth=1
	s_or_b64 exec, exec, s[36:37]
	s_movk_i32 s2, 0x47
	v_cmp_gt_i32_e32 vcc, s2, v3
	s_mov_b64 s[2:3], -1
	s_and_saveexec_b64 s[36:37], vcc
; %bb.99:                               ;   in Loop: Header=BB9_12 Depth=1
	v_cmp_eq_u32_e32 vcc, 0, v3
	s_orn2_b64 s[2:3], vcc, exec
; %bb.100:                              ;   in Loop: Header=BB9_12 Depth=1
	s_or_b64 exec, exec, s[36:37]
	s_and_b64 exec, exec, s[2:3]
	s_cbranch_execz .LBB9_123
; %bb.101:                              ;   in Loop: Header=BB9_12 Depth=1
	v_add_u32_e32 v1, s80, v125
	v_cmp_gt_i32_e32 vcc, s72, v1
	v_mov_b32_e32 v3, 0x47
	s_and_saveexec_b64 s[36:37], vcc
	s_cbranch_execz .LBB9_103
; %bb.102:                              ;   in Loop: Header=BB9_12 Depth=1
	v_add_u32_e32 v3, 0, v153
	v_add_u32_e32 v3, 0xa0, v3
	ds_read2st64_b32 v[4:5], v3 offset1:11
	ds_read2st64_b32 v[6:7], v154 offset1:11
	v_readlane_b32 s2, v221, 58
	v_mov_b32_e32 v3, 0
	s_waitcnt lgkmcnt(0)
	v_cvt_f32_f16_sdwa v11, v6 dst_sel:DWORD dst_unused:UNUSED_PAD src0_sel:WORD_1
	v_cvt_f32_f16_e32 v10, v6
	v_cvt_f32_f16_sdwa v13, v7 dst_sel:DWORD dst_unused:UNUSED_PAD src0_sel:WORD_1
	v_cvt_f32_f16_e32 v12, v7
	v_mad_u64_u32 v[8:9], s[2:3], v1, s2, v[44:45]
	v_ashrrev_i32_e32 v9, 31, v8
	v_pk_fma_f32 v[10:11], v[4:5], v[10:11], 0 op_sel_hi:[0,1,0]
	v_mov_b32_e32 v4, v5
	v_lshl_add_u64 v[8:9], v[8:9], 3, s[62:63]
	v_pk_fma_f32 v[4:5], v[4:5], v[12:13], v[10:11] op_sel_hi:[0,1,1]
	global_store_dwordx2 v[8:9], v[4:5], off
.LBB9_103:                              ;   in Loop: Header=BB9_12 Depth=1
	s_or_b64 exec, exec, s[36:37]
	s_movk_i32 s2, 0x47
	v_cmp_gt_i32_e32 vcc, s2, v3
	s_mov_b64 s[2:3], -1
	s_and_saveexec_b64 s[36:37], vcc
; %bb.104:                              ;   in Loop: Header=BB9_12 Depth=1
	v_cmp_eq_u32_e32 vcc, 0, v3
	s_orn2_b64 s[2:3], vcc, exec
; %bb.105:                              ;   in Loop: Header=BB9_12 Depth=1
	s_or_b64 exec, exec, s[36:37]
	s_and_b64 exec, exec, s[2:3]
	s_cbranch_execz .LBB9_123
; %bb.106:                              ;   in Loop: Header=BB9_12 Depth=1
	v_add_u32_e32 v1, s80, v126
	v_cmp_gt_i32_e32 vcc, s72, v1
	v_mov_b32_e32 v3, 0x47
	s_and_saveexec_b64 s[36:37], vcc
	s_cbranch_execz .LBB9_108
; %bb.107:                              ;   in Loop: Header=BB9_12 Depth=1
	v_add_u32_e32 v3, 0, v155
	v_add_u32_e32 v3, 0xa0, v3
	ds_read2st64_b32 v[4:5], v3 offset1:11
	ds_read2st64_b32 v[6:7], v156 offset1:11
	v_readlane_b32 s2, v221, 58
	v_mov_b32_e32 v3, 0
	s_waitcnt lgkmcnt(0)
	v_cvt_f32_f16_sdwa v11, v6 dst_sel:DWORD dst_unused:UNUSED_PAD src0_sel:WORD_1
	v_cvt_f32_f16_e32 v10, v6
	v_cvt_f32_f16_sdwa v13, v7 dst_sel:DWORD dst_unused:UNUSED_PAD src0_sel:WORD_1
	v_cvt_f32_f16_e32 v12, v7
	v_mad_u64_u32 v[8:9], s[2:3], v1, s2, v[44:45]
	v_ashrrev_i32_e32 v9, 31, v8
	v_pk_fma_f32 v[10:11], v[4:5], v[10:11], 0 op_sel_hi:[0,1,0]
	v_mov_b32_e32 v4, v5
	v_lshl_add_u64 v[8:9], v[8:9], 3, s[62:63]
	v_pk_fma_f32 v[4:5], v[4:5], v[12:13], v[10:11] op_sel_hi:[0,1,1]
	global_store_dwordx2 v[8:9], v[4:5], off
.LBB9_108:                              ;   in Loop: Header=BB9_12 Depth=1
	s_or_b64 exec, exec, s[36:37]
	s_movk_i32 s2, 0x47
	v_cmp_gt_i32_e32 vcc, s2, v3
	s_mov_b64 s[2:3], -1
	s_and_saveexec_b64 s[36:37], vcc
; %bb.109:                              ;   in Loop: Header=BB9_12 Depth=1
	;; [unrolled: 38-line block ×4, first 2 shown]
	v_cmp_eq_u32_e32 vcc, 0, v3
	s_orn2_b64 s[2:3], vcc, exec
; %bb.120:                              ;   in Loop: Header=BB9_12 Depth=1
	s_or_b64 exec, exec, s[36:37]
	s_and_b64 exec, exec, s[2:3]
	s_cbranch_execz .LBB9_123
; %bb.121:                              ;   in Loop: Header=BB9_12 Depth=1
	v_add_u32_e32 v1, s80, v129
	v_cmp_gt_i32_e32 vcc, s72, v1
	s_and_b64 exec, exec, vcc
	s_cbranch_execz .LBB9_123
; %bb.122:                              ;   in Loop: Header=BB9_12 Depth=1
	v_add_u32_e32 v3, 0, v161
	v_add_u32_e32 v3, 0xa0, v3
	ds_read2st64_b32 v[4:5], v3 offset1:11
	ds_read2st64_b32 v[6:7], v162 offset1:11
	v_readlane_b32 s2, v221, 58
	s_waitcnt lgkmcnt(0)
	v_cvt_f32_f16_sdwa v11, v6 dst_sel:DWORD dst_unused:UNUSED_PAD src0_sel:WORD_1
	v_cvt_f32_f16_e32 v10, v6
	v_cvt_f32_f16_sdwa v13, v7 dst_sel:DWORD dst_unused:UNUSED_PAD src0_sel:WORD_1
	v_cvt_f32_f16_e32 v12, v7
	v_mad_u64_u32 v[8:9], s[2:3], v1, s2, v[44:45]
	v_ashrrev_i32_e32 v9, 31, v8
	v_pk_fma_f32 v[10:11], v[4:5], v[10:11], 0 op_sel_hi:[0,1,0]
	v_mov_b32_e32 v4, v5
	v_lshl_add_u64 v[8:9], v[8:9], 3, s[62:63]
	v_pk_fma_f32 v[4:5], v[4:5], v[12:13], v[10:11] op_sel_hi:[0,1,1]
	global_store_dwordx2 v[8:9], v[4:5], off
.LBB9_123:                              ;   in Loop: Header=BB9_12 Depth=1
	s_or_b64 exec, exec, s[34:35]
	v_add_u32_e32 v3, s80, v122
	v_cmp_gt_i32_e32 vcc, s72, v3
	v_mov_b32_e32 v1, 0x47
	s_and_saveexec_b64 s[34:35], vcc
	s_cbranch_execz .LBB9_125
; %bb.124:                              ;   in Loop: Header=BB9_12 Depth=1
	v_add_u32_e32 v1, 0, v163
	v_add_u32_e32 v1, 0xa0, v1
	ds_read2st64_b32 v[6:7], v1 offset1:11
	v_add_u32_e32 v1, 0x80, v164
	ds_read2st64_b32 v[8:9], v1 offset1:11
	v_readlane_b32 s2, v221, 58
	v_mov_b32_e32 v1, 0
	s_waitcnt lgkmcnt(0)
	v_cvt_f32_f16_sdwa v11, v8 dst_sel:DWORD dst_unused:UNUSED_PAD src0_sel:WORD_1
	v_cvt_f32_f16_e32 v10, v8
	v_cvt_f32_f16_sdwa v13, v9 dst_sel:DWORD dst_unused:UNUSED_PAD src0_sel:WORD_1
	v_cvt_f32_f16_e32 v12, v9
	v_mul_lo_u32 v4, v3, s2
	v_ashrrev_i32_e32 v5, 31, v4
	v_lshl_add_u64 v[4:5], v[4:5], 0, v[28:29]
	v_pk_fma_f32 v[10:11], v[6:7], v[10:11], 0 op_sel_hi:[0,1,0]
	v_mov_b32_e32 v6, v7
	v_lshl_add_u64 v[4:5], v[4:5], 3, s[62:63]
	v_pk_fma_f32 v[6:7], v[6:7], v[12:13], v[10:11] op_sel_hi:[0,1,1]
	global_store_dwordx2 v[4:5], v[6:7], off offset:256
.LBB9_125:                              ;   in Loop: Header=BB9_12 Depth=1
	s_or_b64 exec, exec, s[34:35]
	s_movk_i32 s2, 0x47
	v_cmp_gt_i32_e32 vcc, s2, v1
	s_mov_b64 s[2:3], -1
	s_and_saveexec_b64 s[34:35], vcc
; %bb.126:                              ;   in Loop: Header=BB9_12 Depth=1
	v_cmp_eq_u32_e32 vcc, 0, v1
	s_orn2_b64 s[2:3], vcc, exec
; %bb.127:                              ;   in Loop: Header=BB9_12 Depth=1
	s_or_b64 exec, exec, s[34:35]
	s_and_b64 exec, exec, s[2:3]
	s_cbranch_execz .LBB9_130
; %bb.128:                              ;   in Loop: Header=BB9_12 Depth=1
	v_add_u32_e32 v1, s80, v130
	v_cmp_gt_i32_e32 vcc, s72, v1
	s_and_b64 exec, exec, vcc
	s_cbranch_execz .LBB9_130
; %bb.129:                              ;   in Loop: Header=BB9_12 Depth=1
	v_readlane_b32 s2, v221, 58
	s_nop 1
	v_mul_lo_u32 v4, v1, s2
	v_add_u32_e32 v1, 0, v165
	v_add_u32_e32 v1, 0xa0, v1
	ds_read2st64_b32 v[6:7], v1 offset1:11
	v_add_u32_e32 v1, 0x80, v166
	ds_read2st64_b32 v[8:9], v1 offset1:11
	v_ashrrev_i32_e32 v5, 31, v4
	v_lshl_add_u64 v[4:5], v[4:5], 0, v[28:29]
	v_lshl_add_u64 v[4:5], v[4:5], 3, s[62:63]
	s_waitcnt lgkmcnt(0)
	v_cvt_f32_f16_sdwa v11, v8 dst_sel:DWORD dst_unused:UNUSED_PAD src0_sel:WORD_1
	v_cvt_f32_f16_e32 v10, v8
	v_cvt_f32_f16_sdwa v13, v9 dst_sel:DWORD dst_unused:UNUSED_PAD src0_sel:WORD_1
	v_cvt_f32_f16_e32 v12, v9
	v_pk_fma_f32 v[10:11], v[6:7], v[10:11], 0 op_sel_hi:[0,1,0]
	v_mov_b32_e32 v6, v7
	v_pk_fma_f32 v[6:7], v[6:7], v[12:13], v[10:11] op_sel_hi:[0,1,1]
	global_store_dwordx2 v[4:5], v[6:7], off offset:256
.LBB9_130:                              ;   in Loop: Header=BB9_12 Depth=1
	s_or_b64 exec, exec, s[26:27]
	s_barrier
	s_branch .LBB9_11
.LBB9_131:                              ;   in Loop: Header=BB9_12 Depth=1
	s_lshl_b32 s93, s93, 5
	v_add_u32_e32 v1, s93, v25
	v_cmp_le_i32_e32 vcc, s72, v1
	s_and_saveexec_b64 s[2:3], vcc
	s_xor_b64 s[2:3], exec, s[2:3]
	s_cbranch_execz .LBB9_133
; %bb.132:                              ;   in Loop: Header=BB9_12 Depth=1
	ds_write_b32 v146, v2
                                        ; implicit-def: $vgpr1
.LBB9_133:                              ;   in Loop: Header=BB9_12 Depth=1
	s_andn2_saveexec_b64 s[2:3], s[2:3]
	s_cbranch_execz .LBB9_135
; %bb.134:                              ;   in Loop: Header=BB9_12 Depth=1
	v_mad_u64_u32 v[4:5], s[26:27], v1, s90, v[44:45]
	v_ashrrev_i32_e32 v5, 31, v4
	v_lshl_add_u64 v[4:5], v[4:5], 3, s[96:97]
	global_load_dwordx2 v[4:5], v[4:5], off
	s_waitcnt vmcnt(0)
	v_cvt_f16_f32_e32 v1, v4
	v_cvt_f16_f32_e32 v3, v5
	v_pack_b32_f16 v1, v1, v3
	v_pk_mul_f16 v1, v23, v1
	ds_write_b32 v146, v1
.LBB9_135:                              ;   in Loop: Header=BB9_12 Depth=1
	s_or_b64 exec, exec, s[2:3]
	v_add_u32_e32 v1, s93, v192
	v_cmp_le_i32_e32 vcc, s72, v1
	s_and_saveexec_b64 s[2:3], vcc
	s_xor_b64 s[2:3], exec, s[2:3]
	s_cbranch_execz .LBB9_137
; %bb.136:                              ;   in Loop: Header=BB9_12 Depth=1
	ds_write_b32 v146, v2 offset:1408
                                        ; implicit-def: $vgpr1
.LBB9_137:                              ;   in Loop: Header=BB9_12 Depth=1
	s_andn2_saveexec_b64 s[2:3], s[2:3]
	s_cbranch_execz .LBB9_139
; %bb.138:                              ;   in Loop: Header=BB9_12 Depth=1
	v_mad_u64_u32 v[4:5], s[26:27], v1, s90, v[44:45]
	v_ashrrev_i32_e32 v5, 31, v4
	v_lshl_add_u64 v[4:5], v[4:5], 3, s[96:97]
	global_load_dwordx2 v[4:5], v[4:5], off
	s_waitcnt vmcnt(0)
	v_cvt_f16_f32_e32 v1, v4
	v_cvt_f16_f32_e32 v3, v5
	v_pack_b32_f16 v1, v1, v3
	v_pk_mul_f16 v1, v23, v1
	ds_write_b32 v146, v1 offset:1408
.LBB9_139:                              ;   in Loop: Header=BB9_12 Depth=1
	s_or_b64 exec, exec, s[2:3]
	v_add_u32_e32 v1, s93, v193
	v_cmp_le_i32_e32 vcc, s72, v1
	s_and_saveexec_b64 s[2:3], vcc
	s_xor_b64 s[2:3], exec, s[2:3]
	s_cbranch_execz .LBB9_141
; %bb.140:                              ;   in Loop: Header=BB9_12 Depth=1
	ds_write_b32 v146, v2 offset:2816
                                        ; implicit-def: $vgpr1
.LBB9_141:                              ;   in Loop: Header=BB9_12 Depth=1
	s_andn2_saveexec_b64 s[2:3], s[2:3]
	s_cbranch_execz .LBB9_143
; %bb.142:                              ;   in Loop: Header=BB9_12 Depth=1
	v_mad_u64_u32 v[4:5], s[26:27], v1, s90, v[44:45]
	v_ashrrev_i32_e32 v5, 31, v4
	v_lshl_add_u64 v[4:5], v[4:5], 3, s[96:97]
	global_load_dwordx2 v[4:5], v[4:5], off
	s_waitcnt vmcnt(0)
	v_cvt_f16_f32_e32 v1, v4
	v_cvt_f16_f32_e32 v3, v5
	v_pack_b32_f16 v1, v1, v3
	v_pk_mul_f16 v1, v23, v1
	ds_write_b32 v146, v1 offset:2816
.LBB9_143:                              ;   in Loop: Header=BB9_12 Depth=1
	s_or_b64 exec, exec, s[2:3]
	v_add_u32_e32 v1, s93, v194
	v_cmp_le_i32_e32 vcc, s72, v1
	s_and_saveexec_b64 s[2:3], vcc
	s_xor_b64 s[2:3], exec, s[2:3]
	s_cbranch_execz .LBB9_145
; %bb.144:                              ;   in Loop: Header=BB9_12 Depth=1
	ds_write_b32 v146, v2 offset:4224
                                        ; implicit-def: $vgpr1
.LBB9_145:                              ;   in Loop: Header=BB9_12 Depth=1
	s_andn2_saveexec_b64 s[2:3], s[2:3]
	s_cbranch_execz .LBB9_147
; %bb.146:                              ;   in Loop: Header=BB9_12 Depth=1
	v_mad_u64_u32 v[4:5], s[26:27], v1, s90, v[44:45]
	v_ashrrev_i32_e32 v5, 31, v4
	v_lshl_add_u64 v[4:5], v[4:5], 3, s[96:97]
	global_load_dwordx2 v[4:5], v[4:5], off
	s_waitcnt vmcnt(0)
	v_cvt_f16_f32_e32 v1, v4
	v_cvt_f16_f32_e32 v3, v5
	v_pack_b32_f16 v1, v1, v3
	v_pk_mul_f16 v1, v23, v1
	ds_write_b32 v146, v1 offset:4224
.LBB9_147:                              ;   in Loop: Header=BB9_12 Depth=1
	s_or_b64 exec, exec, s[2:3]
	v_add_u32_e32 v3, s93, v27
	v_cmp_gt_i32_e32 vcc, s72, v3
	v_mov_b32_e32 v210, 0
	v_mov_b32_e32 v1, 0
	s_and_saveexec_b64 s[2:3], vcc
	s_cbranch_execz .LBB9_149
; %bb.148:                              ;   in Loop: Header=BB9_12 Depth=1
	v_mul_lo_u32 v4, v3, s90
	v_ashrrev_i32_e32 v5, 31, v4
	v_lshl_add_u64 v[4:5], v[4:5], 0, v[28:29]
	v_lshl_add_u64 v[4:5], v[4:5], 3, s[96:97]
	global_load_dwordx2 v[4:5], v[4:5], off offset:256
	s_waitcnt vmcnt(0)
	v_cvt_f16_f32_e32 v1, v4
	v_cvt_f16_f32_e32 v3, v5
	v_pack_b32_f16 v1, v1, v3
	v_pk_mul_f16 v1, v23, v1
.LBB9_149:                              ;   in Loop: Header=BB9_12 Depth=1
	s_or_b64 exec, exec, s[2:3]
	ds_write_b32 v132, v1 offset:128
	s_waitcnt lgkmcnt(0)
	s_barrier
	ds_read2_b64 v[10:13], v133 offset1:4
	ds_read2_b64 v[6:9], v133 offset0:8 offset1:12
	ds_read_b64 v[66:67], v133 offset:128
	s_mov_b32 s38, 0
	s_cmp_lt_i32 s92, 2
	v_mov_b32_e32 v1, 0xfeffffff
	v_cmp_ne_u64_e64 s[34:35], 0, v[64:65]
	v_mov_b32_e32 v211, 0
	v_mov_b32_e32 v208, 0
	;; [unrolled: 1-line block ×10, first 2 shown]
	s_waitcnt lgkmcnt(0)
	s_barrier
	s_cbranch_scc1 .LBB9_164
; %bb.150:                              ;   in Loop: Header=BB9_12 Depth=1
	v_add_u32_e32 v1, s93, v98
	v_mul_hi_u32 v3, s86, v1
	v_add_u32_e32 v3, v1, v3
	v_lshrrev_b32_e32 v3, s87, v3
	v_mul_lo_u32 v3, v3, s72
	v_sub_u32_e32 v1, v1, v3
	v_add_u32_e32 v3, s93, v167
	v_mul_hi_u32 v4, s86, v3
	v_add_u32_e32 v4, v3, v4
	v_lshrrev_b32_e32 v4, s87, v4
	v_mul_lo_u32 v4, v4, s72
	v_sub_u32_e32 v3, v3, v4
	;; [unrolled: 6-line block ×7, first 2 shown]
	v_add_u32_e32 v17, s93, v179
	v_mul_hi_u32 v18, s86, v17
	v_add_u32_e32 v18, v17, v18
	v_lshrrev_b32_e32 v18, s87, v18
	v_mul_lo_u32 v18, v18, s72
	s_add_i32 s38, s92, -1
	v_sub_u32_e32 v17, v17, v18
	v_and_b32_e32 v18, 64, v199
	v_add_u32_e32 v18, 64, v18
	v_xor_b32_e32 v19, 32, v199
	s_add_u32 s2, s67, s60
	v_cmp_lt_i32_e32 vcc, v19, v18
	s_addc_u32 s3, s66, s61
	v_lshl_add_u64 v[70:71], v[48:49], 0, s[2:3]
	v_cndmask_b32_e32 v19, v199, v19, vcc
	v_lshl_add_u64 v[72:73], v[54:55], 0, s[2:3]
	v_lshl_add_u64 v[74:75], v[56:57], 0, s[2:3]
	s_add_u32 s2, s64, s58
	v_lshlrev_b32_e32 v200, 2, v19
	v_xor_b32_e32 v19, 16, v199
	s_addc_u32 s3, s57, s59
	v_cmp_lt_i32_e32 vcc, v19, v18
	v_lshl_add_u64 v[76:77], v[52:53], 0, s[2:3]
	v_lshl_add_u64 v[78:79], v[58:59], 0, s[2:3]
	;; [unrolled: 1-line block ×3, first 2 shown]
	v_readlane_b32 s2, v220, 14
	v_cndmask_b32_e32 v18, v199, v19, vcc
	v_readlane_b32 s3, v220, 15
	s_mov_b32 s26, s2
	v_mov_b32_e32 v202, 0
	v_lshlrev_b32_e32 v201, 2, v18
	v_mov_b32_e32 v68, v62
	v_mov_b32_e32 v69, v62
	v_mad_i64_i32 v[82:83], s[2:3], s26, v5, v[64:65]
	v_mad_i64_i32 v[84:85], s[2:3], s26, v4, v[64:65]
	;; [unrolled: 1-line block ×8, first 2 shown]
	v_mov_b32_e32 v212, 0
	v_mov_b32_e32 v213, 0xfeffffff
	s_mov_b32 s39, s38
	v_mov_b32_e32 v205, 0
	v_mov_b32_e32 v204, 0
	;; [unrolled: 1-line block ×9, first 2 shown]
	v_cndmask_b32_e64 v1, 0, 1, s[34:35]
	v_cmp_ne_u32_e64 s[36:37], 1, v1
	s_andn2_b64 vcc, exec, s[34:35]
	s_cbranch_vccnz .LBB9_156
.LBB9_151:                              ;   in Loop: Header=BB9_12 Depth=1
                                        ; implicit-def: $sgpr40
	s_and_saveexec_b64 s[2:3], s[0:1]
	s_xor_b64 s[2:3], exec, s[2:3]
	s_cbranch_execz .LBB9_153
; %bb.152:                              ;   in Loop: Header=BB9_12 Depth=1
	ds_write_b16 v134, v2 offset:11264
	ds_write_b16 v168, v2 offset:11264
	;; [unrolled: 1-line block ×4, first 2 shown]
	s_mov_b32 s40, 0
.LBB9_153:                              ;   in Loop: Header=BB9_12 Depth=1
	s_or_saveexec_b64 s[26:27], s[2:3]
	v_mov_b32_e32 v1, s40
	v_mov_b32_e32 v3, s40
	;; [unrolled: 1-line block ×4, first 2 shown]
	s_xor_b64 exec, exec, s[26:27]
	s_cbranch_execz .LBB9_155
; %bb.154:                              ;   in Loop: Header=BB9_12 Depth=1
	v_lshl_add_u64 v[4:5], v[88:89], 0, v[30:31]
	flat_load_ushort v1, v[4:5]
	v_lshl_add_u64 v[4:5], v[86:87], 0, v[30:31]
	flat_load_ushort v3, v[4:5]
	;; [unrolled: 2-line block ×4, first 2 shown]
	s_waitcnt vmcnt(0) lgkmcnt(0)
	ds_write_b16 v134, v1 offset:11264
	ds_write_b16 v168, v3 offset:11264
	;; [unrolled: 1-line block ×4, first 2 shown]
	v_lshl_add_u64 v[4:5], v[96:97], 0, v[30:31]
	flat_load_ushort v1, v[4:5]
	v_lshl_add_u64 v[4:5], v[94:95], 0, v[30:31]
	flat_load_ushort v3, v[4:5]
	v_lshl_add_u64 v[4:5], v[92:93], 0, v[30:31]
	v_lshl_add_u64 v[14:15], v[90:91], 0, v[30:31]
	flat_load_ushort v4, v[4:5]
	s_nop 0
	flat_load_ushort v5, v[14:15]
.LBB9_155:                              ;   in Loop: Header=BB9_12 Depth=1
	s_or_b64 exec, exec, s[26:27]
	s_waitcnt vmcnt(0) lgkmcnt(0)
	ds_write_b16 v174, v1 offset:11264
	ds_write_b16 v176, v3 offset:11264
	;; [unrolled: 1-line block ×4, first 2 shown]
.LBB9_156:                              ;   Parent Loop BB9_12 Depth=1
                                        ; =>  This Inner Loop Header: Depth=2
	v_mov_b32_e32 v3, v2
	v_mov_b32_e32 v4, v2
	;; [unrolled: 1-line block ×3, first 2 shown]
	scratch_store_dwordx4 off, v[2:5], off
	s_and_saveexec_b64 s[2:3], s[52:53]
	s_cbranch_execz .LBB9_158
; %bb.157:                              ;   in Loop: Header=BB9_156 Depth=2
	global_load_dwordx4 v[14:17], v[76:77], off
	s_waitcnt vmcnt(0)
	ds_write_b128 v104, v[14:17]
.LBB9_158:                              ;   in Loop: Header=BB9_156 Depth=2
	s_or_b64 exec, exec, s[2:3]
	v_lshl_add_u64 v[4:5], v[78:79], 0, v[50:51]
	v_mov_b32_e32 v1, s83
	v_mov_b32_e32 v3, s79
	v_cndmask_b32_e64 v5, v1, v5, s[4:5]
	v_cndmask_b32_e64 v4, v3, v4, s[4:5]
	flat_load_dwordx4 v[14:17], v[4:5]
	v_lshl_add_u64 v[4:5], v[80:81], 0, v[50:51]
	v_cndmask_b32_e64 v5, v1, v5, s[6:7]
	v_cndmask_b32_e64 v4, v3, v4, s[6:7]
	v_add_u32_e32 v1, v45, v136
	v_add_u32_e32 v3, 0x1000, v1
	s_and_b64 vcc, exec, s[36:37]
	s_waitcnt vmcnt(0) lgkmcnt(0)
	ds_write_b128 v120, v[14:17]
	flat_load_dwordx4 v[14:17], v[4:5]
	s_waitcnt vmcnt(0) lgkmcnt(0)
	ds_write_b128 v186, v[14:17]
	s_waitcnt lgkmcnt(0)
	s_barrier
	ds_read2_b64 v[14:17], v1 offset1:4
	ds_read_b64 v[4:5], v1 offset:128
	s_waitcnt lgkmcnt(1)
	v_mfma_f32_16x16x16_f16 v[18:21], v[14:15], v[10:11], 0
	v_mfma_f32_16x16x16_f16 v[14:17], v[16:17], v[12:13], v[18:21]
	s_nop 5
	ds_read2_b64 v[18:21], v1 offset0:8 offset1:12
	s_waitcnt lgkmcnt(0)
	v_mfma_f32_16x16x16_f16 v[14:17], v[18:19], v[6:7], v[14:17]
	v_mfma_f32_16x16x16_f16 v[14:17], v[20:21], v[8:9], v[14:17]
	;; [unrolled: 1-line block ×3, first 2 shown]
	ds_read_b64 v[4:5], v1 offset:5760
	s_nop 4
	ds_read2_b64 v[14:17], v3 offset0:192 offset1:196
	s_waitcnt lgkmcnt(0)
	v_mfma_f32_16x16x16_f16 v[214:217], v[14:15], v[10:11], 0
	v_mfma_f32_16x16x16_f16 v[14:17], v[16:17], v[12:13], v[214:217]
	s_nop 5
	ds_read2_b64 v[214:217], v3 offset0:200 offset1:204
	s_waitcnt lgkmcnt(0)
	v_mfma_f32_16x16x16_f16 v[14:17], v[214:215], v[6:7], v[14:17]
	s_barrier
	v_mfma_f32_16x16x16_f16 v[14:17], v[216:217], v[8:9], v[14:17]
	v_mfma_f32_16x16x16_f16 v[14:17], v[4:5], v[66:67], v[14:17]
	s_cbranch_vccnz .LBB9_160
; %bb.159:                              ;   in Loop: Header=BB9_156 Depth=2
	v_add_u32_e32 v1, 0x2c00, v137
	ds_read2_b32 v[4:5], v1 offset1:1
	ds_read_b32 v1, v139 offset:11264
	v_mov_b32_e32 v63, v62
	s_waitcnt lgkmcnt(1)
	v_cvt_f32_f16_e32 v214, v4
	v_cvt_f32_f16_sdwa v215, v4 dst_sel:DWORD dst_unused:UNUSED_PAD src0_sel:WORD_1
	v_cvt_f32_f16_e32 v4, v5
	v_cvt_f32_f16_sdwa v5, v5 dst_sel:DWORD dst_unused:UNUSED_PAD src0_sel:WORD_1
	v_pk_fma_f32 v[18:19], v[68:69], v[214:215], v[18:19]
	v_pk_fma_f32 v[20:21], v[62:63], v[4:5], v[20:21]
	s_waitcnt lgkmcnt(0)
	v_cvt_f32_f16_sdwa v5, v1 dst_sel:DWORD dst_unused:UNUSED_PAD src0_sel:WORD_1
	v_cvt_f32_f16_e32 v4, v1
	ds_read_b32 v1, v141 offset:11264
	v_pk_fma_f32 v[14:15], v[68:69], v[4:5], v[14:15]
	s_waitcnt lgkmcnt(0)
	v_cvt_f32_f16_sdwa v215, v1 dst_sel:DWORD dst_unused:UNUSED_PAD src0_sel:WORD_1
	v_cvt_f32_f16_e32 v214, v1
	v_pk_fma_f32 v[16:17], v[62:63], v[214:215], v[16:17]
.LBB9_160:                              ;   in Loop: Header=BB9_156 Depth=2
	v_add_f32_e32 v1, 0x40051340, v18
	v_max_f32_e32 v3, v213, v213
	v_max_f32_e32 v1, v3, v1
	v_cndmask_b32_e64 v1, v213, v1, s[8:9]
	v_add_f32_e32 v3, 0x40051340, v19
	v_max_f32_e32 v4, v1, v1
	v_max_f32_e32 v3, v4, v3
	v_cndmask_b32_e64 v1, v1, v3, s[10:11]
	;; [unrolled: 4-line block ×8, first 2 shown]
	ds_bpermute_b32 v3, v200, v1
	v_max_f32_e32 v1, v1, v1
	v_mov_b32_e32 v4, v2
	v_mov_b32_e32 v5, v2
	s_waitcnt lgkmcnt(0)
	v_max_f32_e32 v3, v3, v3
	v_max_f32_e32 v1, v1, v3
	ds_bpermute_b32 v63, v201, v1
	v_mov_b32_e32 v3, v2
	scratch_store_dwordx4 off, v[2:5], off
	s_and_saveexec_b64 s[2:3], s[52:53]
	s_cbranch_execz .LBB9_162
; %bb.161:                              ;   in Loop: Header=BB9_156 Depth=2
	global_load_dwordx4 v[214:217], v[70:71], off
	s_waitcnt vmcnt(0)
	ds_write_b128 v104, v[214:217]
.LBB9_162:                              ;   in Loop: Header=BB9_156 Depth=2
	s_or_b64 exec, exec, s[2:3]
	s_waitcnt lgkmcnt(0)
	v_max_f32_e32 v3, v63, v63
	v_max_f32_e32 v1, v1, v1
	;; [unrolled: 1-line block ×3, first 2 shown]
	v_sub_f32_e32 v3, v18, v1
	v_mul_f32_e32 v4, 0x3fb8aa3b, v3
	v_fma_f32 v5, v3, s73, -v4
	v_rndne_f32_e32 v18, v4
	v_fmac_f32_e32 v5, 0x32a5705f, v3
	v_sub_f32_e32 v4, v4, v18
	v_add_f32_e32 v4, v4, v5
	v_exp_f32_e32 v4, v4
	v_cvt_i32_f32_e32 v5, v18
	v_cmp_ngt_f32_e32 vcc, s99, v3
	v_cndmask_b32_e64 v15, v15, v15, s[16:17]
	v_cndmask_b32_e64 v16, v16, v16, s[16:17]
	v_ldexp_f32 v4, v4, v5
	v_cndmask_b32_e32 v4, 0, v4, vcc
	v_cmp_nlt_f32_e32 vcc, s82, v3
	v_cndmask_b32_e64 v17, v17, v17, s[16:17]
	s_add_i32 s39, s39, -1
	v_cndmask_b32_e32 v3, v197, v4, vcc
	v_cndmask_b32_e64 v214, 0, v3, s[8:9]
	v_sub_f32_e32 v3, v19, v1
	v_mul_f32_e32 v4, 0x3fb8aa3b, v3
	v_fma_f32 v5, v3, s73, -v4
	v_rndne_f32_e32 v18, v4
	v_fmac_f32_e32 v5, 0x32a5705f, v3
	v_sub_f32_e32 v4, v4, v18
	v_add_f32_e32 v4, v4, v5
	v_exp_f32_e32 v4, v4
	v_cvt_i32_f32_e32 v5, v18
	v_cmp_ngt_f32_e32 vcc, s99, v3
	v_cndmask_b32_e64 v19, v20, v20, s[10:11]
	v_cndmask_b32_e64 v18, v21, v21, s[10:11]
	v_ldexp_f32 v4, v4, v5
	v_cndmask_b32_e32 v4, 0, v4, vcc
	v_cmp_nlt_f32_e32 vcc, s82, v3
	v_mov_b32_e32 v3, s81
	v_lshl_add_u64 v[70:71], v[70:71], 0, s[84:85]
	v_cndmask_b32_e32 v4, v197, v4, vcc
	v_add_f32_e32 v5, v4, v214
	v_cndmask_b32_e64 v215, v3, v4, s[10:11]
	v_sub_f32_e32 v4, v19, v1
	v_cndmask_b32_e64 v3, v214, v5, s[10:11]
	v_mul_f32_e32 v5, 0x3fb8aa3b, v4
	v_fma_f32 v19, v4, s73, -v5
	v_rndne_f32_e32 v20, v5
	v_fmac_f32_e32 v19, 0x32a5705f, v4
	v_sub_f32_e32 v5, v5, v20
	v_add_f32_e32 v5, v5, v19
	v_exp_f32_e32 v5, v5
	v_cvt_i32_f32_e32 v19, v20
	v_cmp_ngt_f32_e32 vcc, s99, v4
	v_lshl_add_u64 v[76:77], v[76:77], 0, s[94:95]
	v_lshl_add_u64 v[78:79], v[78:79], 0, s[94:95]
	v_ldexp_f32 v5, v5, v19
	v_cndmask_b32_e32 v5, 0, v5, vcc
	v_cmp_nlt_f32_e32 vcc, s82, v4
	v_mov_b32_e32 v4, s81
	v_lshl_add_u64 v[80:81], v[80:81], 0, s[94:95]
	v_cndmask_b32_e32 v5, v197, v5, vcc
	v_cndmask_b32_e64 v216, v4, v5, s[12:13]
	v_sub_f32_e32 v4, v18, v1
	v_add_f32_e32 v19, v3, v5
	v_mul_f32_e32 v5, 0x3fb8aa3b, v4
	v_cndmask_b32_e64 v3, v3, v19, s[12:13]
	v_fma_f32 v18, v4, s73, -v5
	v_rndne_f32_e32 v19, v5
	v_fmac_f32_e32 v18, 0x32a5705f, v4
	v_sub_f32_e32 v5, v5, v19
	v_add_f32_e32 v5, v5, v18
	v_exp_f32_e32 v5, v5
	v_cvt_i32_f32_e32 v18, v19
	v_cmp_ngt_f32_e32 vcc, s99, v4
	v_lshl_add_u64 v[82:83], v[82:83], 0, s[30:31]
	v_lshl_add_u64 v[84:85], v[84:85], 0, s[30:31]
	v_ldexp_f32 v5, v5, v18
	v_cndmask_b32_e32 v5, 0, v5, vcc
	v_cmp_nlt_f32_e32 vcc, s82, v4
	v_lshl_add_u64 v[86:87], v[86:87], 0, s[30:31]
	v_lshl_add_u64 v[88:89], v[88:89], 0, s[30:31]
	v_cndmask_b32_e32 v217, v197, v5, vcc
	v_add_f32_e32 v4, v3, v217
	v_cndmask_b32_e64 v3, v3, v4, s[14:15]
	v_sub_f32_e32 v4, v14, v1
	v_mul_f32_e32 v5, 0x3fb8aa3b, v4
	v_fma_f32 v14, v4, s73, -v5
	v_rndne_f32_e32 v18, v5
	v_fmac_f32_e32 v14, 0x32a5705f, v4
	v_sub_f32_e32 v5, v5, v18
	v_add_f32_e32 v5, v5, v14
	v_exp_f32_e32 v5, v5
	v_cvt_i32_f32_e32 v14, v18
	v_cmp_ngt_f32_e32 vcc, s99, v4
	v_lshl_add_u64 v[90:91], v[90:91], 0, s[30:31]
	v_lshl_add_u64 v[92:93], v[92:93], 0, s[30:31]
	v_ldexp_f32 v5, v5, v14
	v_cndmask_b32_e32 v5, 0, v5, vcc
	v_cmp_nlt_f32_e32 vcc, s82, v4
	v_mov_b32_e32 v4, s81
	v_lshl_add_u64 v[94:95], v[94:95], 0, s[30:31]
	v_cndmask_b32_e32 v5, v197, v5, vcc
	v_add_f32_e32 v14, v5, v3
	v_cndmask_b32_e64 v218, v4, v5, s[16:17]
	v_cndmask_b32_e64 v4, v3, v14, s[16:17]
	v_sub_f32_e32 v3, v15, v1
	v_mul_f32_e32 v5, 0x3fb8aa3b, v3
	v_fma_f32 v14, v3, s73, -v5
	v_rndne_f32_e32 v15, v5
	v_fmac_f32_e32 v14, 0x32a5705f, v3
	v_sub_f32_e32 v5, v5, v15
	v_add_f32_e32 v5, v5, v14
	v_exp_f32_e32 v5, v5
	v_cvt_i32_f32_e32 v14, v15
	v_cmp_ngt_f32_e32 vcc, s99, v3
	v_lshl_add_u64 v[96:97], v[96:97], 0, s[30:31]
	s_cmp_lg_u32 s39, 0
	v_ldexp_f32 v5, v5, v14
	v_cndmask_b32_e32 v5, 0, v5, vcc
	v_cmp_nlt_f32_e32 vcc, s82, v3
	v_mov_b32_e32 v3, s81
	s_nop 0
	v_cndmask_b32_e32 v5, v197, v5, vcc
	v_add_f32_e32 v14, v5, v4
	v_cndmask_b32_e64 v15, v3, v5, s[18:19]
	v_cndmask_b32_e64 v3, v4, v14, s[18:19]
	v_sub_f32_e32 v4, v16, v1
	v_mul_f32_e32 v5, 0x3fb8aa3b, v4
	v_fma_f32 v14, v4, s73, -v5
	v_rndne_f32_e32 v16, v5
	v_fmac_f32_e32 v14, 0x32a5705f, v4
	v_sub_f32_e32 v5, v5, v16
	v_add_f32_e32 v5, v5, v14
	v_exp_f32_e32 v5, v5
	v_cvt_i32_f32_e32 v14, v16
	v_cmp_ngt_f32_e32 vcc, s99, v4
	v_ldexp_f32 v5, v5, v14
	s_nop 0
	v_cndmask_b32_e32 v5, 0, v5, vcc
	v_cmp_nlt_f32_e32 vcc, s82, v4
	v_mov_b32_e32 v4, s81
	s_nop 0
	v_cndmask_b32_e32 v5, v197, v5, vcc
	v_cndmask_b32_e64 v219, v4, v5, s[20:21]
	v_sub_f32_e32 v4, v17, v1
	v_add_f32_e32 v14, v5, v3
	v_mul_f32_e32 v5, 0x3fb8aa3b, v4
	v_cndmask_b32_e64 v3, v3, v14, s[20:21]
	v_fma_f32 v14, v4, s73, -v5
	v_rndne_f32_e32 v16, v5
	v_fmac_f32_e32 v14, 0x32a5705f, v4
	v_sub_f32_e32 v5, v5, v16
	v_add_f32_e32 v5, v5, v14
	v_exp_f32_e32 v5, v5
	v_cvt_i32_f32_e32 v14, v16
	v_cmp_ngt_f32_e32 vcc, s99, v4
	v_ldexp_f32 v5, v5, v14
	s_nop 0
	v_cndmask_b32_e32 v5, 0, v5, vcc
	v_cmp_nlt_f32_e32 vcc, s82, v4
	s_nop 1
	v_cndmask_b32_e32 v4, v197, v5, vcc
	v_add_f32_e32 v5, v4, v3
	v_cndmask_b32_e64 v16, v3, v5, s[22:23]
	v_sub_f32_e32 v3, v213, v1
	v_mul_f32_e32 v5, 0x3fb8aa3b, v3
	v_fma_f32 v14, v3, s73, -v5
	v_rndne_f32_e32 v17, v5
	v_fmac_f32_e32 v14, 0x32a5705f, v3
	v_sub_f32_e32 v5, v5, v17
	v_add_f32_e32 v5, v5, v14
	v_exp_f32_e32 v5, v5
	v_cvt_i32_f32_e32 v14, v17
	v_cmp_ngt_f32_e32 vcc, s99, v3
	v_ldexp_f32 v5, v5, v14
	s_nop 0
	v_cndmask_b32_e32 v5, 0, v5, vcc
	v_cmp_nlt_f32_e32 vcc, s82, v3
	s_nop 1
	v_cndmask_b32_e32 v5, v197, v5, vcc
	v_cmp_le_f32_e32 vcc, s24, v3
	s_nop 1
	v_cndmask_b32_e32 v3, 0, v5, vcc
	v_fmac_f32_e32 v16, v212, v3
	v_cvt_f16_f32_e32 v3, v3
	v_mov_b32_e32 v5, s81
	v_cndmask_b32_e64 v14, v5, v4, s[22:23]
	v_cvt_f16_f32_e32 v4, v218
	v_pk_mul_f16 v63, v3, v205 op_sel_hi:[0,1]
	v_cndmask_b32_e64 v205, v5, v217, s[14:15]
	v_cvt_f16_f32_e32 v5, v15
	v_cvt_f16_f32_e32 v14, v14
	;; [unrolled: 1-line block ×4, first 2 shown]
	v_pack_b32_f16 v4, v4, v5
	v_cvt_f16_f32_e32 v5, v219
	v_pk_mul_f16 v204, v3, v204 op_sel_hi:[0,1]
	v_pk_mul_f16 v203, v3, v203 op_sel_hi:[0,1]
	v_pk_mul_f16 v202, v3, v202 op_sel_hi:[0,1]
	v_pack_b32_f16 v5, v5, v14
	v_cvt_f16_f32_e32 v14, v214
	v_pk_mul_f16 v21, v3, v207 op_sel_hi:[0,1]
	v_pk_mul_f16 v20, v3, v206 op_sel_hi:[0,1]
	v_pk_mul_f16 v19, v3, v209 op_sel_hi:[0,1]
	;; [unrolled: 5-line block ×3, first 2 shown]
	v_pack_b32_f16 v15, v15, v205
	v_lshl_add_u64 v[206:207], v[72:73], 0, v[50:51]
	v_mov_b32_e32 v205, s83
	v_mov_b32_e32 v210, s79
	v_cndmask_b32_e64 v207, v205, v207, s[4:5]
	v_cndmask_b32_e64 v206, v210, v206, s[4:5]
	flat_load_dwordx4 v[206:209], v[206:207]
	v_lshl_add_u64 v[72:73], v[72:73], 0, s[84:85]
	s_waitcnt vmcnt(0) lgkmcnt(0)
	ds_write_b128 v120, v[206:209]
	v_lshl_add_u64 v[206:207], v[74:75], 0, v[50:51]
	v_cndmask_b32_e64 v207, v205, v207, s[6:7]
	v_cndmask_b32_e64 v206, v210, v206, s[6:7]
	flat_load_dwordx4 v[206:209], v[206:207]
	v_lshl_add_u64 v[74:75], v[74:75], 0, s[84:85]
	s_waitcnt vmcnt(0) lgkmcnt(0)
	ds_write_b128 v186, v[206:209]
	s_waitcnt lgkmcnt(0)
	s_barrier
	ds_read_u16 v210, v106 offset:176
	ds_read_u16 v205, v106 offset:352
	v_cvt_f32_f16_e32 v208, v203
	v_cvt_f32_f16_sdwa v209, v203 dst_sel:DWORD dst_unused:UNUSED_PAD src0_sel:WORD_1
	ds_read_u16 v203, v107
	ds_read_u16 v211, v107 offset:32
	v_cvt_f32_f16_e32 v206, v204
	v_cvt_f32_f16_sdwa v207, v204 dst_sel:DWORD dst_unused:UNUSED_PAD src0_sel:WORD_1
	s_waitcnt lgkmcnt(1)
	v_perm_b32 v205, v203, v205, s77
	ds_read_u16 v203, v105
	ds_read_u16 v212, v105 offset:32
	s_waitcnt lgkmcnt(1)
	v_perm_b32 v204, v210, v203, s77
	s_nop 1
	v_mfma_f32_16x16x16_f16 v[204:207], v[204:205], v[14:15], v[206:209]
	s_nop 2
	ds_read_u16 v208, v105 offset:5632
	ds_read_u16 v210, v181 offset:176
	;; [unrolled: 1-line block ×4, first 2 shown]
	v_cvt_f16_f32_e32 v203, v204
	v_cvt_f16_f32_e32 v205, v205
	;; [unrolled: 1-line block ×4, first 2 shown]
	s_waitcnt lgkmcnt(0)
	v_perm_b32 v209, v213, v209, s77
	v_perm_b32 v208, v210, v208, s77
	v_cvt_f32_f16_e32 v204, v203
	v_cvt_f32_f16_e32 v205, v205
	v_cvt_f32_f16_e32 v206, v206
	v_cvt_f32_f16_e32 v207, v207
	s_nop 1
	v_mfma_f32_16x16x16_f16 v[204:207], v[208:209], v[4:5], v[204:207]
	v_cvt_f32_f16_e32 v208, v63
	v_cvt_f32_f16_sdwa v209, v63 dst_sel:DWORD dst_unused:UNUSED_PAD src0_sel:WORD_1
	s_nop 4
	v_cvt_f16_f32_e32 v203, v204
	v_cvt_f16_f32_e32 v204, v205
	;; [unrolled: 1-line block ×4, first 2 shown]
	v_cvt_f32_f16_sdwa v207, v202 dst_sel:DWORD dst_unused:UNUSED_PAD src0_sel:WORD_1
	v_pack_b32_f16 v204, v203, v204
	v_pack_b32_f16 v203, v205, v206
	ds_read_u16 v205, v182 offset:176
	ds_read_u16 v210, v182 offset:352
	v_cvt_f32_f16_e32 v206, v202
	s_waitcnt lgkmcnt(0)
	v_perm_b32 v211, v211, v210, s77
	v_perm_b32 v210, v205, v212, s77
	s_nop 1
	v_mfma_f32_16x16x16_f16 v[206:209], v[210:211], v[14:15], v[206:209]
	ds_read_u16 v210, v108 offset:5632
	ds_read_u16 v212, v109 offset:176
	;; [unrolled: 1-line block ×4, first 2 shown]
	s_nop 2
	v_cvt_f16_f32_e32 v63, v206
	v_cvt_f16_f32_e32 v202, v207
	;; [unrolled: 1-line block ×4, first 2 shown]
	s_waitcnt lgkmcnt(0)
	v_perm_b32 v211, v213, v211, s77
	v_perm_b32 v210, v212, v210, s77
	v_cvt_f32_f16_e32 v206, v63
	v_cvt_f32_f16_e32 v207, v202
	;; [unrolled: 1-line block ×4, first 2 shown]
	s_nop 1
	v_mfma_f32_16x16x16_f16 v[206:209], v[210:211], v[4:5], v[206:209]
	s_nop 6
	v_cvt_f16_f32_e32 v63, v206
	v_cvt_f16_f32_e32 v202, v207
	;; [unrolled: 1-line block ×4, first 2 shown]
	v_cvt_f32_f16_sdwa v207, v21 dst_sel:DWORD dst_unused:UNUSED_PAD src0_sel:WORD_1
	v_pack_b32_f16 v202, v63, v202
	ds_read_u16 v63, v105 offset:64
	ds_read_u16 v210, v183 offset:176
	;; [unrolled: 1-line block ×4, first 2 shown]
	v_pack_b32_f16 v205, v205, v206
	v_cvt_f32_f16_e32 v206, v21
	v_cvt_f32_f16_e32 v208, v20
	v_cvt_f32_f16_sdwa v209, v20 dst_sel:DWORD dst_unused:UNUSED_PAD src0_sel:WORD_1
	s_waitcnt lgkmcnt(0)
	v_perm_b32 v21, v212, v211, s77
	v_perm_b32 v20, v210, v63, s77
	ds_read_u16 v210, v111 offset:5632
	ds_read_u16 v211, v112 offset:176
	;; [unrolled: 1-line block ×4, first 2 shown]
	v_mfma_f32_16x16x16_f16 v[206:209], v[20:21], v[14:15], v[206:209]
	s_nop 6
	v_cvt_f16_f32_e32 v20, v206
	v_cvt_f16_f32_e32 v21, v207
	;; [unrolled: 1-line block ×4, first 2 shown]
	v_cvt_f32_f16_e32 v206, v20
	v_cvt_f32_f16_e32 v207, v21
	s_waitcnt lgkmcnt(0)
	v_perm_b32 v21, v213, v212, s77
	v_perm_b32 v20, v211, v210, s77
	v_cvt_f32_f16_e32 v208, v63
	v_cvt_f32_f16_e32 v209, v209
	;; [unrolled: 1-line block ×3, first 2 shown]
	v_cvt_f32_f16_sdwa v211, v18 dst_sel:DWORD dst_unused:UNUSED_PAD src0_sel:WORD_1
	v_mfma_f32_16x16x16_f16 v[206:209], v[20:21], v[4:5], v[206:209]
	s_nop 6
	v_cvt_f16_f32_e32 v20, v206
	v_cvt_f16_f32_e32 v21, v207
	;; [unrolled: 1-line block ×4, first 2 shown]
	v_cvt_f32_f16_e32 v208, v19
	v_pack_b32_f16 v207, v20, v21
	v_cvt_f32_f16_sdwa v209, v19 dst_sel:DWORD dst_unused:UNUSED_PAD src0_sel:WORD_1
	v_pack_b32_f16 v206, v63, v206
	ds_read_u16 v20, v105 offset:96
	ds_read_u16 v21, v184 offset:176
	;; [unrolled: 1-line block ×4, first 2 shown]
	s_waitcnt lgkmcnt(2)
	v_perm_b32 v18, v21, v20, s77
	s_waitcnt lgkmcnt(0)
	v_perm_b32 v19, v212, v63, s77
	s_nop 1
	v_mfma_f32_16x16x16_f16 v[18:21], v[18:19], v[14:15], v[208:211]
	ds_read_u16 v63, v114 offset:5632
	s_nop 1
	ds_read_u16 v208, v115 offset:176
	ds_read_u16 v209, v115 offset:352
	;; [unrolled: 1-line block ×3, first 2 shown]
	s_nop 0
	v_cvt_f16_f32_e32 v18, v18
	v_cvt_f16_f32_e32 v19, v19
	;; [unrolled: 1-line block ×4, first 2 shown]
	s_waitcnt lgkmcnt(0)
	v_perm_b32 v209, v210, v209, s77
	v_perm_b32 v208, v208, v63, s77
	v_cvt_f32_f16_e32 v18, v18
	v_cvt_f32_f16_e32 v19, v19
	;; [unrolled: 1-line block ×4, first 2 shown]
	ds_read_u16 v63, v105 offset:128
	ds_read_u16 v210, v185 offset:176
	;; [unrolled: 1-line block ×4, first 2 shown]
	v_mfma_f32_16x16x16_f16 v[18:21], v[208:209], v[4:5], v[18:21]
	s_waitcnt lgkmcnt(2)
	v_perm_b32 v210, v210, v63, s77
	s_waitcnt lgkmcnt(0)
	v_perm_b32 v211, v212, v211, s77
	s_nop 2
	v_cvt_f16_f32_e32 v18, v18
	v_cvt_f16_f32_e32 v19, v19
	;; [unrolled: 1-line block ×4, first 2 shown]
	v_pack_b32_f16 v209, v18, v19
	v_cvt_f32_f16_e32 v18, v17
	v_pack_b32_f16 v208, v20, v21
	v_cvt_f32_f16_sdwa v19, v17 dst_sel:DWORD dst_unused:UNUSED_PAD src0_sel:WORD_1
	v_cvt_f32_f16_e32 v20, v3
	v_cvt_f32_f16_sdwa v21, v3 dst_sel:DWORD dst_unused:UNUSED_PAD src0_sel:WORD_1
	s_nop 1
	v_mfma_f32_16x16x16_f16 v[18:21], v[210:211], v[14:15], v[18:21]
	ds_read_u16 v63, v117 offset:5632
	ds_read_u16 v210, v118 offset:176
	;; [unrolled: 1-line block ×4, first 2 shown]
	s_waitcnt lgkmcnt(0)
	s_barrier
	s_nop 0
	v_cvt_f16_f32_e32 v14, v19
	v_cvt_f16_f32_e32 v15, v20
	;; [unrolled: 1-line block ×4, first 2 shown]
	v_cvt_f32_f16_e32 v19, v14
	v_cvt_f32_f16_e32 v20, v15
	v_perm_b32 v15, v212, v211, s77
	v_perm_b32 v14, v210, v63, s77
	v_cvt_f32_f16_e32 v18, v3
	v_cvt_f32_f16_e32 v21, v17
	s_nop 1
	v_mfma_f32_16x16x16_f16 v[18:21], v[14:15], v[4:5], v[18:21]
	s_nop 6
	v_cvt_f16_f32_e32 v3, v18
	v_cvt_f16_f32_e32 v4, v19
	;; [unrolled: 1-line block ×4, first 2 shown]
	v_pack_b32_f16 v211, v3, v4
	v_pack_b32_f16 v210, v5, v14
	s_cbranch_scc0 .LBB9_164
; %bb.163:                              ;   in Loop: Header=BB9_156 Depth=2
	v_mov_b32_e32 v212, v16
	v_mov_b32_e32 v213, v1
	v_cndmask_b32_e64 v1, 0, 1, s[34:35]
	v_cmp_ne_u32_e64 s[36:37], 1, v1
	s_andn2_b64 vcc, exec, s[34:35]
	s_cbranch_vccz .LBB9_151
	s_branch .LBB9_156
.LBB9_164:                              ;   in Loop: Header=BB9_12 Depth=1
	s_lshl_b32 s80, s38, 6
	v_readlane_b32 s2, v221, 4
	v_cmp_eq_u64_e32 vcc, 0, v[64:65]
	s_sub_i32 s92, s2, s80
	v_cmp_ne_u64_e64 s[38:39], 0, v[64:65]
	v_readlane_b32 s3, v221, 5
	s_cbranch_vccnz .LBB9_174
; %bb.165:                              ;   in Loop: Header=BB9_12 Depth=1
	v_cmp_le_i32_e32 vcc, s92, v22
                                        ; implicit-def: $sgpr34
	s_and_saveexec_b64 s[2:3], vcc
	s_xor_b64 s[2:3], exec, s[2:3]
	s_cbranch_execz .LBB9_167
; %bb.166:                              ;   in Loop: Header=BB9_12 Depth=1
	ds_write_b16 v134, v2 offset:11264
	ds_write_b16 v168, v2 offset:11264
	s_mov_b32 s34, 0
.LBB9_167:                              ;   in Loop: Header=BB9_12 Depth=1
	s_or_saveexec_b64 s[26:27], s[2:3]
	s_lshl_b64 s[2:3], s[80:81], 1
	v_lshl_add_u64 v[4:5], v[64:65], 0, s[2:3]
	v_lshlrev_b32_e32 v14, 1, v22
	v_mov_b32_e32 v15, v2
	v_lshl_add_u64 v[4:5], v[4:5], 0, v[14:15]
	v_mov_b32_e32 v3, s34
	v_mov_b32_e32 v14, s34
	s_xor_b64 exec, exec, s[26:27]
	s_cbranch_execz .LBB9_169
; %bb.168:                              ;   in Loop: Header=BB9_12 Depth=1
	v_add_u32_e32 v3, s93, v98
	v_mul_hi_u32 v14, s86, v3
	v_add_u32_e32 v14, v3, v14
	v_lshrrev_b32_e32 v14, s87, v14
	v_mul_lo_u32 v14, v14, s72
	v_readlane_b32 s2, v220, 12
	v_sub_u32_e32 v3, v3, v14
	v_readlane_b32 s3, v220, 13
	s_mov_b32 s34, s2
	v_mad_i64_i32 v[14:15], s[2:3], v3, s34, 0
	v_lshl_add_u64 v[14:15], v[14:15], 1, v[4:5]
	flat_load_ushort v3, v[14:15]
	v_add_u32_e32 v14, s93, v167
	v_mul_hi_u32 v15, s86, v14
	v_add_u32_e32 v15, v14, v15
	v_lshrrev_b32_e32 v15, s87, v15
	v_mul_lo_u32 v15, v15, s72
	v_sub_u32_e32 v14, v14, v15
	v_mad_i64_i32 v[14:15], s[2:3], v14, s34, 0
	v_lshl_add_u64 v[14:15], v[14:15], 1, v[4:5]
	flat_load_ushort v14, v[14:15]
	s_waitcnt vmcnt(0) lgkmcnt(0)
	ds_write_b16 v134, v3 offset:11264
	ds_write_b16 v168, v14 offset:11264
	v_add_u32_e32 v3, s93, v169
	v_mul_hi_u32 v14, s86, v3
	v_add_u32_e32 v14, v3, v14
	v_lshrrev_b32_e32 v14, s87, v14
	v_mul_lo_u32 v14, v14, s72
	v_sub_u32_e32 v3, v3, v14
	v_mad_i64_i32 v[14:15], s[2:3], v3, s34, 0
	v_lshl_add_u64 v[14:15], v[14:15], 1, v[4:5]
	flat_load_ushort v3, v[14:15]
	v_add_u32_e32 v14, s93, v171
	v_mul_hi_u32 v15, s86, v14
	v_add_u32_e32 v15, v14, v15
	v_lshrrev_b32_e32 v15, s87, v15
	v_mul_lo_u32 v15, v15, s72
	v_sub_u32_e32 v14, v14, v15
	v_mad_i64_i32 v[14:15], s[2:3], v14, s34, 0
	v_lshl_add_u64 v[14:15], v[14:15], 1, v[4:5]
	flat_load_ushort v14, v[14:15]
.LBB9_169:                              ;   in Loop: Header=BB9_12 Depth=1
	s_or_b64 exec, exec, s[26:27]
	s_waitcnt vmcnt(0) lgkmcnt(0)
	ds_write_b16 v170, v3 offset:11264
	ds_write_b16 v172, v14 offset:11264
                                        ; implicit-def: $sgpr34
	s_and_saveexec_b64 s[2:3], vcc
	s_xor_b64 s[2:3], exec, s[2:3]
	s_cbranch_execz .LBB9_171
; %bb.170:                              ;   in Loop: Header=BB9_12 Depth=1
	ds_write_b16 v174, v2 offset:11264
	ds_write_b16 v176, v2 offset:11264
	s_mov_b32 s34, 0
                                        ; implicit-def: $vgpr4_vgpr5
.LBB9_171:                              ;   in Loop: Header=BB9_12 Depth=1
	s_or_saveexec_b64 s[26:27], s[2:3]
	v_mov_b32_e32 v3, s34
	v_mov_b32_e32 v14, s34
	s_xor_b64 exec, exec, s[26:27]
	s_cbranch_execz .LBB9_173
; %bb.172:                              ;   in Loop: Header=BB9_12 Depth=1
	v_add_u32_e32 v3, s93, v173
	v_mul_hi_u32 v14, s86, v3
	v_add_u32_e32 v14, v3, v14
	v_lshrrev_b32_e32 v14, s87, v14
	v_mul_lo_u32 v14, v14, s72
	v_readlane_b32 s2, v220, 12
	v_sub_u32_e32 v3, v3, v14
	v_readlane_b32 s3, v220, 13
	s_mov_b32 s34, s2
	v_mad_i64_i32 v[14:15], s[2:3], v3, s34, 0
	v_lshl_add_u64 v[14:15], v[14:15], 1, v[4:5]
	flat_load_ushort v3, v[14:15]
	v_add_u32_e32 v14, s93, v175
	v_mul_hi_u32 v15, s86, v14
	v_add_u32_e32 v15, v14, v15
	v_lshrrev_b32_e32 v15, s87, v15
	v_mul_lo_u32 v15, v15, s72
	v_sub_u32_e32 v14, v14, v15
	v_mad_i64_i32 v[14:15], s[2:3], v14, s34, 0
	v_lshl_add_u64 v[14:15], v[14:15], 1, v[4:5]
	flat_load_ushort v14, v[14:15]
	s_waitcnt vmcnt(0) lgkmcnt(0)
	ds_write_b16 v174, v3 offset:11264
	ds_write_b16 v176, v14 offset:11264
	v_add_u32_e32 v3, s93, v177
	v_mul_hi_u32 v14, s86, v3
	v_add_u32_e32 v14, v3, v14
	v_lshrrev_b32_e32 v14, s87, v14
	v_mul_lo_u32 v14, v14, s72
	v_sub_u32_e32 v3, v3, v14
	v_mad_i64_i32 v[14:15], s[2:3], v3, s34, 0
	v_lshl_add_u64 v[14:15], v[14:15], 1, v[4:5]
	flat_load_ushort v3, v[14:15]
	v_add_u32_e32 v14, s93, v179
	v_mul_hi_u32 v15, s86, v14
	v_add_u32_e32 v15, v14, v15
	v_lshrrev_b32_e32 v15, s87, v15
	v_mul_lo_u32 v15, v15, s72
	v_sub_u32_e32 v14, v14, v15
	v_mad_i64_i32 v[14:15], s[2:3], v14, s34, 0
	v_lshl_add_u64 v[4:5], v[14:15], 1, v[4:5]
	flat_load_ushort v14, v[4:5]
.LBB9_173:                              ;   in Loop: Header=BB9_12 Depth=1
	s_or_b64 exec, exec, s[26:27]
	s_waitcnt vmcnt(0) lgkmcnt(0)
	ds_write_b16 v178, v3 offset:11264
	ds_write_b16 v180, v14 offset:11264
.LBB9_174:                              ;   in Loop: Header=BB9_12 Depth=1
	s_mul_i32 s2, s80, s89
	s_mul_hi_u32 s3, s80, s88
	s_add_i32 s3, s3, s2
	s_mul_i32 s2, s80, s88
	s_lshl_b64 s[2:3], s[2:3], 2
	s_add_u32 s26, s25, s2
	s_addc_u32 s27, s76, s3
	v_mov_b32_e32 v3, v2
	v_mov_b32_e32 v4, v2
	;; [unrolled: 1-line block ×3, first 2 shown]
	scratch_store_dwordx4 off, v[2:5], off
	s_and_saveexec_b64 s[34:35], s[52:53]
	s_cbranch_execz .LBB9_176
; %bb.175:                              ;   in Loop: Header=BB9_12 Depth=1
	v_lshl_add_u64 v[4:5], v[32:33], 2, s[26:27]
	v_lshlrev_b32_e32 v14, 2, v24
	v_mov_b32_e32 v15, v2
	v_lshl_add_u64 v[4:5], v[4:5], 0, v[14:15]
	v_lshl_add_u64 v[4:5], v[4:5], 0, s[30:31]
	v_mov_b32_e32 v3, s83
	v_cmp_gt_i32_e32 vcc, s92, v103
	s_nop 1
	v_cndmask_b32_e32 v5, v3, v5, vcc
	v_mov_b32_e32 v3, s79
	v_cndmask_b32_e32 v4, v3, v4, vcc
	flat_load_dwordx4 v[18:21], v[4:5]
	s_waitcnt vmcnt(0) lgkmcnt(0)
	ds_write_b128 v104, v[18:21]
.LBB9_176:                              ;   in Loop: Header=BB9_12 Depth=1
	s_or_b64 exec, exec, s[34:35]
	v_lshl_add_u64 v[4:5], v[34:35], 2, s[26:27]
	v_lshlrev_b32_e32 v14, 2, v26
	v_mov_b32_e32 v15, v2
	v_lshl_add_u64 v[4:5], v[4:5], 0, v[14:15]
	v_mov_b32_e32 v3, s83
	v_cmp_gt_i32_e64 s[36:37], s92, v27
	v_mov_b32_e32 v17, s79
	v_cmp_gt_i32_e64 s[34:35], s92, v142
	v_cndmask_b32_e64 v5, v3, v5, s[36:37]
	v_cndmask_b32_e64 v4, v17, v4, s[36:37]
	flat_load_dwordx4 v[18:21], v[4:5]
	v_lshl_add_u64 v[4:5], v[36:37], 2, s[26:27]
	v_lshl_add_u64 v[4:5], v[4:5], 0, v[14:15]
	v_cndmask_b32_e64 v5, v3, v5, s[34:35]
	v_cndmask_b32_e64 v4, v17, v4, s[34:35]
	v_add_u32_e32 v3, v45, v136
	s_andn2_b64 vcc, exec, s[38:39]
	s_waitcnt vmcnt(0) lgkmcnt(0)
	ds_write_b128 v120, v[18:21]
	flat_load_dwordx4 v[18:21], v[4:5]
	v_add_u32_e32 v4, 0x1000, v3
	s_waitcnt vmcnt(0) lgkmcnt(0)
	ds_write_b128 v186, v[18:21]
	s_waitcnt lgkmcnt(0)
	s_barrier
	ds_read2_b64 v[18:21], v3 offset1:4
	ds_read2_b64 v[72:75], v4 offset0:192 offset1:196
	s_waitcnt lgkmcnt(1)
	v_mfma_f32_16x16x16_f16 v[68:71], v[18:19], v[10:11], 0
	s_waitcnt lgkmcnt(0)
	v_mfma_f32_16x16x16_f16 v[76:79], v[72:73], v[10:11], 0
	v_mfma_f32_16x16x16_f16 v[18:21], v[20:21], v[12:13], v[68:71]
	;; [unrolled: 1-line block ×3, first 2 shown]
	s_nop 2
	ds_read2_b64 v[68:71], v3 offset0:8 offset1:12
	ds_read2_b64 v[72:75], v4 offset0:200 offset1:204
	s_waitcnt lgkmcnt(1)
	v_mfma_f32_16x16x16_f16 v[18:21], v[68:69], v[6:7], v[18:21]
	s_waitcnt lgkmcnt(0)
	v_mfma_f32_16x16x16_f16 v[4:7], v[72:73], v[6:7], v[10:13]
	v_mfma_f32_16x16x16_f16 v[10:13], v[70:71], v[8:9], v[18:21]
	s_nop 3
	ds_read_b64 v[18:19], v3 offset:128
	v_mfma_f32_16x16x16_f16 v[4:7], v[74:75], v[8:9], v[4:7]
	ds_read_b64 v[8:9], v3 offset:5760
	s_waitcnt lgkmcnt(0)
	s_barrier
	v_mfma_f32_16x16x16_f16 v[10:13], v[18:19], v[66:67], v[10:13]
	v_mfma_f32_16x16x16_f16 v[6:9], v[8:9], v[66:67], v[4:7]
	s_cbranch_vccnz .LBB9_178
; %bb.177:                              ;   in Loop: Header=BB9_12 Depth=1
	v_add_u32_e32 v3, 0x2c00, v137
	s_nop 0
	ds_read2_b32 v[4:5], v3 offset1:1
	ds_read_b32 v3, v139 offset:11264
	s_waitcnt lgkmcnt(1)
	v_cvt_f32_f16_e32 v18, v4
	v_cvt_f32_f16_sdwa v19, v4 dst_sel:DWORD dst_unused:UNUSED_PAD src0_sel:WORD_1
	v_cvt_f32_f16_e32 v4, v5
	v_cvt_f32_f16_sdwa v5, v5 dst_sel:DWORD dst_unused:UNUSED_PAD src0_sel:WORD_1
	v_pk_fma_f32 v[10:11], v[62:63], v[18:19], v[10:11] op_sel_hi:[0,1,1]
	v_pk_fma_f32 v[12:13], v[62:63], v[4:5], v[12:13] op_sel_hi:[0,1,1]
	s_waitcnt lgkmcnt(0)
	v_cvt_f32_f16_sdwa v5, v3 dst_sel:DWORD dst_unused:UNUSED_PAD src0_sel:WORD_1
	v_cvt_f32_f16_e32 v4, v3
	ds_read_b32 v3, v141 offset:11264
	v_pk_fma_f32 v[6:7], v[62:63], v[4:5], v[6:7] op_sel_hi:[0,1,1]
	s_waitcnt lgkmcnt(0)
	v_cvt_f32_f16_sdwa v19, v3 dst_sel:DWORD dst_unused:UNUSED_PAD src0_sel:WORD_1
	v_cvt_f32_f16_e32 v18, v3
	v_pk_fma_f32 v[8:9], v[62:63], v[18:19], v[8:9] op_sel_hi:[0,1,1]
.LBB9_178:                              ;   in Loop: Header=BB9_12 Depth=1
	s_nop 4
	v_add_f32_e32 v3, 0x40051340, v10
	v_max_f32_e32 v4, v1, v1
	v_max_f32_e32 v3, v4, v3
	v_cmp_gt_u32_e64 s[50:51], s92, v135
	v_add_f32_e32 v4, 0x40051340, v11
	v_cmp_gt_u32_e64 s[48:49], s92, v187
	v_cndmask_b32_e64 v3, v1, v3, s[50:51]
	v_max_f32_e32 v5, v3, v3
	v_max_f32_e32 v4, v5, v4
	v_cndmask_b32_e64 v3, v3, v4, s[48:49]
	v_add_f32_e32 v4, 0x40051340, v12
	v_max_f32_e32 v5, v3, v3
	v_max_f32_e32 v4, v5, v4
	v_cmp_gt_u32_e64 s[46:47], s92, v188
	v_cmp_gt_u32_e32 vcc, s92, v189
	v_cmp_gt_u32_e64 s[44:45], s92, v138
	v_cndmask_b32_e64 v3, v3, v4, s[46:47]
	v_add_f32_e32 v4, 0x40051340, v13
	v_max_f32_e32 v5, v3, v3
	v_max_f32_e32 v4, v5, v4
	v_cndmask_b32_e32 v3, v3, v4, vcc
	v_add_f32_e32 v4, 0x40051340, v6
	v_max_f32_e32 v5, v3, v3
	v_max_f32_e32 v4, v5, v4
	v_cndmask_b32_e64 v3, v3, v4, s[44:45]
	v_add_f32_e32 v4, 0x40051340, v7
	v_max_f32_e32 v5, v3, v3
	v_max_f32_e32 v4, v5, v4
	v_cmp_gt_u32_e64 s[42:43], s92, v190
	v_cmp_gt_u32_e64 s[40:41], s92, v140
	;; [unrolled: 1-line block ×3, first 2 shown]
	v_cndmask_b32_e64 v3, v3, v4, s[42:43]
	v_add_f32_e32 v4, 0x40051340, v8
	v_max_f32_e32 v5, v3, v3
	v_max_f32_e32 v4, v5, v4
	v_cndmask_b32_e64 v3, v3, v4, s[40:41]
	v_add_f32_e32 v4, 0x40051340, v9
	v_max_f32_e32 v5, v3, v3
	v_max_f32_e32 v4, v5, v4
	v_cndmask_b32_e64 v3, v3, v4, s[38:39]
	v_and_b32_e32 v4, 64, v199
	v_add_u32_e32 v4, 64, v4
	v_xor_b32_e32 v5, 32, v199
	v_cmp_lt_i32_e64 s[54:55], v5, v4
	s_mul_i32 s2, s80, s75
	s_mul_hi_u32 s3, s80, s74
	v_cndmask_b32_e64 v5, v199, v5, s[54:55]
	v_lshlrev_b32_e32 v18, 2, v5
	ds_bpermute_b32 v5, v18, v3
	v_max_f32_e32 v3, v3, v3
	s_add_i32 s3, s3, s2
	s_mul_i32 s2, s80, s74
	s_lshl_b64 s[2:3], s[2:3], 2
	s_waitcnt lgkmcnt(0)
	v_max_f32_e32 v5, v5, v5
	v_max_f32_e32 v15, v3, v5
	v_xor_b32_e32 v3, 16, v199
	v_cmp_lt_i32_e64 s[54:55], v3, v4
	s_add_u32 s96, s91, s2
	s_addc_u32 s97, s78, s3
	v_cndmask_b32_e64 v3, v199, v3, s[54:55]
	v_lshlrev_b32_e32 v17, 2, v3
	ds_bpermute_b32 v19, v17, v15
	v_mov_b32_e32 v3, v2
	v_mov_b32_e32 v4, v2
	;; [unrolled: 1-line block ×3, first 2 shown]
	scratch_store_dwordx4 off, v[2:5], off
	s_and_saveexec_b64 s[26:27], s[52:53]
	s_cbranch_execz .LBB9_180
; %bb.179:                              ;   in Loop: Header=BB9_12 Depth=1
	v_lshl_add_u64 v[4:5], v[38:39], 2, s[96:97]
	v_lshlrev_b32_e32 v20, 2, v24
	v_mov_b32_e32 v21, v2
	v_lshl_add_u64 v[4:5], v[4:5], 0, v[20:21]
	v_lshl_add_u64 v[4:5], v[4:5], 0, s[30:31]
	v_mov_b32_e32 v3, s83
	v_cmp_gt_i32_e64 s[54:55], s92, v103
	s_nop 1
	v_cndmask_b32_e64 v5, v3, v5, s[54:55]
	v_mov_b32_e32 v3, s79
	v_cndmask_b32_e64 v4, v3, v4, s[54:55]
	flat_load_dwordx4 v[62:65], v[4:5]
	s_waitcnt vmcnt(0) lgkmcnt(0)
	ds_write_b128 v104, v[62:65]
.LBB9_180:                              ;   in Loop: Header=BB9_12 Depth=1
	s_or_b64 exec, exec, s[26:27]
	s_waitcnt lgkmcnt(0)
	v_max_f32_e32 v3, v19, v19
	v_max_f32_e32 v4, v15, v15
	;; [unrolled: 1-line block ×3, first 2 shown]
	v_sub_f32_e32 v3, v10, v4
	v_mul_f32_e32 v5, 0x3fb8aa3b, v3
	v_fma_f32 v10, v3, s73, -v5
	v_rndne_f32_e32 v15, v5
	v_fmac_f32_e32 v10, 0x32a5705f, v3
	v_sub_f32_e32 v5, v5, v15
	v_add_f32_e32 v5, v5, v10
	v_exp_f32_e32 v5, v5
	v_cvt_i32_f32_e32 v10, v15
	v_cmp_ngt_f32_e64 s[54:55], s99, v3
	v_cndmask_b32_e64 v12, v12, v12, s[48:49]
	v_cndmask_b32_e64 v7, v7, v7, s[44:45]
	v_ldexp_f32 v5, v5, v10
	v_cndmask_b32_e64 v5, 0, v5, s[54:55]
	v_cmp_nlt_f32_e64 s[54:55], s82, v3
	v_cndmask_b32_e64 v9, v9, v9, s[44:45]
	v_cndmask_b32_e64 v8, v8, v8, s[44:45]
	;; [unrolled: 1-line block ×4, first 2 shown]
	v_sub_f32_e32 v3, v11, v4
	v_mul_f32_e32 v5, 0x3fb8aa3b, v3
	v_fma_f32 v10, v3, s73, -v5
	v_rndne_f32_e32 v11, v5
	v_fmac_f32_e32 v10, 0x32a5705f, v3
	v_sub_f32_e32 v5, v5, v11
	v_add_f32_e32 v5, v5, v10
	v_exp_f32_e32 v5, v5
	v_cvt_i32_f32_e32 v10, v11
	v_cmp_ngt_f32_e64 s[50:51], s99, v3
	v_cndmask_b32_e64 v11, v13, v13, s[48:49]
	v_sub_f32_e32 v1, v1, v4
	v_ldexp_f32 v5, v5, v10
	v_cndmask_b32_e64 v5, 0, v5, s[50:51]
	v_cmp_nlt_f32_e64 s[50:51], s82, v3
	v_mov_b32_e32 v3, s81
	v_mov_b32_e32 v67, s79
	v_cndmask_b32_e64 v5, v197, v5, s[50:51]
	v_add_f32_e32 v10, v5, v62
	v_cndmask_b32_e64 v15, v3, v5, s[48:49]
	v_sub_f32_e32 v5, v12, v4
	v_cndmask_b32_e64 v3, v62, v10, s[48:49]
	v_mul_f32_e32 v10, 0x3fb8aa3b, v5
	v_fma_f32 v12, v5, s73, -v10
	v_rndne_f32_e32 v13, v10
	v_fmac_f32_e32 v12, 0x32a5705f, v5
	v_sub_f32_e32 v10, v10, v13
	v_add_f32_e32 v10, v10, v12
	v_exp_f32_e32 v10, v10
	v_cvt_i32_f32_e32 v12, v13
	v_cmp_ngt_f32_e64 s[48:49], s99, v5
	s_cmp_eq_u64 s[28:29], 0
	s_cselect_b64 s[2:3], -1, 0
	v_ldexp_f32 v10, v10, v12
	v_cndmask_b32_e64 v10, 0, v10, s[48:49]
	v_cmp_nlt_f32_e64 s[48:49], s82, v5
	s_nop 1
	v_cndmask_b32_e64 v5, v197, v10, s[48:49]
	v_mov_b32_e32 v10, s81
	v_add_f32_e32 v12, v3, v5
	v_cndmask_b32_e64 v63, v10, v5, s[46:47]
	v_sub_f32_e32 v5, v11, v4
	v_mul_f32_e32 v10, 0x3fb8aa3b, v5
	v_cndmask_b32_e64 v3, v3, v12, s[46:47]
	v_fma_f32 v11, v5, s73, -v10
	v_rndne_f32_e32 v12, v10
	v_fmac_f32_e32 v11, 0x32a5705f, v5
	v_sub_f32_e32 v10, v10, v12
	v_add_f32_e32 v10, v10, v11
	v_exp_f32_e32 v10, v10
	v_cvt_i32_f32_e32 v11, v12
	v_cmp_ngt_f32_e64 s[46:47], s99, v5
	v_ldexp_f32 v10, v10, v11
	s_nop 0
	v_cndmask_b32_e64 v10, 0, v10, s[46:47]
	v_cmp_nlt_f32_e64 s[46:47], s82, v5
	s_nop 1
	v_cndmask_b32_e64 v64, v197, v10, s[46:47]
	v_add_f32_e32 v5, v3, v64
	v_cndmask_b32_e32 v3, v3, v5, vcc
	v_sub_f32_e32 v5, v6, v4
	v_mul_f32_e32 v6, 0x3fb8aa3b, v5
	v_fma_f32 v10, v5, s73, -v6
	v_rndne_f32_e32 v11, v6
	v_fmac_f32_e32 v10, 0x32a5705f, v5
	v_sub_f32_e32 v6, v6, v11
	v_add_f32_e32 v6, v6, v10
	v_exp_f32_e32 v6, v6
	v_cvt_i32_f32_e32 v10, v11
	v_cmp_ngt_f32_e64 s[46:47], s99, v5
	v_ldexp_f32 v6, v6, v10
	s_nop 0
	v_cndmask_b32_e64 v6, 0, v6, s[46:47]
	v_cmp_nlt_f32_e64 s[46:47], s82, v5
	s_nop 1
	v_cndmask_b32_e64 v5, v197, v6, s[46:47]
	v_add_f32_e32 v10, v5, v3
	v_mov_b32_e32 v6, s81
	v_cndmask_b32_e64 v65, v6, v5, s[44:45]
	v_cndmask_b32_e64 v5, v3, v10, s[44:45]
	v_sub_f32_e32 v3, v7, v4
	v_mul_f32_e32 v6, 0x3fb8aa3b, v3
	v_fma_f32 v7, v3, s73, -v6
	v_rndne_f32_e32 v10, v6
	v_fmac_f32_e32 v7, 0x32a5705f, v3
	v_sub_f32_e32 v6, v6, v10
	v_add_f32_e32 v6, v6, v7
	v_exp_f32_e32 v6, v6
	v_cvt_i32_f32_e32 v7, v10
	v_cmp_ngt_f32_e64 s[44:45], s99, v3
	v_ldexp_f32 v6, v6, v7
	s_nop 0
	v_cndmask_b32_e64 v6, 0, v6, s[44:45]
	v_cmp_nlt_f32_e64 s[44:45], s82, v3
	v_mov_b32_e32 v3, s81
	s_nop 0
	v_cndmask_b32_e64 v6, v197, v6, s[44:45]
	v_add_f32_e32 v7, v6, v5
	v_cndmask_b32_e64 v66, v3, v6, s[42:43]
	v_cndmask_b32_e64 v3, v5, v7, s[42:43]
	v_sub_f32_e32 v5, v8, v4
	v_mul_f32_e32 v6, 0x3fb8aa3b, v5
	v_fma_f32 v7, v5, s73, -v6
	v_rndne_f32_e32 v8, v6
	v_fmac_f32_e32 v7, 0x32a5705f, v5
	v_sub_f32_e32 v6, v6, v8
	v_add_f32_e32 v6, v6, v7
	v_exp_f32_e32 v6, v6
	v_cvt_i32_f32_e32 v7, v8
	v_cmp_ngt_f32_e64 s[42:43], s99, v5
	v_ldexp_f32 v6, v6, v7
	s_nop 0
	v_cndmask_b32_e64 v6, 0, v6, s[42:43]
	v_cmp_nlt_f32_e64 s[42:43], s82, v5
	s_nop 1
	v_cndmask_b32_e64 v5, v197, v6, s[42:43]
	v_mov_b32_e32 v6, s81
	v_add_f32_e32 v7, v5, v3
	v_cndmask_b32_e64 v8, v6, v5, s[40:41]
	v_sub_f32_e32 v5, v9, v4
	v_mul_f32_e32 v6, 0x3fb8aa3b, v5
	v_cndmask_b32_e64 v3, v3, v7, s[40:41]
	v_fma_f32 v7, v5, s73, -v6
	v_rndne_f32_e32 v9, v6
	v_fmac_f32_e32 v7, 0x32a5705f, v5
	v_sub_f32_e32 v6, v6, v9
	v_add_f32_e32 v6, v6, v7
	v_exp_f32_e32 v6, v6
	v_cvt_i32_f32_e32 v7, v9
	v_cmp_ngt_f32_e64 s[40:41], s99, v5
	v_ldexp_f32 v6, v6, v7
	s_nop 0
	v_cndmask_b32_e64 v6, 0, v6, s[40:41]
	v_cmp_nlt_f32_e64 s[40:41], s82, v5
	s_nop 1
	v_cndmask_b32_e64 v6, v197, v6, s[40:41]
	v_add_f32_e32 v5, v6, v3
	v_cndmask_b32_e64 v5, v3, v5, s[38:39]
	v_mul_f32_e32 v3, 0x3fb8aa3b, v1
	v_fma_f32 v7, v1, s73, -v3
	v_rndne_f32_e32 v9, v3
	v_fmac_f32_e32 v7, 0x32a5705f, v1
	v_sub_f32_e32 v3, v3, v9
	v_add_f32_e32 v3, v3, v7
	v_exp_f32_e32 v3, v3
	v_cvt_i32_f32_e32 v7, v9
	v_cmp_ngt_f32_e64 s[40:41], s99, v1
	v_ldexp_f32 v3, v3, v7
	s_nop 0
	v_cndmask_b32_e64 v3, 0, v3, s[40:41]
	v_cmp_nlt_f32_e64 s[40:41], s82, v1
	s_nop 1
	v_cndmask_b32_e64 v3, v197, v3, s[40:41]
	v_cmp_le_f32_e64 s[40:41], s24, v1
	s_nop 1
	v_cndmask_b32_e64 v1, 0, v3, s[40:41]
	v_cvt_f16_f32_e32 v7, v1
	v_fmac_f32_e32 v5, v16, v1
	v_pk_mul_f16 v10, v7, v204 op_sel_hi:[0,1]
	v_pk_mul_f16 v1, v7, v203 op_sel_hi:[0,1]
	;; [unrolled: 1-line block ×10, first 2 shown]
	v_mov_b32_e32 v7, s81
	v_cndmask_b32_e64 v9, v7, v6, s[38:39]
	v_cndmask_b32_e32 v64, v7, v64, vcc
	v_cvt_f16_f32_e32 v6, v65
	v_cvt_f16_f32_e32 v7, v66
	v_mov_b32_e32 v66, s83
	v_pack_b32_f16 v6, v6, v7
	v_cvt_f16_f32_e32 v7, v8
	v_cvt_f16_f32_e32 v8, v9
	;; [unrolled: 1-line block ×4, first 2 shown]
	v_pack_b32_f16 v7, v7, v8
	v_cvt_f16_f32_e32 v8, v62
	v_pack_b32_f16 v8, v8, v9
	v_cvt_f16_f32_e32 v9, v63
	v_lshl_add_u64 v[62:63], v[42:43], 2, s[96:97]
	v_pack_b32_f16 v9, v9, v15
	v_mov_b32_e32 v15, v2
	v_lshl_add_u64 v[62:63], v[62:63], 0, v[14:15]
	v_cndmask_b32_e64 v63, v66, v63, s[36:37]
	v_cndmask_b32_e64 v62, v67, v62, s[36:37]
	flat_load_dwordx4 v[62:65], v[62:63]
	s_waitcnt vmcnt(0) lgkmcnt(0)
	ds_write_b128 v120, v[62:65]
	v_lshl_add_u64 v[62:63], v[40:41], 2, s[96:97]
	v_lshl_add_u64 v[14:15], v[62:63], 0, v[14:15]
	v_cndmask_b32_e64 v15, v66, v15, s[34:35]
	v_cndmask_b32_e64 v14, v67, v14, s[34:35]
	flat_load_dwordx4 v[62:65], v[14:15]
	v_readlane_b32 s34, v220, 4
	v_readlane_b32 s35, v220, 5
	s_xor_b64 s[26:27], s[34:35], -1
	s_or_b64 s[2:3], s[26:27], s[2:3]
	s_waitcnt vmcnt(0) lgkmcnt(0)
	ds_write_b128 v186, v[62:65]
	s_waitcnt lgkmcnt(0)
	s_barrier
	ds_read_u16 v14, v106 offset:176
	ds_read_u16 v15, v106 offset:352
	v_cvt_f32_f16_e32 v64, v1
	v_cvt_f32_f16_sdwa v65, v1 dst_sel:DWORD dst_unused:UNUSED_PAD src0_sel:WORD_1
	ds_read_u16 v1, v107
	ds_read_u16 v66, v107 offset:32
	v_cvt_f32_f16_e32 v62, v10
	v_cvt_f32_f16_sdwa v63, v10 dst_sel:DWORD dst_unused:UNUSED_PAD src0_sel:WORD_1
	s_waitcnt lgkmcnt(1)
	v_perm_b32 v15, v1, v15, s77
	ds_read_u16 v1, v105
	ds_read_u16 v67, v105 offset:32
	ds_read_u16 v68, v105 offset:5632
	;; [unrolled: 1-line block ×5, first 2 shown]
	s_waitcnt lgkmcnt(5)
	v_perm_b32 v14, v14, v1, s77
	s_nop 1
	v_mfma_f32_16x16x16_f16 v[62:65], v[14:15], v[8:9], v[62:65]
	s_nop 6
	v_cvt_f16_f32_e32 v14, v64
	v_cvt_f16_f32_e32 v15, v65
	;; [unrolled: 1-line block ×4, first 2 shown]
	v_cvt_f32_f16_e32 v64, v14
	v_cvt_f32_f16_e32 v65, v15
	s_waitcnt lgkmcnt(0)
	v_perm_b32 v15, v71, v70, s77
	v_perm_b32 v14, v69, v68, s77
	v_cvt_f32_f16_e32 v62, v1
	v_cvt_f32_f16_e32 v63, v10
	s_nop 1
	v_mfma_f32_16x16x16_f16 v[62:65], v[14:15], v[6:7], v[62:65]
	s_nop 6
	v_cvt_f16_f32_e32 v1, v62
	v_cvt_f16_f32_e32 v10, v63
	v_cvt_f16_f32_e32 v14, v64
	v_cvt_f16_f32_e32 v15, v65
	v_cvt_f32_f16_e32 v62, v12
	v_pack_b32_f16 v10, v1, v10
	v_cvt_f32_f16_sdwa v63, v12 dst_sel:DWORD dst_unused:UNUSED_PAD src0_sel:WORD_1
	v_pack_b32_f16 v1, v14, v15
	ds_read_u16 v14, v182 offset:176
	ds_read_u16 v15, v182 offset:352
	v_cvt_f32_f16_e32 v64, v3
	v_cvt_f32_f16_sdwa v65, v3 dst_sel:DWORD dst_unused:UNUSED_PAD src0_sel:WORD_1
	s_waitcnt lgkmcnt(1)
	v_perm_b32 v14, v14, v67, s77
	s_waitcnt lgkmcnt(0)
	v_perm_b32 v15, v66, v15, s77
	ds_read_u16 v66, v108 offset:5632
	ds_read_u16 v67, v109 offset:176
	;; [unrolled: 1-line block ×4, first 2 shown]
	v_mfma_f32_16x16x16_f16 v[62:65], v[14:15], v[8:9], v[62:65]
	s_nop 6
	v_cvt_f16_f32_e32 v14, v64
	v_cvt_f16_f32_e32 v15, v65
	;; [unrolled: 1-line block ×4, first 2 shown]
	v_cvt_f32_f16_e32 v64, v14
	v_cvt_f32_f16_e32 v65, v15
	s_waitcnt lgkmcnt(0)
	v_perm_b32 v15, v69, v68, s77
	v_perm_b32 v14, v67, v66, s77
	v_cvt_f32_f16_e32 v62, v3
	v_cvt_f32_f16_e32 v63, v12
	s_nop 1
	v_mfma_f32_16x16x16_f16 v[62:65], v[14:15], v[6:7], v[62:65]
	s_nop 6
	v_cvt_f16_f32_e32 v3, v62
	v_cvt_f16_f32_e32 v12, v63
	;; [unrolled: 1-line block ×4, first 2 shown]
	v_cvt_f32_f16_e32 v62, v21
	v_pack_b32_f16 v12, v3, v12
	v_cvt_f32_f16_sdwa v63, v21 dst_sel:DWORD dst_unused:UNUSED_PAD src0_sel:WORD_1
	v_pack_b32_f16 v3, v14, v15
	ds_read_u16 v14, v105 offset:64
	ds_read_u16 v66, v183 offset:176
	;; [unrolled: 1-line block ×4, first 2 shown]
	v_cvt_f32_f16_e32 v64, v11
	v_cvt_f32_f16_sdwa v65, v11 dst_sel:DWORD dst_unused:UNUSED_PAD src0_sel:WORD_1
	s_waitcnt lgkmcnt(2)
	v_perm_b32 v14, v66, v14, s77
	s_waitcnt lgkmcnt(0)
	v_perm_b32 v15, v67, v15, s77
	ds_read_u16 v66, v111 offset:5632
	ds_read_u16 v67, v112 offset:176
	;; [unrolled: 1-line block ×4, first 2 shown]
	v_mfma_f32_16x16x16_f16 v[62:65], v[14:15], v[8:9], v[62:65]
	s_nop 6
	v_cvt_f16_f32_e32 v14, v63
	v_cvt_f16_f32_e32 v15, v64
	;; [unrolled: 1-line block ×4, first 2 shown]
	v_cvt_f32_f16_e32 v63, v14
	v_cvt_f32_f16_e32 v64, v15
	s_waitcnt lgkmcnt(0)
	v_perm_b32 v15, v69, v68, s77
	v_perm_b32 v14, v67, v66, s77
	v_cvt_f32_f16_e32 v62, v11
	v_cvt_f32_f16_e32 v65, v21
	s_nop 1
	v_mfma_f32_16x16x16_f16 v[62:65], v[14:15], v[6:7], v[62:65]
	s_nop 6
	v_cvt_f16_f32_e32 v11, v62
	v_cvt_f16_f32_e32 v14, v63
	;; [unrolled: 1-line block ×4, first 2 shown]
	v_cvt_f32_f16_e32 v62, v16
	v_pack_b32_f16 v14, v11, v14
	v_cvt_f32_f16_sdwa v63, v16 dst_sel:DWORD dst_unused:UNUSED_PAD src0_sel:WORD_1
	v_pack_b32_f16 v11, v15, v21
	ds_read_u16 v15, v105 offset:96
	ds_read_u16 v21, v184 offset:176
	;; [unrolled: 1-line block ×4, first 2 shown]
	v_cvt_f32_f16_e32 v64, v13
	v_cvt_f32_f16_sdwa v65, v13 dst_sel:DWORD dst_unused:UNUSED_PAD src0_sel:WORD_1
	s_waitcnt lgkmcnt(0)
	v_perm_b32 v67, v67, v66, s77
	v_perm_b32 v66, v21, v15, s77
	s_nop 1
	v_mfma_f32_16x16x16_f16 v[62:65], v[66:67], v[8:9], v[62:65]
	ds_read_u16 v66, v114 offset:5632
	ds_read_u16 v68, v115 offset:176
	;; [unrolled: 1-line block ×4, first 2 shown]
	s_nop 2
	v_cvt_f16_f32_e32 v13, v62
	v_cvt_f16_f32_e32 v15, v63
	;; [unrolled: 1-line block ×4, first 2 shown]
	s_waitcnt lgkmcnt(0)
	v_perm_b32 v67, v69, v67, s77
	v_perm_b32 v66, v68, v66, s77
	v_cvt_f32_f16_e32 v62, v13
	v_cvt_f32_f16_e32 v63, v15
	v_cvt_f32_f16_e32 v64, v16
	v_cvt_f32_f16_e32 v65, v21
	s_nop 1
	v_mfma_f32_16x16x16_f16 v[62:65], v[66:67], v[6:7], v[62:65]
	s_nop 6
	v_cvt_f16_f32_e32 v13, v62
	v_cvt_f16_f32_e32 v15, v63
	;; [unrolled: 1-line block ×4, first 2 shown]
	v_cvt_f32_f16_sdwa v63, v20 dst_sel:DWORD dst_unused:UNUSED_PAD src0_sel:WORD_1
	v_pack_b32_f16 v16, v13, v15
	v_cvt_f32_f16_e32 v64, v19
	v_pack_b32_f16 v13, v21, v62
	ds_read_u16 v15, v105 offset:128
	ds_read_u16 v66, v185 offset:176
	;; [unrolled: 1-line block ×4, first 2 shown]
	v_cvt_f32_f16_e32 v62, v20
	v_cvt_f32_f16_sdwa v65, v19 dst_sel:DWORD dst_unused:UNUSED_PAD src0_sel:WORD_1
	s_waitcnt lgkmcnt(2)
	v_perm_b32 v20, v66, v15, s77
	s_waitcnt lgkmcnt(0)
	v_perm_b32 v21, v67, v21, s77
	s_nop 1
	v_mfma_f32_16x16x16_f16 v[62:65], v[20:21], v[8:9], v[62:65]
	ds_read_u16 v20, v117 offset:5632
	ds_read_u16 v21, v118 offset:176
	ds_read_u16 v66, v118 offset:352
	ds_read_u16 v67, v119 offset:5632
	s_waitcnt lgkmcnt(0)
	s_barrier
	s_nop 0
	v_cvt_f16_f32_e32 v8, v62
	v_cvt_f16_f32_e32 v9, v63
	;; [unrolled: 1-line block ×4, first 2 shown]
	v_cvt_f32_f16_e32 v62, v8
	v_cvt_f32_f16_e32 v63, v9
	v_perm_b32 v9, v67, v66, s77
	v_perm_b32 v8, v21, v20, s77
	v_cvt_f32_f16_e32 v64, v15
	v_cvt_f32_f16_e32 v65, v19
	s_nop 1
	v_mfma_f32_16x16x16_f16 v[6:9], v[8:9], v[6:7], v[62:65]
	s_nop 6
	v_cvt_f16_f32_e32 v6, v6
	v_cvt_f16_f32_e32 v7, v7
	;; [unrolled: 1-line block ×4, first 2 shown]
	v_pack_b32_f16 v6, v6, v7
	v_pack_b32_f16 v7, v8, v9
	ds_bpermute_b32 v8, v18, v5
	s_waitcnt lgkmcnt(0)
	v_add_f32_e32 v5, v5, v8
	ds_bpermute_b32 v8, v17, v5
	s_waitcnt lgkmcnt(0)
	v_add_f32_e32 v5, v5, v8
	s_and_saveexec_b64 s[26:27], s[2:3]
	s_xor_b64 s[26:27], exec, s[26:27]
	s_andn2_saveexec_b64 s[26:27], s[26:27]
	s_cbranch_execz .LBB9_182
; %bb.181:                              ;   in Loop: Header=BB9_12 Depth=1
	global_load_dword v9, v2, s[28:29]
	v_max_f32_e32 v15, v4, v4
	s_waitcnt vmcnt(0)
	v_max_f32_e32 v8, v9, v9
	v_max_f32_e32 v8, v15, v8
	v_sub_f32_e32 v4, v4, v8
	v_mul_f32_e32 v15, 0x3fb8aa3b, v4
	v_fma_f32 v18, v4, s73, -v15
	v_rndne_f32_e32 v19, v15
	v_fmac_f32_e32 v18, 0x32a5705f, v4
	v_sub_f32_e32 v15, v15, v19
	v_add_f32_e32 v15, v15, v18
	v_exp_f32_e32 v15, v15
	v_cvt_i32_f32_e32 v18, v19
	v_cmp_ngt_f32_e32 vcc, s99, v4
	v_sub_f32_e32 v9, v9, v8
	v_ldexp_f32 v15, v15, v18
	v_cndmask_b32_e32 v15, 0, v15, vcc
	v_cmp_nlt_f32_e32 vcc, s82, v4
	s_nop 1
	v_cndmask_b32_e32 v15, v197, v15, vcc
	v_cmp_le_f32_e32 vcc, s24, v4
	s_nop 1
	v_cndmask_b32_e32 v4, 0, v15, vcc
	v_cvt_f16_f32_e32 v15, v4
	v_cmp_ngt_f32_e32 vcc, s99, v9
	v_pk_mul_f16 v10, v15, v10 op_sel_hi:[0,1]
	v_pk_mul_f16 v1, v15, v1 op_sel_hi:[0,1]
	;; [unrolled: 1-line block ×10, first 2 shown]
	v_mul_f32_e32 v15, 0x3fb8aa3b, v9
	v_fma_f32 v18, v9, s73, -v15
	v_rndne_f32_e32 v19, v15
	v_fmac_f32_e32 v18, 0x32a5705f, v9
	v_sub_f32_e32 v15, v15, v19
	v_add_f32_e32 v15, v15, v18
	v_exp_f32_e32 v15, v15
	v_cvt_i32_f32_e32 v18, v19
	v_ldexp_f32 v15, v15, v18
	v_cndmask_b32_e32 v15, 0, v15, vcc
	v_cmp_nlt_f32_e32 vcc, s82, v9
	s_nop 1
	v_cndmask_b32_e32 v9, v197, v15, vcc
	v_fmac_f32_e32 v9, v5, v4
	v_mov_b64_e32 v[4:5], v[8:9]
.LBB9_182:                              ;   in Loop: Header=BB9_12 Depth=1
	s_or_b64 exec, exec, s[26:27]
	s_mov_b64 s[2:3], exec
	v_readlane_b32 s26, v220, 8
	v_readlane_b32 s27, v220, 9
	s_and_b64 s[26:27], s[2:3], s[26:27]
	s_mov_b64 exec, s[26:27]
	s_cbranch_execz .LBB9_184
; %bb.183:                              ;   in Loop: Header=BB9_12 Depth=1
	v_add_u32_e32 v8, 0, v143
	ds_write2_b32 v8, v4, v5 offset0:40 offset1:41
.LBB9_184:                              ;   in Loop: Header=BB9_12 Depth=1
	s_or_b64 exec, exec, s[2:3]
	s_waitcnt lgkmcnt(0)
	s_barrier
	s_mov_b64 s[2:3], exec
	v_readlane_b32 s26, v220, 6
	v_readlane_b32 s27, v220, 7
	s_and_b64 s[26:27], s[2:3], s[26:27]
	s_xor_b64 s[2:3], s[26:27], s[2:3]
	s_mov_b64 exec, s[26:27]
	s_cbranch_execz .LBB9_186
; %bb.185:                              ;   in Loop: Header=BB9_12 Depth=1
	s_barrier
	s_waitcnt lgkmcnt(0)
                                        ; implicit-def: $vgpr17
.LBB9_186:                              ;   in Loop: Header=BB9_12 Depth=1
	s_andn2_saveexec_b64 s[26:27], s[2:3]
	s_cbranch_execz .LBB9_190
; %bb.187:                              ;   in Loop: Header=BB9_12 Depth=1
	v_add_u32_e32 v8, 0, v144
	ds_read_b64 v[4:5], v8 offset:160
	s_waitcnt lgkmcnt(0)
	s_barrier
	ds_bpermute_b32 v9, v17, v4
	v_max_f32_e32 v15, v4, v4
	s_waitcnt lgkmcnt(0)
	v_max_f32_e32 v9, v9, v9
	v_max_f32_e32 v9, v15, v9
	v_sub_f32_e32 v4, v4, v9
	v_mul_f32_e32 v9, 0x3fb8aa3b, v4
	v_fma_f32 v15, v4, s73, -v9
	v_rndne_f32_e32 v18, v9
	v_fmac_f32_e32 v15, 0x32a5705f, v4
	v_sub_f32_e32 v9, v9, v18
	v_add_f32_e32 v9, v9, v15
	v_cvt_i32_f32_e32 v18, v18
	v_exp_f32_e32 v9, v9
	v_cmp_ngt_f32_e32 vcc, s99, v4
	v_ldexp_f32 v9, v9, v18
	s_nop 0
	v_cndmask_b32_e32 v9, 0, v9, vcc
	v_cmp_nlt_f32_e32 vcc, s82, v4
	s_nop 1
	v_cndmask_b32_e32 v4, v197, v9, vcc
	v_mul_f32_e32 v5, v5, v4
	ds_bpermute_b32 v9, v17, v5
	s_mov_b64 s[2:3], exec
	v_readlane_b32 s28, v220, 10
	v_readlane_b32 s29, v220, 11
	s_and_b64 s[28:29], s[2:3], s[28:29]
	s_mov_b64 exec, s[28:29]
	s_cbranch_execz .LBB9_189
; %bb.188:                              ;   in Loop: Header=BB9_12 Depth=1
	s_waitcnt lgkmcnt(0)
	v_add_f32_e32 v5, v5, v9
	ds_write_b64 v8, v[4:5] offset:160
.LBB9_189:                              ;   in Loop: Header=BB9_12 Depth=1
	s_or_b64 exec, exec, s[2:3]
.LBB9_190:                              ;   in Loop: Header=BB9_12 Depth=1
	s_or_b64 exec, exec, s[26:27]
	ds_write2_b32 v145, v10, v1 offset1:1
	ds_write2_b32 v145, v12, v3 offset0:8 offset1:9
	ds_write2_b32 v145, v14, v11 offset0:16 offset1:17
	ds_write2_b32 v145, v16, v13 offset0:24 offset1:25
	ds_write2_b32 v145, v6, v7 offset0:32 offset1:33
	s_waitcnt lgkmcnt(0)
	s_barrier
	s_and_saveexec_b64 s[28:29], s[34:35]
	s_cbranch_execz .LBB9_10
; %bb.191:                              ;   in Loop: Header=BB9_12 Depth=1
	v_add_u32_e32 v1, s93, v121
	v_cmp_gt_i32_e32 vcc, s72, v1
	v_mov_b32_e32 v3, 0x47
	s_and_saveexec_b64 s[26:27], vcc
	s_cbranch_execz .LBB9_193
; %bb.192:                              ;   in Loop: Header=BB9_12 Depth=1
	v_add_u32_e32 v3, 0, v147
	ds_read2_b32 v[4:5], v3 offset0:40 offset1:41
	ds_read2st64_b32 v[6:7], v148 offset1:11
	ds_read_b32 v8, v3 offset:2976
	v_readlane_b32 s2, v221, 58
	s_waitcnt lgkmcnt(1)
	v_cvt_f32_f16_sdwa v13, v6 dst_sel:DWORD dst_unused:UNUSED_PAD src0_sel:WORD_1
	v_cvt_f32_f16_e32 v12, v6
	v_cvt_f32_f16_sdwa v15, v7 dst_sel:DWORD dst_unused:UNUSED_PAD src0_sel:WORD_1
	v_cvt_f32_f16_e32 v14, v7
	v_mad_u64_u32 v[10:11], s[2:3], v1, s2, v[44:45]
	v_pk_fma_f32 v[12:13], v[4:5], v[12:13], 0 op_sel_hi:[0,1,0]
	s_waitcnt lgkmcnt(0)
	v_pk_fma_f32 v[6:7], v[8:9], v[14:15], v[12:13] op_sel_hi:[0,1,1]
	v_div_scale_f32 v1, s[2:3], v5, v5, v7
	v_rcp_f32_e32 v3, v1
	v_ashrrev_i32_e32 v11, 31, v10
	v_lshl_add_u64 v[10:11], v[10:11], 3, s[62:63]
	v_fma_f32 v4, -v1, v3, 1.0
	v_fmac_f32_e32 v3, v4, v3
	v_div_scale_f32 v4, vcc, v7, v5, v7
	v_mul_f32_e32 v8, v4, v3
	v_fma_f32 v9, -v1, v8, v4
	v_fmac_f32_e32 v8, v9, v3
	v_fma_f32 v1, -v1, v8, v4
	v_div_fmas_f32 v1, v1, v3, v8
	v_div_fixup_f32 v7, v1, v5, v7
	v_div_scale_f32 v1, s[2:3], v5, v5, v6
	v_rcp_f32_e32 v3, v1
	s_nop 0
	v_fma_f32 v4, -v1, v3, 1.0
	v_fmac_f32_e32 v3, v4, v3
	v_div_scale_f32 v4, vcc, v6, v5, v6
	v_mul_f32_e32 v8, v4, v3
	v_fma_f32 v9, -v1, v8, v4
	v_fmac_f32_e32 v8, v9, v3
	v_fma_f32 v1, -v1, v8, v4
	v_div_fmas_f32 v1, v1, v3, v8
	v_div_fixup_f32 v6, v1, v5, v6
	v_mov_b32_e32 v3, 0
	global_store_dwordx2 v[10:11], v[6:7], off
.LBB9_193:                              ;   in Loop: Header=BB9_12 Depth=1
	s_or_b64 exec, exec, s[26:27]
	s_movk_i32 s2, 0x47
	v_cmp_gt_i32_e32 vcc, s2, v3
	s_mov_b64 s[2:3], -1
	s_and_saveexec_b64 s[26:27], vcc
; %bb.194:                              ;   in Loop: Header=BB9_12 Depth=1
	v_cmp_eq_u32_e32 vcc, 0, v3
	s_orn2_b64 s[2:3], vcc, exec
; %bb.195:                              ;   in Loop: Header=BB9_12 Depth=1
	s_or_b64 exec, exec, s[26:27]
	s_and_saveexec_b64 s[34:35], s[2:3]
	s_cbranch_execz .LBB9_228
; %bb.196:                              ;   in Loop: Header=BB9_12 Depth=1
	v_add_u32_e32 v1, s93, v123
	v_cmp_gt_i32_e32 vcc, s72, v1
	v_mov_b32_e32 v3, 0x47
	s_and_saveexec_b64 s[26:27], vcc
	s_cbranch_execz .LBB9_198
; %bb.197:                              ;   in Loop: Header=BB9_12 Depth=1
	v_add_u32_e32 v3, 0, v149
	ds_read2_b32 v[4:5], v3 offset0:40 offset1:41
	ds_read2st64_b32 v[6:7], v150 offset1:11
	ds_read_b32 v8, v3 offset:2976
	v_readlane_b32 s2, v221, 58
	s_waitcnt lgkmcnt(1)
	v_cvt_f32_f16_sdwa v13, v6 dst_sel:DWORD dst_unused:UNUSED_PAD src0_sel:WORD_1
	v_cvt_f32_f16_e32 v12, v6
	v_cvt_f32_f16_sdwa v15, v7 dst_sel:DWORD dst_unused:UNUSED_PAD src0_sel:WORD_1
	v_cvt_f32_f16_e32 v14, v7
	v_mad_u64_u32 v[10:11], s[2:3], v1, s2, v[44:45]
	v_pk_fma_f32 v[12:13], v[4:5], v[12:13], 0 op_sel_hi:[0,1,0]
	s_waitcnt lgkmcnt(0)
	v_pk_fma_f32 v[6:7], v[8:9], v[14:15], v[12:13] op_sel_hi:[0,1,1]
	v_div_scale_f32 v1, s[2:3], v5, v5, v7
	v_rcp_f32_e32 v3, v1
	v_ashrrev_i32_e32 v11, 31, v10
	v_lshl_add_u64 v[10:11], v[10:11], 3, s[62:63]
	v_fma_f32 v4, -v1, v3, 1.0
	v_fmac_f32_e32 v3, v4, v3
	v_div_scale_f32 v4, vcc, v7, v5, v7
	v_mul_f32_e32 v8, v4, v3
	v_fma_f32 v9, -v1, v8, v4
	v_fmac_f32_e32 v8, v9, v3
	v_fma_f32 v1, -v1, v8, v4
	v_div_fmas_f32 v1, v1, v3, v8
	v_div_fixup_f32 v7, v1, v5, v7
	v_div_scale_f32 v1, s[2:3], v5, v5, v6
	v_rcp_f32_e32 v3, v1
	s_nop 0
	v_fma_f32 v4, -v1, v3, 1.0
	v_fmac_f32_e32 v3, v4, v3
	v_div_scale_f32 v4, vcc, v6, v5, v6
	v_mul_f32_e32 v8, v4, v3
	v_fma_f32 v9, -v1, v8, v4
	v_fmac_f32_e32 v8, v9, v3
	v_fma_f32 v1, -v1, v8, v4
	v_div_fmas_f32 v1, v1, v3, v8
	v_div_fixup_f32 v6, v1, v5, v6
	v_mov_b32_e32 v3, 0
	global_store_dwordx2 v[10:11], v[6:7], off
.LBB9_198:                              ;   in Loop: Header=BB9_12 Depth=1
	s_or_b64 exec, exec, s[26:27]
	s_movk_i32 s2, 0x47
	v_cmp_gt_i32_e32 vcc, s2, v3
	s_mov_b64 s[2:3], -1
	s_and_saveexec_b64 s[26:27], vcc
; %bb.199:                              ;   in Loop: Header=BB9_12 Depth=1
	v_cmp_eq_u32_e32 vcc, 0, v3
	s_orn2_b64 s[2:3], vcc, exec
; %bb.200:                              ;   in Loop: Header=BB9_12 Depth=1
	s_or_b64 exec, exec, s[26:27]
	s_and_b64 exec, exec, s[2:3]
	s_cbranch_execz .LBB9_228
; %bb.201:                              ;   in Loop: Header=BB9_12 Depth=1
	v_add_u32_e32 v1, s93, v124
	v_cmp_gt_i32_e32 vcc, s72, v1
	v_mov_b32_e32 v3, 0x47
	s_and_saveexec_b64 s[26:27], vcc
	s_cbranch_execz .LBB9_203
; %bb.202:                              ;   in Loop: Header=BB9_12 Depth=1
	v_add_u32_e32 v3, 0, v151
	ds_read2_b32 v[4:5], v3 offset0:40 offset1:41
	ds_read2st64_b32 v[6:7], v152 offset1:11
	ds_read_b32 v8, v3 offset:2976
	v_readlane_b32 s2, v221, 58
	s_waitcnt lgkmcnt(1)
	v_cvt_f32_f16_sdwa v13, v6 dst_sel:DWORD dst_unused:UNUSED_PAD src0_sel:WORD_1
	v_cvt_f32_f16_e32 v12, v6
	v_cvt_f32_f16_sdwa v15, v7 dst_sel:DWORD dst_unused:UNUSED_PAD src0_sel:WORD_1
	v_cvt_f32_f16_e32 v14, v7
	v_mad_u64_u32 v[10:11], s[2:3], v1, s2, v[44:45]
	v_pk_fma_f32 v[12:13], v[4:5], v[12:13], 0 op_sel_hi:[0,1,0]
	s_waitcnt lgkmcnt(0)
	v_pk_fma_f32 v[6:7], v[8:9], v[14:15], v[12:13] op_sel_hi:[0,1,1]
	v_div_scale_f32 v1, s[2:3], v5, v5, v7
	v_rcp_f32_e32 v3, v1
	v_ashrrev_i32_e32 v11, 31, v10
	v_lshl_add_u64 v[10:11], v[10:11], 3, s[62:63]
	v_fma_f32 v4, -v1, v3, 1.0
	v_fmac_f32_e32 v3, v4, v3
	v_div_scale_f32 v4, vcc, v7, v5, v7
	v_mul_f32_e32 v8, v4, v3
	v_fma_f32 v9, -v1, v8, v4
	v_fmac_f32_e32 v8, v9, v3
	v_fma_f32 v1, -v1, v8, v4
	v_div_fmas_f32 v1, v1, v3, v8
	v_div_fixup_f32 v7, v1, v5, v7
	v_div_scale_f32 v1, s[2:3], v5, v5, v6
	v_rcp_f32_e32 v3, v1
	s_nop 0
	v_fma_f32 v4, -v1, v3, 1.0
	v_fmac_f32_e32 v3, v4, v3
	v_div_scale_f32 v4, vcc, v6, v5, v6
	v_mul_f32_e32 v8, v4, v3
	v_fma_f32 v9, -v1, v8, v4
	v_fmac_f32_e32 v8, v9, v3
	v_fma_f32 v1, -v1, v8, v4
	v_div_fmas_f32 v1, v1, v3, v8
	v_div_fixup_f32 v6, v1, v5, v6
	v_mov_b32_e32 v3, 0
	global_store_dwordx2 v[10:11], v[6:7], off
.LBB9_203:                              ;   in Loop: Header=BB9_12 Depth=1
	s_or_b64 exec, exec, s[26:27]
	s_movk_i32 s2, 0x47
	v_cmp_gt_i32_e32 vcc, s2, v3
	s_mov_b64 s[2:3], -1
	s_and_saveexec_b64 s[26:27], vcc
; %bb.204:                              ;   in Loop: Header=BB9_12 Depth=1
	v_cmp_eq_u32_e32 vcc, 0, v3
	s_orn2_b64 s[2:3], vcc, exec
; %bb.205:                              ;   in Loop: Header=BB9_12 Depth=1
	s_or_b64 exec, exec, s[26:27]
	s_and_b64 exec, exec, s[2:3]
	;; [unrolled: 61-line block ×6, first 2 shown]
	s_cbranch_execz .LBB9_228
; %bb.226:                              ;   in Loop: Header=BB9_12 Depth=1
	v_add_u32_e32 v1, s93, v129
	v_cmp_gt_i32_e32 vcc, s72, v1
	s_and_b64 exec, exec, vcc
	s_cbranch_execz .LBB9_228
; %bb.227:                              ;   in Loop: Header=BB9_12 Depth=1
	v_add_u32_e32 v3, 0, v161
	ds_read2_b32 v[4:5], v3 offset0:40 offset1:41
	ds_read2st64_b32 v[6:7], v162 offset1:11
	ds_read_b32 v8, v3 offset:2976
	v_readlane_b32 s2, v221, 58
	s_waitcnt lgkmcnt(1)
	v_cvt_f32_f16_sdwa v13, v6 dst_sel:DWORD dst_unused:UNUSED_PAD src0_sel:WORD_1
	v_cvt_f32_f16_e32 v12, v6
	v_cvt_f32_f16_sdwa v15, v7 dst_sel:DWORD dst_unused:UNUSED_PAD src0_sel:WORD_1
	v_cvt_f32_f16_e32 v14, v7
	v_mad_u64_u32 v[10:11], s[2:3], v1, s2, v[44:45]
	v_pk_fma_f32 v[12:13], v[4:5], v[12:13], 0 op_sel_hi:[0,1,0]
	s_waitcnt lgkmcnt(0)
	v_pk_fma_f32 v[6:7], v[8:9], v[14:15], v[12:13] op_sel_hi:[0,1,1]
	v_div_scale_f32 v1, s[2:3], v5, v5, v7
	v_rcp_f32_e32 v3, v1
	v_ashrrev_i32_e32 v11, 31, v10
	v_lshl_add_u64 v[10:11], v[10:11], 3, s[62:63]
	v_fma_f32 v4, -v1, v3, 1.0
	v_fmac_f32_e32 v3, v4, v3
	v_div_scale_f32 v4, vcc, v7, v5, v7
	v_mul_f32_e32 v8, v4, v3
	v_fma_f32 v9, -v1, v8, v4
	v_fmac_f32_e32 v8, v9, v3
	v_fma_f32 v1, -v1, v8, v4
	v_div_fmas_f32 v1, v1, v3, v8
	v_div_fixup_f32 v7, v1, v5, v7
	v_div_scale_f32 v1, s[2:3], v5, v5, v6
	v_rcp_f32_e32 v3, v1
	s_nop 0
	v_fma_f32 v4, -v1, v3, 1.0
	v_fmac_f32_e32 v3, v4, v3
	v_div_scale_f32 v4, vcc, v6, v5, v6
	v_mul_f32_e32 v8, v4, v3
	v_fma_f32 v9, -v1, v8, v4
	v_fmac_f32_e32 v8, v9, v3
	v_fma_f32 v1, -v1, v8, v4
	v_div_fmas_f32 v1, v1, v3, v8
	v_div_fixup_f32 v6, v1, v5, v6
	global_store_dwordx2 v[10:11], v[6:7], off
.LBB9_228:                              ;   in Loop: Header=BB9_12 Depth=1
	s_or_b64 exec, exec, s[34:35]
	v_add_u32_e32 v3, s93, v122
	v_cmp_gt_i32_e32 vcc, s72, v3
	v_mov_b32_e32 v1, 0x47
	s_and_saveexec_b64 s[26:27], vcc
	s_cbranch_execz .LBB9_230
; %bb.229:                              ;   in Loop: Header=BB9_12 Depth=1
	v_readlane_b32 s2, v221, 58
	v_add_u32_e32 v1, 0, v163
	ds_read2_b32 v[6:7], v1 offset0:40 offset1:41
	v_mul_lo_u32 v4, v3, s2
	v_add_u32_e32 v3, 0x80, v164
	ds_read2st64_b32 v[8:9], v3 offset1:11
	ds_read_b32 v10, v1 offset:2976
	v_ashrrev_i32_e32 v5, 31, v4
	v_lshl_add_u64 v[4:5], v[4:5], 0, v[28:29]
	v_lshl_add_u64 v[4:5], v[4:5], 3, s[62:63]
	s_waitcnt lgkmcnt(1)
	v_cvt_f32_f16_sdwa v13, v8 dst_sel:DWORD dst_unused:UNUSED_PAD src0_sel:WORD_1
	v_cvt_f32_f16_e32 v12, v8
	v_cvt_f32_f16_sdwa v15, v9 dst_sel:DWORD dst_unused:UNUSED_PAD src0_sel:WORD_1
	v_cvt_f32_f16_e32 v14, v9
	v_pk_fma_f32 v[12:13], v[6:7], v[12:13], 0 op_sel_hi:[0,1,0]
	s_waitcnt lgkmcnt(0)
	v_pk_fma_f32 v[8:9], v[10:11], v[14:15], v[12:13] op_sel_hi:[0,1,1]
	v_div_scale_f32 v1, s[2:3], v7, v7, v9
	v_rcp_f32_e32 v3, v1
	s_nop 0
	v_fma_f32 v6, -v1, v3, 1.0
	v_fmac_f32_e32 v3, v6, v3
	v_div_scale_f32 v6, vcc, v9, v7, v9
	v_mul_f32_e32 v10, v6, v3
	v_fma_f32 v11, -v1, v10, v6
	v_fmac_f32_e32 v10, v11, v3
	v_fma_f32 v1, -v1, v10, v6
	v_div_fmas_f32 v1, v1, v3, v10
	v_div_fixup_f32 v9, v1, v7, v9
	v_div_scale_f32 v1, s[2:3], v7, v7, v8
	v_rcp_f32_e32 v3, v1
	s_nop 0
	v_fma_f32 v6, -v1, v3, 1.0
	v_fmac_f32_e32 v3, v6, v3
	v_div_scale_f32 v6, vcc, v8, v7, v8
	v_mul_f32_e32 v10, v6, v3
	v_fma_f32 v11, -v1, v10, v6
	v_fmac_f32_e32 v10, v11, v3
	v_fma_f32 v1, -v1, v10, v6
	v_div_fmas_f32 v1, v1, v3, v10
	v_div_fixup_f32 v8, v1, v7, v8
	v_mov_b32_e32 v1, 0
	global_store_dwordx2 v[4:5], v[8:9], off offset:256
.LBB9_230:                              ;   in Loop: Header=BB9_12 Depth=1
	s_or_b64 exec, exec, s[26:27]
	s_movk_i32 s2, 0x47
	v_cmp_gt_i32_e32 vcc, s2, v1
	s_mov_b64 s[2:3], -1
	s_and_saveexec_b64 s[26:27], vcc
; %bb.231:                              ;   in Loop: Header=BB9_12 Depth=1
	v_cmp_eq_u32_e32 vcc, 0, v1
	s_orn2_b64 s[2:3], vcc, exec
; %bb.232:                              ;   in Loop: Header=BB9_12 Depth=1
	s_or_b64 exec, exec, s[26:27]
	s_and_b64 exec, exec, s[2:3]
	s_cbranch_execz .LBB9_10
; %bb.233:                              ;   in Loop: Header=BB9_12 Depth=1
	v_add_u32_e32 v1, s93, v130
	v_cmp_gt_i32_e32 vcc, s72, v1
	s_and_b64 exec, exec, vcc
	s_cbranch_execz .LBB9_10
; %bb.234:                              ;   in Loop: Header=BB9_12 Depth=1
	v_readlane_b32 s2, v221, 58
	v_add_u32_e32 v3, 0x80, v166
	s_nop 0
	v_mul_lo_u32 v4, v1, s2
	v_add_u32_e32 v1, 0, v165
	ds_read2_b32 v[6:7], v1 offset0:40 offset1:41
	ds_read2st64_b32 v[8:9], v3 offset1:11
	ds_read_b32 v10, v1 offset:2976
	v_ashrrev_i32_e32 v5, 31, v4
	v_lshl_add_u64 v[4:5], v[4:5], 0, v[28:29]
	v_lshl_add_u64 v[4:5], v[4:5], 3, s[62:63]
	s_waitcnt lgkmcnt(1)
	v_cvt_f32_f16_sdwa v13, v8 dst_sel:DWORD dst_unused:UNUSED_PAD src0_sel:WORD_1
	v_cvt_f32_f16_e32 v12, v8
	v_cvt_f32_f16_sdwa v15, v9 dst_sel:DWORD dst_unused:UNUSED_PAD src0_sel:WORD_1
	v_cvt_f32_f16_e32 v14, v9
	v_pk_fma_f32 v[12:13], v[6:7], v[12:13], 0 op_sel_hi:[0,1,0]
	s_waitcnt lgkmcnt(0)
	v_pk_fma_f32 v[8:9], v[10:11], v[14:15], v[12:13] op_sel_hi:[0,1,1]
	v_div_scale_f32 v1, s[2:3], v7, v7, v9
	v_rcp_f32_e32 v3, v1
	s_nop 0
	v_fma_f32 v6, -v1, v3, 1.0
	v_fmac_f32_e32 v3, v6, v3
	v_div_scale_f32 v6, vcc, v9, v7, v9
	v_mul_f32_e32 v10, v6, v3
	v_fma_f32 v11, -v1, v10, v6
	v_fmac_f32_e32 v10, v11, v3
	v_fma_f32 v1, -v1, v10, v6
	v_div_fmas_f32 v1, v1, v3, v10
	v_div_fixup_f32 v9, v1, v7, v9
	v_div_scale_f32 v1, s[2:3], v7, v7, v8
	v_rcp_f32_e32 v3, v1
	s_nop 0
	v_fma_f32 v6, -v1, v3, 1.0
	v_fmac_f32_e32 v3, v6, v3
	v_div_scale_f32 v6, vcc, v8, v7, v8
	v_mul_f32_e32 v10, v6, v3
	v_fma_f32 v11, -v1, v10, v6
	v_fmac_f32_e32 v10, v11, v3
	v_fma_f32 v1, -v1, v10, v6
	v_div_fmas_f32 v1, v1, v3, v10
	v_div_fixup_f32 v8, v1, v7, v8
	global_store_dwordx2 v[4:5], v[8:9], off offset:256
	s_branch .LBB9_10
.LBB9_235:
	v_readlane_b32 s51, v221, 54
	v_readlane_b32 s54, v221, 44
	v_readlane_b32 s76, v220, 12
	v_readlane_b32 s34, v221, 55
	v_readlane_b32 s77, v220, 13
	v_readlane_b32 s35, v221, 56
.LBB9_236:
	v_readlane_b32 s36, v221, 40
	v_readlane_b32 s37, v221, 41
	v_readlane_b32 s38, v221, 42
	v_readlane_b32 s39, v221, 43
	s_andn2_b64 vcc, exec, s[26:27]
	s_cbranch_vccnz .LBB9_321
; %bb.237:
	v_readlane_b32 s6, v221, 7
	s_abs_i32 s0, s6
	v_cvt_f32_u32_e32 v1, s0
	s_sub_i32 s3, 0, s0
	s_abs_i32 s2, s98
	s_xor_b32 s1, s98, s6
	v_rcp_iflag_f32_e32 v1, v1
	s_ashr_i32 s1, s1, 31
	v_readlane_b32 s10, v221, 6
	v_readlane_b32 s7, v221, 3
	v_mul_f32_e32 v1, 0x4f7ffffe, v1
	v_cvt_u32_f32_e32 v1, v1
	v_readlane_b32 s16, v221, 24
	v_readlane_b32 s22, v221, 30
	;; [unrolled: 1-line block ×3, first 2 shown]
	v_readfirstlane_b32 s4, v1
	s_mul_i32 s3, s3, s4
	s_mul_hi_u32 s3, s4, s3
	s_add_i32 s4, s4, s3
	s_mul_hi_u32 s3, s2, s4
	s_mul_i32 s4, s3, s0
	s_sub_i32 s2, s2, s4
	s_add_i32 s5, s3, 1
	s_sub_i32 s4, s2, s0
	s_cmp_ge_u32 s2, s0
	s_cselect_b32 s3, s5, s3
	s_cselect_b32 s2, s4, s2
	s_add_i32 s4, s3, 1
	s_cmp_ge_u32 s2, s0
	s_cselect_b32 s0, s4, s3
	s_abs_i32 s2, s10
	v_cvt_f32_u32_e32 v1, s2
	s_xor_b32 s0, s0, s1
	s_sub_i32 s3, 0, s2
	s_sub_i32 s8, s0, s1
	v_rcp_iflag_f32_e32 v1, v1
	s_mul_i32 s0, s8, s6
	s_sub_i32 s0, s98, s0
	s_abs_i32 s4, s0
	v_mul_f32_e32 v1, 0x4f7ffffe, v1
	v_cvt_u32_f32_e32 v1, v1
	s_xor_b32 s1, s0, s10
	s_ashr_i32 s1, s1, 31
	v_readlane_b32 s17, v221, 25
	v_readfirstlane_b32 s5, v1
	s_mul_i32 s3, s3, s5
	s_mul_hi_u32 s3, s5, s3
	s_add_i32 s5, s5, s3
	s_mul_hi_u32 s3, s4, s5
	s_mul_i32 s5, s3, s2
	s_sub_i32 s4, s4, s5
	s_add_i32 s6, s3, 1
	s_sub_i32 s5, s4, s2
	s_cmp_ge_u32 s4, s2
	s_cselect_b32 s3, s6, s3
	s_cselect_b32 s4, s5, s4
	s_add_i32 s5, s3, 1
	s_cmp_ge_u32 s4, s2
	s_cselect_b32 s2, s5, s3
	s_abs_i32 s3, s7
	v_cvt_f32_u32_e32 v1, s3
	s_xor_b32 s2, s2, s1
	s_sub_i32 s4, 0, s3
	s_sub_i32 s9, s2, s1
	v_rcp_iflag_f32_e32 v1, v1
	s_mul_i32 s1, s9, s10
	s_sub_i32 s1, s0, s1
	s_abs_i32 s2, s1
	v_mul_f32_e32 v1, 0x4f7ffffe, v1
	v_cvt_u32_f32_e32 v1, v1
	s_xor_b32 s0, s1, s7
	s_ashr_i32 s0, s0, 31
	v_readlane_b32 s18, v221, 26
	v_readfirstlane_b32 s5, v1
	s_mul_i32 s4, s4, s5
	s_mul_hi_u32 s4, s5, s4
	s_add_i32 s5, s5, s4
	s_mul_hi_u32 s4, s2, s5
	s_mul_i32 s5, s4, s3
	s_sub_i32 s2, s2, s5
	s_add_i32 s6, s4, 1
	s_sub_i32 s5, s2, s3
	s_cmp_ge_u32 s2, s3
	s_cselect_b32 s4, s6, s4
	s_cselect_b32 s2, s5, s2
	s_add_i32 s5, s4, 1
	s_cmp_ge_u32 s2, s3
	s_cselect_b32 s2, s5, s4
	s_xor_b32 s2, s2, s0
	s_sub_i32 s0, s2, s0
	s_mul_i32 s2, s0, s7
	s_sub_i32 s1, s1, s2
	s_abs_i32 s12, s1
	s_ashr_i32 s10, s8, 31
	s_mul_hi_u32 s11, s12, s41
	s_cmp_eq_u64 s[22:23], 0
	s_mov_b64 s[2:3], 0
	v_readlane_b32 s19, v221, 27
	v_readlane_b32 s20, v221, 28
	;; [unrolled: 1-line block ×11, first 2 shown]
	s_cbranch_scc1 .LBB9_239
; %bb.238:
	s_abs_i32 s2, s34
	v_cvt_f32_u32_e32 v1, s2
	s_sub_i32 s4, 0, s2
	s_abs_i32 s3, s8
	v_readlane_b32 s6, v221, 15
	v_rcp_iflag_f32_e32 v1, v1
	v_readlane_b32 s7, v221, 16
	v_mul_f32_e32 v1, 0x4f7ffffe, v1
	v_cvt_u32_f32_e32 v1, v1
	s_nop 0
	v_readfirstlane_b32 s5, v1
	s_mul_i32 s4, s4, s5
	s_mul_hi_u32 s4, s5, s4
	s_add_i32 s5, s5, s4
	s_mul_hi_u32 s4, s3, s5
	s_mul_i32 s4, s4, s2
	s_sub_i32 s3, s3, s4
	s_sub_i32 s4, s3, s2
	s_cmp_ge_u32 s3, s2
	s_cselect_b32 s3, s4, s3
	s_sub_i32 s4, s3, s2
	s_cmp_ge_u32 s3, s2
	s_cselect_b32 s2, s4, s3
	s_xor_b32 s2, s2, s10
	s_sub_i32 s2, s2, s10
	s_ashr_i32 s3, s2, 31
	s_mul_i32 s4, s2, s7
	s_mul_hi_u32 s5, s2, s6
	s_add_i32 s4, s5, s4
	s_mul_i32 s3, s3, s6
	s_add_i32 s4, s4, s3
	s_mul_i32 s2, s2, s6
	s_add_u32 s2, s22, s2
	s_addc_u32 s3, s23, s4
.LBB9_239:
	s_ashr_i32 s14, s1, 31
	v_readlane_b32 s1, v221, 2
	s_mul_i32 s13, s9, s1
	s_add_i32 s13, s13, s0
	v_cmp_le_f32_e64 s[0:1], s37, 0
	s_and_b64 vcc, exec, s[0:1]
	v_mov_b32_e32 v24, 1.0
	s_cbranch_vccnz .LBB9_241
; %bb.240:
	v_readlane_b32 s1, v221, 12
	s_sub_i32 s0, s13, s1
	s_lshl_b32 s0, s0, 1
	s_add_i32 s4, s13, 1
	s_or_b32 s5, s0, 1
	s_cmp_lt_u32 s13, s1
	s_cselect_b64 vcc, -1, 0
	s_and_b64 s[0:1], vcc, exec
	v_mov_b32_e32 v1, s39
	v_mov_b32_e32 v2, s38
	s_cselect_b32 s0, s4, s5
	v_cndmask_b32_e32 v18, v1, v2, vcc
	v_cvt_f32_i32_e32 v1, s0
	v_cmp_neq_f32_e32 vcc, 1.0, v18
	s_mov_b32 s0, 0x3f2aaaab
	s_movk_i32 s4, 0x204
	v_cndmask_b32_e32 v19, 1.0, v1, vcc
	v_cmp_eq_f32_e32 vcc, 0, v19
	s_mov_b32 s6, 0x42b17218
	s_mov_b32 s5, 0x7f800000
	v_cndmask_b32_e64 v20, |v18|, 1.0, vcc
	v_frexp_mant_f32_e32 v1, v20
	v_cmp_gt_f32_e64 s[0:1], s0, v1
	s_brev_b32 s15, -2
	s_nop 0
	v_cndmask_b32_e64 v2, 1.0, 2.0, s[0:1]
	v_mul_f32_e32 v1, v1, v2
	v_add_f32_e32 v2, 1.0, v1
	v_rcp_f32_e32 v10, v2
	v_add_f32_e32 v3, -1.0, v2
	v_sub_f32_e32 v5, v1, v3
	v_add_f32_e32 v3, -1.0, v1
	v_mul_f32_e32 v1, v3, v10
	v_mul_f32_e32 v4, v2, v1
	v_fma_f32 v6, v1, v2, -v4
	v_fmac_f32_e32 v6, v1, v5
	v_add_f32_e32 v2, v4, v6
	v_sub_f32_e32 v5, v3, v2
	v_pk_add_f32 v[8:9], v[2:3], v[4:5] neg_lo:[0,1] neg_hi:[0,1]
	v_mov_b32_e32 v7, v2
	v_pk_add_f32 v[2:3], v[8:9], v[6:7] neg_lo:[0,1] neg_hi:[0,1]
	v_mov_b32_e32 v6, 0x3e91f4c4
	v_add_f32_e32 v2, v2, v3
	v_add_f32_e32 v2, v5, v2
	v_mul_f32_e32 v3, v10, v2
	v_add_f32_e32 v2, v1, v3
	v_sub_f32_e32 v1, v2, v1
	v_sub_f32_e32 v1, v3, v1
	v_mul_f32_e32 v3, v2, v2
	v_fma_f32 v5, v2, v2, -v3
	v_add_f32_e32 v4, v1, v1
	v_fmac_f32_e32 v5, v2, v4
	v_add_f32_e32 v4, v3, v5
	v_fmac_f32_e32 v6, 0x3e76c4e1, v4
	v_fmaak_f32 v6, v4, v6, 0x3ecccdef
	v_sub_f32_e32 v3, v4, v3
	v_sub_f32_e32 v12, v5, v3
	v_mul_f32_e32 v3, v4, v6
	v_fma_f32 v5, v4, v6, -v3
	v_fmac_f32_e32 v5, v12, v6
	v_add_f32_e32 v6, v3, v5
	v_add_f32_e32 v7, 0x3f2aaaaa, v6
	v_sub_f32_e32 v3, v6, v3
	v_sub_f32_e32 v3, v5, v3
	v_add_f32_e32 v5, 0xbf2aaaaa, v7
	v_add_f32_e32 v3, 0x31739010, v3
	v_sub_f32_e32 v5, v6, v5
	v_pk_mul_f32 v[8:9], v[2:3], v[4:5]
	v_pk_add_f32 v[10:11], v[2:3], v[4:5]
	v_fma_f32 v6, v4, v2, -v8
	v_fmac_f32_e32 v6, v4, v1
	v_mov_b32_e32 v9, v11
	v_fmac_f32_e32 v6, v12, v2
	v_pk_add_f32 v[4:5], v[8:9], v[6:7]
	v_ldexp_f32 v1, v1, 1
	v_sub_f32_e32 v3, v4, v8
	v_sub_f32_e32 v3, v6, v3
	;; [unrolled: 1-line block ×3, first 2 shown]
	v_add_f32_e32 v9, v11, v6
	v_mov_b32_e32 v6, v5
	v_pk_mul_f32 v[6:7], v[4:5], v[6:7]
	v_cvt_f64_f32_e32 v[10:11], v20
	v_frexp_exp_i32_f64_e32 v7, v[10:11]
	v_subbrev_co_u32_e64 v7, s[0:1], 0, v7, s[0:1]
	v_cvt_f32_i32_e32 v7, v7
	v_fma_f32 v8, v4, v5, -v6
	v_fmac_f32_e32 v8, v4, v9
	s_mov_b32 s0, 0x3f317218
	v_mul_f32_e32 v4, 0x3f317218, v7
	v_fmac_f32_e32 v8, v3, v5
	v_fma_f32 v3, v7, s0, -v4
	v_fmamk_f32 v10, v7, 0xb102e308, v3
	v_ldexp_f32 v11, v2, 1
	v_add_f32_e32 v5, v6, v8
	v_pk_add_f32 v[2:3], v[4:5], v[10:11]
	v_mov_b32_e32 v12, v5
	v_mov_b32_e32 v13, v3
	v_mov_b32_e32 v7, v11
	v_pk_add_f32 v[6:7], v[12:13], v[6:7] neg_lo:[0,1] neg_hi:[0,1]
	v_mov_b32_e32 v9, v5
	v_pk_add_f32 v[6:7], v[8:9], v[6:7] neg_lo:[0,1] neg_hi:[0,1]
	v_mov_b32_e32 v11, v2
	v_add_f32_e32 v1, v1, v6
	v_add_f32_e32 v5, v1, v7
	v_pk_add_f32 v[6:7], v[2:3], v[4:5] neg_lo:[0,1] neg_hi:[0,1]
	v_pk_add_f32 v[8:9], v[2:3], v[4:5]
	v_mov_b32_e32 v12, v6
	v_mov_b32_e32 v13, v9
	v_pk_add_f32 v[12:13], v[10:11], v[12:13]
	v_pk_add_f32 v[6:7], v[10:11], v[6:7] neg_lo:[0,1] neg_hi:[0,1]
	v_mov_b32_e32 v4, v13
	v_pk_add_f32 v[14:15], v[4:5], v[2:3] neg_lo:[0,1] neg_hi:[0,1]
	v_mov_b32_e32 v12, v9
	v_mov_b32_e32 v1, v14
	v_mov_b32_e32 v2, v3
	v_mov_b32_e32 v3, v14
	v_pk_add_f32 v[16:17], v[8:9], v[0:1] neg_lo:[0,1] neg_hi:[0,1]
	v_pk_add_f32 v[2:3], v[12:13], v[2:3] neg_lo:[0,1] neg_hi:[0,1]
	v_mov_b32_e32 v10, v5
	v_pk_add_f32 v[2:3], v[10:11], v[2:3] neg_lo:[0,1] neg_hi:[0,1]
	v_mov_b32_e32 v16, v6
	v_pk_add_f32 v[8:9], v[16:17], v[2:3]
	v_mov_b32_e32 v7, v13
	v_mov_b32_e32 v10, v9
	v_pk_add_f32 v[10:11], v[8:9], v[10:11]
	s_nop 0
	v_pk_add_f32 v[4:5], v[4:5], v[10:11]
	v_mov_b32_e32 v3, v10
	v_mov_b32_e32 v9, v4
	v_pk_add_f32 v[12:13], v[8:9], v[6:7] neg_lo:[0,1] neg_hi:[0,1]
	s_nop 0
	v_sub_f32_e32 v1, v8, v12
	v_pk_add_f32 v[2:3], v[2:3], v[12:13] neg_lo:[0,1] neg_hi:[0,1]
	v_sub_f32_e32 v1, v6, v1
	v_add_f32_e32 v1, v2, v1
	v_add_f32_e32 v1, v1, v3
	;; [unrolled: 1-line block ×3, first 2 shown]
	v_sub_f32_e32 v3, v2, v4
	v_sub_f32_e32 v1, v1, v3
	v_mul_f32_e32 v3, v19, v2
	v_fma_f32 v2, v19, v2, -v3
	v_fmac_f32_e32 v2, v19, v1
	v_add_f32_e32 v1, v3, v2
	v_cmp_class_f32_e64 s[0:1], v3, s4
	v_sub_f32_e32 v4, v1, v3
	v_sub_f32_e32 v2, v2, v4
	v_cndmask_b32_e64 v1, v1, v3, s[0:1]
	v_mov_b32_e32 v3, 0x37000000
	v_cmp_eq_f32_e64 s[0:1], s6, v1
	s_nop 1
	v_cndmask_b32_e64 v3, 0, v3, s[0:1]
	v_sub_f32_e32 v4, v1, v3
	s_mov_b32 s0, 0x3fb8aa3b
	v_mul_f32_e32 v5, 0x3fb8aa3b, v4
	v_fma_f32 v6, v4, s0, -v5
	v_rndne_f32_e32 v7, v5
	v_fmamk_f32 v6, v4, 0x32a5705f, v6
	v_sub_f32_e32 v5, v5, v7
	v_add_f32_e32 v5, v5, v6
	v_exp_f32_e32 v5, v5
	v_cvt_i32_f32_e32 v6, v7
	v_cmp_neq_f32_e64 s[0:1], |v1|, s5
	s_nop 1
	v_cndmask_b32_e64 v1, 0, v2, s[0:1]
	s_mov_b32 s0, 0xc2ce8ed0
	v_ldexp_f32 v2, v5, v6
	v_cmp_ngt_f32_e64 s[0:1], s0, v4
	v_add_f32_e32 v1, v3, v1
	v_mov_b32_e32 v3, 0x7f800000
	v_cndmask_b32_e64 v2, 0, v2, s[0:1]
	v_cmp_nlt_f32_e64 s[0:1], s6, v4
	v_trunc_f32_e32 v4, v19
	v_mov_b32_e32 v5, 0x7fc00000
	v_cndmask_b32_e64 v2, v3, v2, s[0:1]
	v_fma_f32 v1, v2, v1, v2
	v_cmp_class_f32_e64 s[0:1], v2, s4
	v_cmp_gt_f32_e64 s[6:7], 0, v19
	s_nop 0
	v_cndmask_b32_e64 v1, v1, v2, s[0:1]
	v_cndmask_b32_e64 v2, v18, 1.0, vcc
	v_cmp_eq_f32_e32 vcc, v4, v19
	v_mul_f32_e32 v4, 0.5, v19
	v_trunc_f32_e32 v6, v4
	v_cmp_neq_f32_e64 s[0:1], v6, v4
	s_and_b64 s[0:1], vcc, s[0:1]
	s_nop 0
	v_cndmask_b32_e64 v4, 1.0, v2, s[0:1]
	v_bfi_b32 v1, s15, v1, v4
	v_cndmask_b32_e32 v4, v5, v1, vcc
	v_cmp_gt_f32_e32 vcc, 0, v2
	s_nop 1
	v_cndmask_b32_e32 v1, v1, v4, vcc
	v_cmp_eq_f32_e32 vcc, s5, v20
	v_cmp_eq_f32_e64 s[4:5], 0, v2
	s_xor_b64 s[6:7], s[6:7], s[4:5]
	v_cndmask_b32_e64 v3, v3, 0, s[6:7]
	v_cndmask_b32_e64 v4, 0, v2, s[0:1]
	v_bfi_b32 v3, s15, v3, v4
	s_or_b64 vcc, vcc, s[4:5]
	v_cndmask_b32_e32 v1, v1, v3, vcc
	v_cmp_o_f32_e32 vcc, v2, v2
	s_nop 1
	v_cndmask_b32_e32 v24, v5, v1, vcc
.LBB9_241:
	s_mul_i32 s1, s11, s33
	v_readlane_b32 s0, v221, 23
	s_sub_i32 s1, s12, s1
	s_xor_b32 s0, s14, s0
	s_add_i32 s4, s11, 1
	s_sub_i32 s5, s1, s33
	s_cmp_ge_u32 s1, s33
	s_cselect_b32 s4, s4, s11
	s_cselect_b32 s1, s5, s1
	s_add_i32 s5, s4, 1
	s_cmp_ge_u32 s1, s33
	s_cselect_b32 s1, s5, s4
	s_xor_b32 s1, s1, s0
	v_readlane_b32 s16, v221, 24
	s_sub_i32 s4, s1, s0
	v_readlane_b32 s26, v221, 34
	v_readlane_b32 s27, v221, 35
	;; [unrolled: 1-line block ×3, first 2 shown]
	s_cmp_eq_u64 s[26:27], 0
	v_mov_b32_e32 v8, s92
	v_readlane_b32 s18, v221, 26
	v_readlane_b32 s19, v221, 27
	v_readlane_b32 s20, v221, 28
	v_readlane_b32 s21, v221, 29
	v_readlane_b32 s22, v221, 30
	v_readlane_b32 s23, v221, 31
	v_readlane_b32 s24, v221, 32
	v_readlane_b32 s25, v221, 33
	v_readlane_b32 s28, v221, 36
	v_readlane_b32 s29, v221, 37
	v_readlane_b32 s30, v221, 38
	v_readlane_b32 s31, v221, 39
	s_cbranch_scc1 .LBB9_243
; %bb.242:
	v_readlane_b32 s0, v221, 0
	s_mul_i32 s0, s8, s0
	s_add_i32 s0, s4, s0
	s_ashr_i32 s1, s0, 31
	s_lshl_b64 s[0:1], s[0:1], 2
	s_add_u32 s0, s26, s0
	s_addc_u32 s1, s27, s1
	v_mov_b32_e32 v1, 0
	global_load_dword v1, v1, s[0:1]
	s_waitcnt vmcnt(0)
	v_ashrrev_i32_e32 v2, 31, v1
	v_lshrrev_b32_e32 v2, 26, v2
	v_add_u32_e32 v1, v1, v2
	v_ashrrev_i32_e32 v1, 6, v1
	v_min_i32_e32 v8, s92, v1
.LBB9_243:
	v_readlane_b32 s6, v221, 8
	v_readlane_b32 s7, v221, 9
	s_mul_i32 s0, s8, s7
	s_ashr_i32 s1, s0, 31
	s_add_u32 s0, s16, s0
	s_mul_i32 s13, s13, s6
	s_addc_u32 s1, s17, s1
	s_ashr_i32 s5, s13, 31
	v_and_b32_e32 v21, 0x3ff, v0
	s_add_u32 s0, s0, s13
	v_lshrrev_b32_e32 v64, 5, v21
	s_addc_u32 s1, s1, s5
	s_lshl_b32 s42, s4, 5
	v_lshl_add_u32 v0, v98, 1, v64
	v_add_u32_e32 v1, s42, v0
	v_and_b32_e32 v20, 31, v21
	v_cmp_le_i32_e32 vcc, s72, v1
	s_and_saveexec_b64 s[4:5], vcc
	s_xor_b64 s[4:5], exec, s[4:5]
	s_cbranch_execz .LBB9_245
; %bb.244:
	v_mad_u32_u24 v1, v0, 44, v20
	v_lshl_add_u32 v1, v1, 2, 0
	v_mov_b32_e32 v2, 0
	ds_write_b32 v1, v2
                                        ; implicit-def: $vgpr1
.LBB9_245:
	s_andn2_saveexec_b64 s[4:5], s[4:5]
	s_cbranch_execz .LBB9_247
; %bb.246:
	v_mad_u64_u32 v[2:3], s[6:7], v1, s90, v[20:21]
	v_ashrrev_i32_e32 v3, 31, v2
	v_lshl_add_u64 v[2:3], v[2:3], 3, s[0:1]
	global_load_dwordx2 v[2:3], v[2:3], off
	s_waitcnt vmcnt(0)
	v_cvt_f16_f32_e32 v1, v2
	v_cvt_f16_f32_e32 v2, v3
	v_mad_u32_u24 v3, v0, 44, v20
	v_pack_b32_f16 v1, v1, v2
	v_pk_mul_f16 v1, v23, v1
	v_lshl_add_u32 v2, v3, 2, 0
	ds_write_b32 v2, v1
.LBB9_247:
	s_or_b64 exec, exec, s[4:5]
	v_add_u32_e32 v1, 8, v0
	v_add_u32_e32 v2, s42, v1
	v_cmp_le_i32_e32 vcc, s72, v2
	s_and_saveexec_b64 s[4:5], vcc
	s_xor_b64 s[4:5], exec, s[4:5]
	s_cbranch_execz .LBB9_249
; %bb.248:
	v_mad_u32_u24 v1, v1, 44, v20
	v_lshl_add_u32 v1, v1, 2, 0
	v_mov_b32_e32 v2, 0
	ds_write_b32 v1, v2
                                        ; implicit-def: $vgpr2
                                        ; implicit-def: $vgpr1
.LBB9_249:
	s_andn2_saveexec_b64 s[4:5], s[4:5]
	s_cbranch_execz .LBB9_251
; %bb.250:
	v_mad_u64_u32 v[2:3], s[6:7], v2, s90, v[20:21]
	v_ashrrev_i32_e32 v3, 31, v2
	v_lshl_add_u64 v[2:3], v[2:3], 3, s[0:1]
	global_load_dwordx2 v[2:3], v[2:3], off
	v_mad_u32_u24 v1, v1, 44, v20
	v_lshl_add_u32 v1, v1, 2, 0
	s_waitcnt vmcnt(0)
	v_cvt_f16_f32_e32 v2, v2
	v_cvt_f16_f32_e32 v3, v3
	v_pack_b32_f16 v2, v2, v3
	v_pk_mul_f16 v2, v23, v2
	ds_write_b32 v1, v2
.LBB9_251:
	s_or_b64 exec, exec, s[4:5]
	v_add_u32_e32 v1, 16, v0
	v_add_u32_e32 v2, s42, v1
	v_cmp_le_i32_e32 vcc, s72, v2
	s_and_saveexec_b64 s[4:5], vcc
	s_xor_b64 s[4:5], exec, s[4:5]
	s_cbranch_execz .LBB9_253
; %bb.252:
	v_mad_u32_u24 v1, v1, 44, v20
	v_lshl_add_u32 v1, v1, 2, 0
	v_mov_b32_e32 v2, 0
	ds_write_b32 v1, v2
                                        ; implicit-def: $vgpr2
                                        ; implicit-def: $vgpr1
.LBB9_253:
	s_andn2_saveexec_b64 s[4:5], s[4:5]
	s_cbranch_execz .LBB9_255
; %bb.254:
	v_mad_u64_u32 v[2:3], s[6:7], v2, s90, v[20:21]
	v_ashrrev_i32_e32 v3, 31, v2
	v_lshl_add_u64 v[2:3], v[2:3], 3, s[0:1]
	global_load_dwordx2 v[2:3], v[2:3], off
	v_mad_u32_u24 v1, v1, 44, v20
	v_lshl_add_u32 v1, v1, 2, 0
	s_waitcnt vmcnt(0)
	v_cvt_f16_f32_e32 v2, v2
	v_cvt_f16_f32_e32 v3, v3
	v_pack_b32_f16 v2, v2, v3
	v_pk_mul_f16 v2, v23, v2
	ds_write_b32 v1, v2
.LBB9_255:
	s_or_b64 exec, exec, s[4:5]
	v_add_u32_e32 v0, 24, v0
	v_add_u32_e32 v1, s42, v0
	v_cmp_le_i32_e32 vcc, s72, v1
	s_and_saveexec_b64 s[4:5], vcc
	s_xor_b64 s[4:5], exec, s[4:5]
	s_cbranch_execz .LBB9_257
; %bb.256:
	v_mad_u32_u24 v0, v0, 44, v20
	v_lshl_add_u32 v0, v0, 2, 0
	v_mov_b32_e32 v1, 0
	ds_write_b32 v0, v1
                                        ; implicit-def: $vgpr1
                                        ; implicit-def: $vgpr0
.LBB9_257:
	s_andn2_saveexec_b64 s[4:5], s[4:5]
	s_cbranch_execz .LBB9_259
; %bb.258:
	v_mad_u64_u32 v[2:3], s[6:7], v1, s90, v[20:21]
	v_ashrrev_i32_e32 v3, 31, v2
	v_lshl_add_u64 v[2:3], v[2:3], 3, s[0:1]
	global_load_dwordx2 v[2:3], v[2:3], off
	v_mad_u32_u24 v0, v0, 44, v20
	v_lshl_add_u32 v0, v0, 2, 0
	s_waitcnt vmcnt(0)
	v_cvt_f16_f32_e32 v1, v2
	v_cvt_f16_f32_e32 v2, v3
	v_pack_b32_f16 v1, v1, v2
	v_pk_mul_f16 v1, v23, v1
	ds_write_b32 v0, v1
.LBB9_259:
	s_or_b64 exec, exec, s[4:5]
	v_lshrrev_b32_e32 v55, 3, v21
	v_add_u32_e32 v81, v100, v55
	v_add_u32_e32 v0, s42, v81
	v_cmp_le_i32_e32 vcc, s72, v0
	s_and_saveexec_b64 s[4:5], vcc
	s_xor_b64 s[4:5], exec, s[4:5]
	s_cbranch_execz .LBB9_261
; %bb.260:
	v_and_b32_e32 v0, 7, v21
	v_mad_u32_u24 v0, v81, 44, v0
	v_lshl_add_u32 v0, v0, 2, 0
	v_mov_b32_e32 v1, 0
	ds_write_b32 v0, v1 offset:128
                                        ; implicit-def: $vgpr0
                                        ; implicit-def: $vgpr23
.LBB9_261:
	s_andn2_saveexec_b64 s[4:5], s[4:5]
	s_cbranch_execz .LBB9_263
; %bb.262:
	v_mul_lo_u32 v0, v0, s90
	v_and_b32_e32 v2, 7, v21
	v_ashrrev_i32_e32 v1, 31, v0
	v_mov_b32_e32 v3, 0
	v_lshl_add_u64 v[0:1], v[0:1], 0, v[2:3]
	v_lshl_add_u64 v[0:1], v[0:1], 3, s[0:1]
	global_load_dwordx2 v[0:1], v[0:1], off offset:256
	v_mad_u32_u24 v2, v81, 44, v2
	s_waitcnt vmcnt(0)
	v_cvt_f16_f32_e32 v0, v0
	v_cvt_f16_f32_e32 v1, v1
	v_pack_b32_f16 v0, v0, v1
	v_pk_mul_f16 v0, v23, v0
	v_lshl_add_u32 v1, v2, 2, 0
	ds_write_b32 v1, v0 offset:128
.LBB9_263:
	s_or_b64 exec, exec, s[4:5]
	v_readlane_b32 s4, v221, 13
	v_readlane_b32 s5, v221, 14
	s_mul_i32 s0, s8, s5
	s_mul_hi_u32 s1, s8, s4
	s_add_i32 s0, s1, s0
	s_mul_i32 s1, s10, s4
	s_add_i32 s0, s0, s1
	s_mul_i32 s1, s8, s4
	v_readlane_b32 s16, v221, 24
	v_readlane_b32 s4, v221, 19
	;; [unrolled: 1-line block ×7, first 2 shown]
	s_add_u32 s1, s20, s1
	s_mov_b64 s[12:13], s[4:5]
	s_mul_i32 s4, s9, s7
	s_addc_u32 s0, s21, s0
	s_ashr_i32 s5, s4, 31
	v_and_b32_e32 v9, 0x1ff0, v100
	s_movk_i32 s24, 0xb0
	v_and_b32_e32 v65, 15, v21
	v_and_b32_e32 v66, 0x7e, v55
	s_add_u32 s33, s1, s4
	v_mad_u32_u24 v0, v9, s24, 0
	v_mul_u32_u24_e32 v83, 0xb0, v65
	v_lshlrev_b32_e32 v84, 2, v66
	s_addc_u32 s41, s0, s5
	s_mul_i32 s0, s8, s13
	s_mul_hi_u32 s1, s8, s12
	v_add3_u32 v10, v0, v83, v84
	s_add_i32 s0, s1, s0
	s_mul_i32 s10, s10, s12
	v_readlane_b32 s4, v221, 17
	s_waitcnt lgkmcnt(0)
	s_barrier
	ds_read2_b64 v[4:7], v10 offset1:4
	ds_read2_b64 v[0:3], v10 offset0:8 offset1:12
	ds_read_b64 v[26:27], v10 offset:128
	v_readlane_b32 s18, v221, 26
	s_add_i32 s0, s0, s10
	s_mul_i32 s8, s8, s12
	v_readlane_b32 s5, v221, 18
	v_readlane_b32 s19, v221, 27
	s_add_u32 s1, s18, s8
	s_mul_i32 s9, s9, s5
	s_addc_u32 s0, s19, s0
	s_ashr_i32 s4, s9, 31
	v_add_u32_e32 v86, -1, v8
	s_add_u32 s43, s1, s9
	v_cmp_ge_i32_e32 vcc, s40, v86
	v_mul_lo_u32 v30, s88, v81
	v_mul_lo_u32 v22, s74, v81
	s_addc_u32 s44, s0, s4
	s_mov_b32 s45, 0
	s_and_b64 vcc, exec, vcc
	v_mov_b32_e32 v69, 0
	v_or_b32_e32 v82, v9, v65
	v_lshlrev_b32_e32 v32, 1, v21
	v_lshrrev_b32_e32 v85, 1, v21
	v_ashrrev_i32_e32 v31, 31, v30
	v_add_u32_e32 v72, 32, v81
	v_lshl_add_u32 v28, s88, 5, v30
	v_lshrrev_b32_e32 v70, 2, v21
	v_and_b32_e32 v68, 8, v100
	v_ashrrev_i32_e32 v23, 31, v22
	v_lshlrev_b32_e32 v67, 1, v65
	v_readlane_b32 s17, v221, 25
	v_readlane_b32 s22, v221, 30
	;; [unrolled: 1-line block ×11, first 2 shown]
	s_waitcnt lgkmcnt(0)
	s_barrier
	s_cbranch_vccnz .LBB9_280
; %bb.264:
	v_add_u32_e32 v9, s42, v98
	v_mul_hi_u32 v10, s86, v9
	v_add_u32_e32 v10, v9, v10
	v_lshrrev_b32_e32 v10, s87, v10
	v_mul_lo_u32 v10, v10, s72
	v_mov_b32_e32 v8, 0
	v_sub_u32_e32 v10, v9, v10
	v_mov_b32_e32 v33, v8
	v_mad_i64_i32 v[36:37], s[4:5], v10, s76, 0
	v_mul_u32_u24_e32 v10, 0x90, v98
	v_lshl_add_u64 v[34:35], s[2:3], 0, v[32:33]
	v_add3_u32 v33, 0, v10, v32
	v_add_u32_e32 v10, 4, v9
	v_mul_hi_u32 v11, s86, v10
	v_add_u32_e32 v11, v10, v11
	v_lshrrev_b32_e32 v11, s87, v11
	v_mul_lo_u32 v11, v11, s72
	v_sub_u32_e32 v10, v10, v11
	v_mad_i64_i32 v[38:39], s[4:5], v10, s76, 0
	v_add_u32_e32 v10, 8, v9
	v_mul_hi_u32 v11, s86, v10
	v_add_u32_e32 v11, v10, v11
	v_lshrrev_b32_e32 v11, s87, v11
	v_mul_lo_u32 v11, v11, s72
	v_sub_u32_e32 v10, v10, v11
	v_mad_i64_i32 v[40:41], s[4:5], v10, s76, 0
	;; [unrolled: 7-line block ×5, first 2 shown]
	v_add_u32_e32 v10, 24, v9
	v_mul_hi_u32 v11, s86, v10
	v_add_u32_e32 v11, v10, v11
	v_lshrrev_b32_e32 v11, s87, v11
	v_mul_lo_u32 v11, v11, s72
	v_sub_u32_e32 v10, v10, v11
	v_add_u32_e32 v9, 28, v9
	v_mad_i64_i32 v[48:49], s[4:5], v10, s76, 0
	v_mul_hi_u32 v10, s86, v9
	v_add_u32_e32 v10, v9, v10
	v_lshrrev_b32_e32 v10, s87, v10
	v_mul_lo_u32 v10, v10, s72
	v_sub_u32_e32 v9, v9, v10
	v_mad_i64_i32 v[50:51], s[4:5], v9, s76, 0
	v_mbcnt_hi_u32_b32 v9, -1, v102
	v_and_b32_e32 v10, 64, v9
	v_add_u32_e32 v10, 64, v10
	v_xor_b32_e32 v11, 32, v9
	v_cmp_lt_i32_e32 vcc, v11, v10
	s_movk_i32 s4, 0x80
	v_and_b32_e32 v15, 0xfc, v70
	v_cndmask_b32_e32 v11, v9, v11, vcc
	v_lshlrev_b32_e32 v94, 2, v11
	v_xor_b32_e32 v11, 16, v9
	v_cmp_lt_i32_e32 vcc, v11, v10
	s_movk_i32 s8, 0x90
	v_mad_u32_u24 v17, v82, s8, 0
	v_cndmask_b32_e32 v9, v9, v11, vcc
	v_lshlrev_b32_e32 v11, 2, v21
	v_lshlrev_b32_e32 v95, 2, v9
	v_lshl_add_u32 v9, v98, 5, v85
	v_and_b32_e32 v54, 4, v11
	v_mad_u32_u24 v10, v9, s24, 0
	v_lshlrev_b32_e32 v12, 2, v54
	v_add3_u32 v96, v10, v12, s4
	v_and_b32_e32 v10, 16, v99
	v_mul_u32_u24_e32 v14, 0xb0, v10
	v_add_u32_e32 v16, v10, v15
	v_add_u16_e32 v10, v10, v15
	v_lshrrev_b16_e32 v10, 1, v10
	v_lshl_add_u32 v18, v10, 2, v17
	v_lshl_add_u32 v10, v16, 1, v17
	v_add_u32_e32 v97, 64, v10
	v_add_u32_e32 v103, 0x44, v10
	v_mul_u32_u24_e32 v10, 0x58, v15
	s_movk_i32 s25, 0x160
	v_cmp_gt_u32_e64 s[26:27], 64, v9
	v_mul_lo_u32 v52, s88, v9
	v_cmp_gt_u32_e64 s[8:9], 64, v16
	v_cmp_gt_u32_e64 s[10:11], 63, v16
	;; [unrolled: 1-line block ×8, first 2 shown]
	v_mul_lo_u32 v56, s74, v9
	v_or_b32_e32 v9, 3, v70
	v_mul_u32_u24_e32 v16, 0xb0, v15
	v_or_b32_e32 v10, v10, v65
	v_mul_u32_u24_e32 v17, 0x160, v68
	v_mad_u32_u24 v19, v68, s25, 0
	s_cmp_lg_u64 s[2:3], 0
	v_mul_u32_u24_e32 v9, 0xb0, v9
	v_lshlrev_b32_e32 v10, 1, v10
	v_add3_u32 v105, v19, v16, v67
	v_add3_u32 v16, 0, 32, v17
	s_cselect_b64 s[28:29], -1, 0
	v_add_u32_e32 v104, v19, v10
	v_add3_u32 v106, v19, v9, v67
	v_add_u32_e32 v109, v16, v10
	v_mad_u32_u24 v19, v15, s24, v16
	v_add3_u32 v111, v16, v9, v67
	v_add3_u32 v16, 0, 64, v17
	s_add_i32 s35, 0, 0x60
	v_add_u32_e32 v113, v16, v10
	v_mad_u32_u24 v17, v15, s24, v16
	v_add3_u32 v115, v16, v9, v67
	v_mov_b32_e32 v16, s35
	s_movk_i32 s34, 0x1600
	v_mad_u32_u24 v16, v68, s25, v16
	s_add_i32 s35, 0, 0x80
	v_add3_u32 v114, v17, v67, s34
	v_add_u32_e32 v117, v16, v10
	v_mad_u32_u24 v17, v15, s24, v16
	v_add3_u32 v119, v16, v9, v67
	v_mov_b32_e32 v16, s35
	v_mad_u32_u24 v16, v68, s25, v16
	v_add_u32_e32 v121, v16, v10
	v_mad_u32_u24 v10, v15, s24, v16
	v_add3_u32 v122, v10, v67, s34
	v_and_b32_e32 v10, 28, v11
	v_mul_u32_u24_e32 v12, 0xb0, v81
	v_add3_u32 v123, v16, v9, v67
	v_lshlrev_b32_e32 v9, 2, v10
	s_mov_b64 s[30:31], src_private_base
	v_add3_u32 v13, 0, v83, v84
	v_mul_lo_u32 v58, s74, v72
	v_add3_u32 v124, 0, v12, v9
	v_cmp_lt_u32_e64 s[0:1], 63, v21
	v_add_u32_e32 v87, 0x240, v33
	v_add_u32_e32 v88, 0x480, v33
	;; [unrolled: 1-line block ×7, first 2 shown]
	s_mov_b32 s30, 0
	v_ashrrev_i32_e32 v53, 31, v52
	v_cmp_gt_u32_e64 s[4:5], 64, v81
	v_cmp_gt_u32_e64 s[6:7], 32, v81
	v_ashrrev_i32_e32 v29, 31, v28
	v_ashrrev_i32_e32 v57, 31, v56
	;; [unrolled: 1-line block ×3, first 2 shown]
	v_add_u32_e32 v107, 0x1600, v105
	v_add_u32_e32 v108, 32, v105
	v_add3_u32 v110, v19, v67, s34
	v_add_u32_e32 v112, 64, v105
	v_add_u32_e32 v116, 0x60, v105
	v_add3_u32 v118, v17, v67, s34
	v_add_u32_e32 v120, 0x80, v105
	v_add_u32_e32 v125, 0x1600, v124
	v_mov_b32_e32 v60, v24
	v_mov_b32_e32 v61, v24
	s_lshl_b32 s34, s40, 6
	v_mov_b32_e32 v130, 0xfeffffff
	v_lshlrev_b32_e32 v62, 2, v10
	v_add_u32_e32 v126, v13, v14
	v_add_u32_e32 v127, 0x2c00, v18
	s_mov_b32 s46, 0x3fb8aa3b
	s_mov_b32 s47, 0xc2ce8ed0
	;; [unrolled: 1-line block ×5, first 2 shown]
	v_mov_b32_e32 v128, 0x7f800000
	v_mov_b32_e32 v129, 0
	;; [unrolled: 1-line block ×12, first 2 shown]
.LBB9_265:                              ; =>This Inner Loop Header: Depth=1
	v_cndmask_b32_e64 v9, 0, 1, s[28:29]
	v_cmp_ne_u32_e64 s[24:25], 1, v9
	s_andn2_b64 vcc, exec, s[28:29]
	s_ashr_i32 s35, s34, 31
	s_cbranch_vccnz .LBB9_271
; %bb.266:                              ;   in Loop: Header=BB9_265 Depth=1
                                        ; implicit-def: $sgpr38
	s_and_saveexec_b64 s[36:37], s[0:1]
	s_xor_b64 s[36:37], exec, s[36:37]
	s_cbranch_execz .LBB9_268
; %bb.267:                              ;   in Loop: Header=BB9_265 Depth=1
	ds_write_b16 v33, v8 offset:11264
	ds_write_b16 v87, v8 offset:11264
	;; [unrolled: 1-line block ×4, first 2 shown]
	s_mov_b32 s38, 0
.LBB9_268:                              ;   in Loop: Header=BB9_265 Depth=1
	s_or_saveexec_b64 s[36:37], s[36:37]
	v_mov_b32_e32 v9, s38
	v_mov_b32_e32 v10, s38
	;; [unrolled: 1-line block ×4, first 2 shown]
	s_xor_b64 exec, exec, s[36:37]
	s_cbranch_execz .LBB9_270
; %bb.269:                              ;   in Loop: Header=BB9_265 Depth=1
	v_lshl_add_u64 v[10:11], s[34:35], 1, v[34:35]
	v_lshl_add_u64 v[12:13], v[36:37], 1, v[10:11]
	;; [unrolled: 1-line block ×5, first 2 shown]
	flat_load_ushort v9, v[12:13]
	flat_load_ushort v25, v[14:15]
	;; [unrolled: 1-line block ×4, first 2 shown]
	v_lshl_add_u64 v[12:13], v[44:45], 1, v[10:11]
	v_lshl_add_u64 v[14:15], v[46:47], 1, v[10:11]
	;; [unrolled: 1-line block ×4, first 2 shown]
	s_waitcnt vmcnt(0) lgkmcnt(0)
	ds_write_b16 v33, v9 offset:11264
	ds_write_b16 v87, v25 offset:11264
	;; [unrolled: 1-line block ×4, first 2 shown]
	flat_load_ushort v9, v[12:13]
	flat_load_ushort v10, v[14:15]
	;; [unrolled: 1-line block ×3, first 2 shown]
	s_nop 0
	flat_load_ushort v12, v[18:19]
.LBB9_270:                              ;   in Loop: Header=BB9_265 Depth=1
	s_or_b64 exec, exec, s[36:37]
	s_waitcnt vmcnt(0) lgkmcnt(0)
	ds_write_b16 v90, v9 offset:11264
	ds_write_b16 v91, v10 offset:11264
	;; [unrolled: 1-line block ×4, first 2 shown]
.LBB9_271:                              ;   in Loop: Header=BB9_265 Depth=1
	s_mul_hi_i32 s37, s34, s88
	s_mul_i32 s36, s34, s88
	s_lshl_b64 s[36:37], s[36:37], 2
	s_add_u32 s36, s43, s36
	s_addc_u32 s37, s44, s37
	v_mov_b32_e32 v9, v8
	v_mov_b32_e32 v10, v8
	;; [unrolled: 1-line block ×3, first 2 shown]
	scratch_store_dwordx4 off, v[8:11], off
	s_and_saveexec_b64 s[38:39], s[26:27]
	s_cbranch_execz .LBB9_273
; %bb.272:                              ;   in Loop: Header=BB9_265 Depth=1
	v_lshl_add_u64 v[10:11], v[52:53], 2, s[36:37]
	v_lshlrev_b32_e32 v12, 2, v54
	v_mov_b32_e32 v13, v8
	v_lshl_add_u64 v[10:11], v[10:11], 0, v[12:13]
	global_load_dwordx4 v[10:13], v[10:11], off offset:128
	s_waitcnt vmcnt(0)
	ds_write_b128 v96, v[10:13]
.LBB9_273:                              ;   in Loop: Header=BB9_265 Depth=1
	s_or_b64 exec, exec, s[38:39]
	v_lshl_add_u64 v[10:11], v[30:31], 2, s[36:37]
	v_mov_b32_e32 v63, v8
	v_lshl_add_u64 v[10:11], v[10:11], 0, v[62:63]
	v_mov_b32_e32 v9, s31
	v_mov_b32_e32 v16, s30
	v_cndmask_b32_e64 v11, v9, v11, s[4:5]
	v_cndmask_b32_e64 v10, v16, v10, s[4:5]
	flat_load_dwordx4 v[10:13], v[10:11]
	v_lshl_add_u64 v[14:15], v[28:29], 2, s[36:37]
	v_lshl_add_u64 v[14:15], v[14:15], 0, v[62:63]
	v_cndmask_b32_e64 v15, v9, v15, s[6:7]
	v_cndmask_b32_e64 v14, v16, v14, s[6:7]
	v_add_u32_e32 v9, 0x1000, v126
	s_and_b64 vcc, exec, s[24:25]
	s_waitcnt vmcnt(0) lgkmcnt(0)
	ds_write_b128 v124, v[10:13]
	flat_load_dwordx4 v[10:13], v[14:15]
	s_waitcnt vmcnt(0) lgkmcnt(0)
	ds_write_b128 v125, v[10:13]
	s_waitcnt lgkmcnt(0)
	s_barrier
	ds_read2_b64 v[10:13], v126 offset1:4
	ds_read2_b64 v[132:135], v9 offset0:192 offset1:196
	s_waitcnt lgkmcnt(1)
	v_mfma_f32_16x16x16_f16 v[14:17], v[10:11], v[4:5], 0
	ds_read_b64 v[18:19], v126 offset:128
	s_waitcnt lgkmcnt(1)
	v_mfma_f32_16x16x16_f16 v[136:139], v[132:133], v[4:5], 0
	v_mfma_f32_16x16x16_f16 v[10:13], v[12:13], v[6:7], v[14:17]
	;; [unrolled: 1-line block ×3, first 2 shown]
	ds_read2_b64 v[132:135], v126 offset0:8 offset1:12
	s_nop 3
	ds_read2_b64 v[136:139], v9 offset0:200 offset1:204
	s_waitcnt lgkmcnt(1)
	v_mfma_f32_16x16x16_f16 v[10:13], v[132:133], v[0:1], v[10:13]
	s_waitcnt lgkmcnt(0)
	v_mfma_f32_16x16x16_f16 v[14:17], v[136:137], v[0:1], v[14:17]
	v_mfma_f32_16x16x16_f16 v[10:13], v[134:135], v[2:3], v[10:13]
	;; [unrolled: 1-line block ×3, first 2 shown]
	s_nop 4
	ds_read_b64 v[14:15], v126 offset:5760
	v_mfma_f32_16x16x16_f16 v[16:19], v[18:19], v[26:27], v[10:13]
	s_waitcnt lgkmcnt(0)
	s_barrier
	v_mfma_f32_16x16x16_f16 v[12:15], v[14:15], v[26:27], v[132:135]
	s_cbranch_vccnz .LBB9_275
; %bb.274:                              ;   in Loop: Header=BB9_265 Depth=1
	ds_read2_b32 v[10:11], v127 offset1:1
	ds_read_b32 v9, v97 offset:11264
	ds_read_b32 v63, v103 offset:11264
	v_mov_b32_e32 v25, v24
	s_waitcnt lgkmcnt(2)
	v_cvt_f32_f16_e32 v132, v10
	v_cvt_f32_f16_sdwa v133, v10 dst_sel:DWORD dst_unused:UNUSED_PAD src0_sel:WORD_1
	v_cvt_f32_f16_e32 v10, v11
	v_cvt_f32_f16_sdwa v11, v11 dst_sel:DWORD dst_unused:UNUSED_PAD src0_sel:WORD_1
	s_waitcnt lgkmcnt(1)
	v_cvt_f32_f16_sdwa v135, v9 dst_sel:DWORD dst_unused:UNUSED_PAD src0_sel:WORD_1
	s_waitcnt lgkmcnt(0)
	v_cvt_f32_f16_sdwa v137, v63 dst_sel:DWORD dst_unused:UNUSED_PAD src0_sel:WORD_1
	v_cvt_f32_f16_e32 v136, v63
	v_cvt_f32_f16_e32 v134, v9
	v_pk_fma_f32 v[18:19], v[24:25], v[10:11], v[18:19]
	v_pk_fma_f32 v[16:17], v[60:61], v[132:133], v[16:17]
	;; [unrolled: 1-line block ×4, first 2 shown]
.LBB9_275:                              ;   in Loop: Header=BB9_265 Depth=1
	s_nop 2
	v_add_f32_e32 v9, 0x40051340, v16
	v_max_f32_e32 v10, v130, v130
	v_max_f32_e32 v9, v10, v9
	v_cndmask_b32_e64 v9, v130, v9, s[8:9]
	v_add_f32_e32 v10, 0x40051340, v17
	v_max_f32_e32 v11, v9, v9
	v_max_f32_e32 v10, v11, v10
	v_cndmask_b32_e64 v9, v9, v10, s[10:11]
	;; [unrolled: 4-line block ×8, first 2 shown]
	ds_bpermute_b32 v10, v94, v9
	v_max_f32_e32 v9, v9, v9
	s_mul_hi_i32 s25, s34, s74
	s_mul_i32 s24, s34, s74
	s_lshl_b64 s[24:25], s[24:25], 2
	s_waitcnt lgkmcnt(0)
	v_max_f32_e32 v10, v10, v10
	v_max_f32_e32 v25, v9, v10
	ds_bpermute_b32 v63, v95, v25
	s_add_u32 s24, s33, s24
	s_addc_u32 s25, s41, s25
	v_mov_b32_e32 v9, v8
	v_mov_b32_e32 v10, v8
	;; [unrolled: 1-line block ×3, first 2 shown]
	scratch_store_dwordx4 off, v[8:11], off
	s_and_saveexec_b64 s[36:37], s[26:27]
	s_cbranch_execz .LBB9_277
; %bb.276:                              ;   in Loop: Header=BB9_265 Depth=1
	v_lshl_add_u64 v[10:11], v[56:57], 2, s[24:25]
	v_lshlrev_b32_e32 v132, 2, v54
	v_mov_b32_e32 v133, v8
	v_lshl_add_u64 v[10:11], v[10:11], 0, v[132:133]
	global_load_dwordx4 v[132:135], v[10:11], off offset:128
	s_waitcnt vmcnt(0)
	ds_write_b128 v96, v[132:135]
.LBB9_277:                              ;   in Loop: Header=BB9_265 Depth=1
	s_or_b64 exec, exec, s[36:37]
	s_waitcnt lgkmcnt(0)
	v_max_f32_e32 v9, v63, v63
	v_max_f32_e32 v10, v25, v25
	;; [unrolled: 1-line block ×3, first 2 shown]
	v_sub_f32_e32 v9, v16, v25
	v_mul_f32_e32 v10, 0x3fb8aa3b, v9
	v_fma_f32 v11, v9, s46, -v10
	v_rndne_f32_e32 v16, v10
	v_fmac_f32_e32 v11, 0x32a5705f, v9
	v_sub_f32_e32 v10, v10, v16
	v_add_f32_e32 v10, v10, v11
	v_exp_f32_e32 v10, v10
	v_cvt_i32_f32_e32 v11, v16
	v_cmp_ngt_f32_e32 vcc, s47, v9
	v_sub_f32_e32 v17, v17, v25
	v_mov_b32_e32 v137, s31
	v_ldexp_f32 v10, v10, v11
	v_cndmask_b32_e32 v16, 0, v10, vcc
	v_mul_f32_e32 v10, 0x3fb8aa3b, v17
	v_fma_f32 v11, v17, s46, -v10
	v_rndne_f32_e32 v63, v10
	v_fmac_f32_e32 v11, 0x32a5705f, v17
	v_sub_f32_e32 v10, v10, v63
	v_add_f32_e32 v10, v10, v11
	v_exp_f32_e32 v131, v10
	v_cvt_i32_f32_e32 v136, v63
	v_lshl_add_u64 v[10:11], v[22:23], 2, s[24:25]
	v_mov_b32_e32 v63, v8
	v_lshl_add_u64 v[10:11], v[10:11], 0, v[62:63]
	v_mov_b32_e32 v138, s30
	v_cndmask_b32_e64 v11, v137, v11, s[4:5]
	v_cndmask_b32_e64 v10, v138, v10, s[4:5]
	flat_load_dwordx4 v[132:135], v[10:11]
	v_cmp_nlt_f32_e32 vcc, s48, v9
	v_cndmask_b32_e64 v19, v19, v19, s[10:11]
	v_sub_f32_e32 v19, v19, v25
	v_cndmask_b32_e32 v9, v128, v16, vcc
	v_cndmask_b32_e64 v10, 0, v9, s[8:9]
	v_ldexp_f32 v9, v131, v136
	v_cmp_ngt_f32_e32 vcc, s47, v17
	v_sub_f32_e32 v12, v12, v25
	v_cndmask_b32_e64 v13, v13, v13, s[16:17]
	v_cndmask_b32_e32 v9, 0, v9, vcc
	v_cmp_nlt_f32_e32 vcc, s48, v17
	v_cndmask_b32_e64 v17, v18, v18, s[10:11]
	v_sub_f32_e32 v17, v17, v25
	v_mul_f32_e32 v18, 0x3fb8aa3b, v17
	v_fma_f32 v131, v17, s46, -v18
	v_rndne_f32_e32 v136, v18
	v_fmac_f32_e32 v131, 0x32a5705f, v17
	v_sub_f32_e32 v18, v18, v136
	v_add_f32_e32 v18, v18, v131
	v_exp_f32_e32 v18, v18
	v_cvt_i32_f32_e32 v131, v136
	v_cndmask_b32_e32 v11, v128, v9, vcc
	v_add_f32_e32 v16, v11, v10
	v_mov_b32_e32 v9, s45
	v_cndmask_b32_e64 v11, v9, v11, s[10:11]
	v_cndmask_b32_e64 v9, v10, v16, s[10:11]
	v_ldexp_f32 v16, v18, v131
	v_cmp_ngt_f32_e32 vcc, s47, v17
	s_add_i32 s40, s40, 1
	s_add_i32 s34, s34, 64
	v_cndmask_b32_e32 v16, 0, v16, vcc
	v_cmp_nlt_f32_e32 vcc, s48, v17
	s_waitcnt vmcnt(0) lgkmcnt(0)
	ds_write_b128 v124, v[132:135]
	v_cndmask_b32_e32 v17, v128, v16, vcc
	v_mul_f32_e32 v16, 0x3fb8aa3b, v19
	v_fma_f32 v131, v19, s46, -v16
	v_rndne_f32_e32 v136, v16
	v_fmac_f32_e32 v131, 0x32a5705f, v19
	v_sub_f32_e32 v16, v16, v136
	v_add_f32_e32 v16, v16, v131
	v_exp_f32_e32 v131, v16
	v_cvt_i32_f32_e32 v136, v136
	v_add_f32_e32 v18, v9, v17
	v_mov_b32_e32 v16, s45
	v_cndmask_b32_e64 v9, v9, v18, s[12:13]
	v_mul_f32_e32 v18, 0x3fb8aa3b, v12
	v_cndmask_b32_e64 v17, v16, v17, s[12:13]
	v_ldexp_f32 v16, v131, v136
	v_fma_f32 v131, v12, s46, -v18
	v_rndne_f32_e32 v136, v18
	v_fmac_f32_e32 v131, 0x32a5705f, v12
	v_sub_f32_e32 v18, v18, v136
	v_add_f32_e32 v18, v18, v131
	v_cmp_ngt_f32_e32 vcc, s47, v19
	v_exp_f32_e32 v18, v18
	v_cvt_i32_f32_e32 v131, v136
	v_cndmask_b32_e32 v16, 0, v16, vcc
	v_cmp_nlt_f32_e32 vcc, s48, v19
	v_cndmask_b32_e64 v136, v14, v14, s[16:17]
	v_sub_f32_e32 v132, v136, v25
	v_cndmask_b32_e32 v19, v128, v16, vcc
	v_add_f32_e32 v16, v9, v19
	v_cndmask_b32_e64 v9, v9, v16, s[14:15]
	v_ldexp_f32 v16, v18, v131
	v_cmp_ngt_f32_e32 vcc, s47, v12
	v_cndmask_b32_e64 v131, v15, v15, s[16:17]
	v_sub_f32_e32 v131, v131, v25
	v_cndmask_b32_e32 v16, 0, v16, vcc
	v_cmp_nlt_f32_e32 vcc, s48, v12
	v_mov_b32_e32 v12, s45
	v_cvt_f16_f32_e32 v17, v17
	v_cndmask_b32_e32 v16, v128, v16, vcc
	v_add_f32_e32 v18, v16, v9
	v_cndmask_b32_e64 v139, v12, v16, s[16:17]
	v_cndmask_b32_e64 v16, v9, v18, s[16:17]
	v_sub_f32_e32 v9, v13, v25
	v_mul_f32_e32 v12, 0x3fb8aa3b, v9
	v_fma_f32 v13, v9, s46, -v12
	v_rndne_f32_e32 v14, v12
	v_fmac_f32_e32 v13, 0x32a5705f, v9
	v_sub_f32_e32 v12, v12, v14
	v_add_f32_e32 v12, v12, v13
	v_exp_f32_e32 v18, v12
	v_lshl_add_u64 v[12:13], v[58:59], 2, s[24:25]
	v_lshl_add_u64 v[12:13], v[12:13], 0, v[62:63]
	v_cndmask_b32_e64 v13, v137, v13, s[6:7]
	v_cndmask_b32_e64 v12, v138, v12, s[6:7]
	v_cvt_i32_f32_e32 v140, v14
	flat_load_dwordx4 v[12:15], v[12:13]
	v_cmp_ngt_f32_e32 vcc, s47, v9
	v_ldexp_f32 v18, v18, v140
	s_nop 0
	v_cndmask_b32_e32 v18, 0, v18, vcc
	v_cmp_nlt_f32_e32 vcc, s48, v9
	v_mul_f32_e32 v9, 0x3fb8aa3b, v132
	v_fma_f32 v133, v132, s46, -v9
	v_rndne_f32_e32 v134, v9
	v_fmac_f32_e32 v133, 0x32a5705f, v132
	v_sub_f32_e32 v9, v9, v134
	v_add_f32_e32 v9, v9, v133
	v_exp_f32_e32 v133, v9
	v_cvt_i32_f32_e32 v134, v134
	v_cndmask_b32_e32 v18, v128, v18, vcc
	v_add_f32_e32 v63, v18, v16
	v_mov_b32_e32 v9, s45
	v_cndmask_b32_e64 v135, v9, v18, s[18:19]
	v_cndmask_b32_e64 v9, v16, v63, s[18:19]
	v_ldexp_f32 v16, v133, v134
	v_cmp_ngt_f32_e32 vcc, s47, v132
	s_waitcnt vmcnt(0) lgkmcnt(0)
	ds_write_b128 v125, v[12:15]
	v_cndmask_b32_e32 v16, 0, v16, vcc
	v_cmp_nlt_f32_e32 vcc, s48, v132
	s_waitcnt lgkmcnt(0)
	s_barrier
	v_cndmask_b32_e32 v18, v128, v16, vcc
	v_mul_f32_e32 v16, 0x3fb8aa3b, v131
	v_fma_f32 v132, v131, s46, -v16
	v_rndne_f32_e32 v133, v16
	v_fmac_f32_e32 v132, 0x32a5705f, v131
	v_sub_f32_e32 v16, v16, v133
	v_add_f32_e32 v16, v16, v132
	v_exp_f32_e32 v132, v16
	v_cvt_i32_f32_e32 v133, v133
	v_add_f32_e32 v63, v18, v9
	v_cndmask_b32_e64 v9, v9, v63, s[20:21]
	v_sub_f32_e32 v63, v130, v25
	v_mov_b32_e32 v16, s45
	v_mul_f32_e32 v130, 0x3fb8aa3b, v63
	v_cndmask_b32_e64 v16, v16, v18, s[20:21]
	v_ldexp_f32 v18, v132, v133
	v_fma_f32 v132, v63, s46, -v130
	v_rndne_f32_e32 v133, v130
	v_fmac_f32_e32 v132, 0x32a5705f, v63
	v_sub_f32_e32 v130, v130, v133
	v_add_f32_e32 v130, v130, v132
	v_exp_f32_e32 v130, v130
	v_cvt_i32_f32_e32 v132, v133
	v_cmp_ngt_f32_e32 vcc, s47, v131
	ds_read_u16 v13, v105 offset:176
	ds_read_u16 v14, v105 offset:352
	v_cndmask_b32_e32 v18, 0, v18, vcc
	v_cmp_nlt_f32_e32 vcc, s48, v131
	v_cvt_f16_f32_e32 v16, v16
	s_nop 0
	v_cndmask_b32_e32 v131, v128, v18, vcc
	v_ldexp_f32 v18, v130, v132
	v_cmp_ngt_f32_e32 vcc, s47, v63
	v_cvt_f16_f32_e32 v130, v10
	s_nop 0
	v_cndmask_b32_e32 v18, 0, v18, vcc
	v_cmp_nlt_f32_e32 vcc, s48, v63
	s_nop 1
	v_cndmask_b32_e32 v18, v128, v18, vcc
	v_cmp_le_f32_e32 vcc, s49, v63
	s_nop 1
	v_cndmask_b32_e32 v63, 0, v18, vcc
	v_cvt_f16_f32_e32 v134, v63
	v_add_f32_e32 v18, v131, v9
	v_cndmask_b32_e64 v18, v9, v18, s[22:23]
	v_fmac_f32_e32 v18, v129, v63
	v_pk_mul_f16 v63, v134, v79 op_sel_hi:[0,1]
	v_mov_b32_e32 v9, s45
	v_pk_mul_f16 v79, v134, v80 op_sel_hi:[0,1]
	v_pk_mul_f16 v80, v134, v74 op_sel_hi:[0,1]
	;; [unrolled: 1-line block ×3, first 2 shown]
	v_cndmask_b32_e64 v74, v9, v131, s[22:23]
	v_cvt_f16_f32_e32 v75, v135
	v_cvt_f16_f32_e32 v131, v11
	v_cvt_f32_f16_e32 v10, v63
	v_cvt_f32_f16_sdwa v11, v63 dst_sel:DWORD dst_unused:UNUSED_PAD src0_sel:WORD_1
	ds_read_u16 v63, v107 offset:352
	ds_read_u16 v15, v106
	ds_read_u16 v135, v106 offset:32
	ds_read_u16 v136, v106 offset:64
	;; [unrolled: 1-line block ×6, first 2 shown]
	v_cndmask_b32_e64 v9, v9, v19, s[14:15]
	v_cvt_f16_f32_e32 v19, v139
	s_waitcnt lgkmcnt(6)
	v_perm_b32 v15, v15, v14, s50
	ds_read_u16 v14, v104
	ds_read_u16 v139, v104 offset:32
	ds_read_u16 v140, v104 offset:64
	;; [unrolled: 1-line block ×5, first 2 shown]
	v_pk_mul_f16 v78, v134, v78 op_sel_hi:[0,1]
	v_cvt_f16_f32_e32 v9, v9
	s_waitcnt lgkmcnt(5)
	v_perm_b32 v14, v13, v14, s50
	v_cvt_f32_f16_e32 v12, v78
	v_cvt_f32_f16_sdwa v13, v78 dst_sel:DWORD dst_unused:UNUSED_PAD src0_sel:WORD_1
	v_pack_b32_f16 v130, v130, v131
	v_pack_b32_f16 v131, v17, v9
	v_cvt_f16_f32_e32 v74, v74
	v_pk_mul_f16 v76, v134, v76 op_sel_hi:[0,1]
	v_mfma_f32_16x16x16_f16 v[10:13], v[14:15], v[130:131], v[10:13]
	v_perm_b32 v15, v133, v63, s50
	s_waitcnt lgkmcnt(1)
	v_perm_b32 v14, v132, v142, s50
	v_pack_b32_f16 v132, v19, v75
	v_pack_b32_f16 v133, v16, v74
	v_cvt_f32_f16_e32 v16, v80
	s_nop 0
	v_cvt_f16_f32_e32 v9, v10
	v_cvt_f16_f32_e32 v11, v11
	;; [unrolled: 1-line block ×4, first 2 shown]
	v_cvt_f32_f16_e32 v10, v9
	v_cvt_f32_f16_e32 v11, v11
	;; [unrolled: 1-line block ×4, first 2 shown]
	v_pk_mul_f16 v9, v134, v73 op_sel_hi:[0,1]
	v_pk_mul_f16 v77, v134, v77 op_sel_hi:[0,1]
	v_mfma_f32_16x16x16_f16 v[10:13], v[14:15], v[132:133], v[10:13]
	v_cvt_f32_f16_e32 v14, v79
	v_cvt_f32_f16_sdwa v15, v79 dst_sel:DWORD dst_unused:UNUSED_PAD src0_sel:WORD_1
	ds_read_u16 v17, v108 offset:176
	ds_read_u16 v19, v108 offset:352
	;; [unrolled: 1-line block ×8, first 2 shown]
	s_waitcnt lgkmcnt(6)
	v_perm_b32 v75, v135, v19, s50
	v_perm_b32 v74, v17, v139, s50
	v_cvt_f32_f16_sdwa v17, v80 dst_sel:DWORD dst_unused:UNUSED_PAD src0_sel:WORD_1
	v_pk_mul_f16 v19, v134, v71 op_sel_hi:[0,1]
	v_cvt_f16_f32_e32 v71, v10
	v_mfma_f32_16x16x16_f16 v[14:17], v[74:75], v[130:131], v[14:17]
	s_waitcnt lgkmcnt(2)
	v_perm_b32 v75, v79, v78, s50
	v_perm_b32 v74, v73, v63, s50
	v_cvt_f16_f32_e32 v63, v11
	v_cvt_f16_f32_e32 v73, v12
	s_nop 1
	v_cvt_f16_f32_e32 v10, v14
	v_cvt_f16_f32_e32 v15, v15
	;; [unrolled: 1-line block ×4, first 2 shown]
	v_cvt_f32_f16_e32 v14, v10
	v_cvt_f32_f16_e32 v15, v15
	;; [unrolled: 1-line block ×4, first 2 shown]
	v_cvt_f16_f32_e32 v78, v13
	v_pack_b32_f16 v79, v71, v63
	v_mfma_f32_16x16x16_f16 v[10:13], v[74:75], v[132:133], v[14:17]
	s_waitcnt lgkmcnt(0)
	v_perm_b32 v75, v136, v144, s50
	v_perm_b32 v74, v142, v140, s50
	v_cvt_f32_f16_e32 v14, v76
	v_cvt_f32_f16_sdwa v15, v76 dst_sel:DWORD dst_unused:UNUSED_PAD src0_sel:WORD_1
	v_cvt_f32_f16_e32 v16, v129
	v_cvt_f32_f16_sdwa v17, v129 dst_sel:DWORD dst_unused:UNUSED_PAD src0_sel:WORD_1
	v_cvt_f16_f32_e32 v63, v10
	v_pk_mul_f16 v69, v134, v69 op_sel_hi:[0,1]
	v_mfma_f32_16x16x16_f16 v[14:17], v[74:75], v[130:131], v[14:17]
	v_pack_b32_f16 v78, v73, v78
	v_cvt_f16_f32_e32 v135, v13
	v_cmp_lt_i32_e32 vcc, s40, v86
	s_and_b64 vcc, exec, vcc
	s_nop 2
	v_cvt_f16_f32_e32 v10, v14
	v_cvt_f16_f32_e32 v15, v15
	;; [unrolled: 1-line block ×4, first 2 shown]
	v_cvt_f32_f16_e32 v14, v10
	ds_read_u16 v10, v113 offset:5632
	ds_read_u16 v71, v114 offset:176
	ds_read_u16 v73, v114 offset:352
	ds_read_u16 v74, v115 offset:5632
	ds_read_u16 v76, v116 offset:176
	ds_read_u16 v80, v116 offset:352
	ds_read_u16 v129, v117 offset:5632
	ds_read_u16 v134, v118 offset:176
	s_waitcnt lgkmcnt(4)
	v_perm_b32 v75, v74, v73, s50
	v_perm_b32 v74, v71, v10, s50
	v_cvt_f32_f16_e32 v15, v15
	v_cvt_f32_f16_e32 v16, v16
	;; [unrolled: 1-line block ×3, first 2 shown]
	v_cvt_f16_f32_e32 v71, v11
	v_cvt_f16_f32_e32 v73, v12
	v_mfma_f32_16x16x16_f16 v[10:13], v[74:75], v[132:133], v[14:17]
	s_waitcnt lgkmcnt(3)
	v_perm_b32 v76, v76, v141, s50
	v_pack_b32_f16 v74, v73, v135
	v_cvt_f32_f16_e32 v14, v77
	v_cvt_f32_f16_sdwa v15, v77 dst_sel:DWORD dst_unused:UNUSED_PAD src0_sel:WORD_1
	s_waitcnt lgkmcnt(2)
	v_perm_b32 v77, v137, v80, s50
	v_cvt_f32_f16_e32 v16, v9
	v_cvt_f32_f16_sdwa v17, v9 dst_sel:DWORD dst_unused:UNUSED_PAD src0_sel:WORD_1
	v_cvt_f16_f32_e32 v9, v10
	v_pack_b32_f16 v80, v63, v71
	v_mfma_f32_16x16x16_f16 v[14:17], v[76:77], v[130:131], v[14:17]
	s_waitcnt lgkmcnt(0)
	v_perm_b32 v76, v134, v129, s50
	v_cvt_f16_f32_e32 v75, v12
	v_cvt_f16_f32_e32 v129, v13
	v_pack_b32_f16 v75, v75, v129
	s_nop 1
	v_cvt_f16_f32_e32 v10, v14
	v_cvt_f16_f32_e32 v15, v15
	;; [unrolled: 1-line block ×4, first 2 shown]
	v_cvt_f32_f16_e32 v14, v10
	ds_read_u16 v10, v118 offset:352
	ds_read_u16 v63, v119 offset:5632
	ds_read_u16 v71, v120 offset:176
	ds_read_u16 v73, v120 offset:352
	ds_read_u16 v136, v121 offset:5632
	ds_read_u16 v137, v122 offset:176
	ds_read_u16 v139, v122 offset:352
	ds_read_u16 v140, v123 offset:5632
	s_waitcnt lgkmcnt(6)
	v_perm_b32 v77, v63, v10, s50
	v_cvt_f32_f16_e32 v15, v15
	v_cvt_f32_f16_e32 v16, v16
	;; [unrolled: 1-line block ×3, first 2 shown]
	s_waitcnt lgkmcnt(4)
	v_perm_b32 v135, v138, v73, s50
	v_perm_b32 v134, v71, v143, s50
	v_cvt_f16_f32_e32 v63, v11
	v_mfma_f32_16x16x16_f16 v[10:13], v[76:77], v[132:133], v[14:17]
	s_waitcnt lgkmcnt(0)
	s_barrier
	v_pack_b32_f16 v76, v9, v63
	v_cvt_f32_f16_e32 v14, v19
	v_cvt_f32_f16_sdwa v15, v19 dst_sel:DWORD dst_unused:UNUSED_PAD src0_sel:WORD_1
	v_cvt_f32_f16_e32 v16, v69
	v_cvt_f32_f16_sdwa v17, v69 dst_sel:DWORD dst_unused:UNUSED_PAD src0_sel:WORD_1
	v_cvt_f16_f32_e32 v9, v10
	v_cvt_f16_f32_e32 v19, v11
	v_mfma_f32_16x16x16_f16 v[14:17], v[134:135], v[130:131], v[14:17]
	v_perm_b32 v131, v140, v139, s50
	v_perm_b32 v130, v137, v136, s50
	v_cvt_f16_f32_e32 v63, v12
	v_cvt_f16_f32_e32 v69, v13
	s_nop 2
	v_cvt_f16_f32_e32 v10, v14
	v_cvt_f16_f32_e32 v15, v15
	v_cvt_f16_f32_e32 v16, v16
	v_cvt_f16_f32_e32 v17, v17
	v_cvt_f32_f16_e32 v14, v10
	v_cvt_f32_f16_e32 v15, v15
	;; [unrolled: 1-line block ×4, first 2 shown]
	v_pack_b32_f16 v77, v9, v19
	v_pack_b32_f16 v73, v63, v69
	v_mfma_f32_16x16x16_f16 v[10:13], v[130:131], v[132:133], v[14:17]
	s_nop 6
	v_cvt_f16_f32_e32 v10, v10
	v_cvt_f16_f32_e32 v11, v11
	;; [unrolled: 1-line block ×4, first 2 shown]
	v_pack_b32_f16 v71, v10, v11
	v_pack_b32_f16 v69, v12, v13
	s_cbranch_vccz .LBB9_281
; %bb.278:                              ;   in Loop: Header=BB9_265 Depth=1
	v_mov_b32_e32 v129, v18
	v_mov_b32_e32 v130, v25
	s_branch .LBB9_265
.LBB9_279:
                                        ; implicit-def: $sgpr6_sgpr7
                                        ; kill: killed $sgpr6_sgpr7
	s_load_dwordx2 s[86:87], s[0:1], 0x5c
	s_branch .LBB9_7
.LBB9_280:
	v_mov_b32_e32 v18, 0
	v_mov_b32_e32 v25, 0xfeffffff
	;; [unrolled: 1-line block ×11, first 2 shown]
.LBB9_281:
	s_lshl_b32 s24, s40, 6
	v_readlane_b32 s0, v221, 4
	s_sub_i32 s26, s0, s24
	v_readlane_b32 s1, v221, 5
	s_cmp_lg_u64 s[2:3], 0
	s_cselect_b64 s[0:1], -1, 0
	s_ashr_i32 s25, s24, 31
	s_cmp_eq_u64 s[2:3], 0
	s_cbranch_scc1 .LBB9_299
; %bb.282:
	s_lshl_b64 s[4:5], s[24:25], 1
	s_add_u32 s2, s2, s4
	s_addc_u32 s3, s3, s5
	v_mov_b32_e32 v33, 0
	v_cmp_gt_i32_e32 vcc, s26, v21
	v_lshl_add_u64 v[8:9], s[2:3], 0, v[32:33]
	v_mov_b32_e32 v11, 0
	s_and_saveexec_b64 s[2:3], vcc
	s_cbranch_execz .LBB9_284
; %bb.283:
	v_add_u32_e32 v10, s42, v98
	v_mul_hi_u32 v11, s86, v10
	v_add_u32_e32 v11, v10, v11
	v_lshrrev_b32_e32 v11, s87, v11
	v_mul_lo_u32 v11, v11, s72
	v_sub_u32_e32 v10, v10, v11
	v_mad_i64_i32 v[10:11], s[4:5], v10, s76, 0
	v_lshl_add_u64 v[10:11], v[10:11], 1, v[8:9]
	flat_load_ushort v11, v[10:11]
.LBB9_284:
	s_or_b64 exec, exec, s[2:3]
	s_movk_i32 s2, 0x90
	v_mad_u32_u24 v10, v98, s2, 0
	v_lshl_add_u32 v12, v21, 1, v10
	s_waitcnt vmcnt(0) lgkmcnt(0)
	ds_write_b16 v12, v11 offset:11264
	s_and_saveexec_b64 s[2:3], vcc
	s_cbranch_execz .LBB9_286
; %bb.285:
	v_add3_u32 v11, v98, s42, 4
	v_mul_hi_u32 v12, s86, v11
	v_add_u32_e32 v12, v11, v12
	v_lshrrev_b32_e32 v12, s87, v12
	v_mul_lo_u32 v12, v12, s72
	v_sub_u32_e32 v11, v11, v12
	v_mad_i64_i32 v[12:13], s[4:5], v11, s76, 0
	v_lshl_add_u64 v[12:13], v[12:13], 1, v[8:9]
	flat_load_ushort v33, v[12:13]
.LBB9_286:
	s_or_b64 exec, exec, s[2:3]
	v_add_u32_e32 v11, 0x240, v10
	v_lshl_add_u32 v10, v21, 1, v11
	s_waitcnt vmcnt(0) lgkmcnt(0)
	ds_write_b16 v10, v33 offset:11264
	v_mov_b32_e32 v10, 0
	v_mov_b32_e32 v12, 0
	s_and_saveexec_b64 s[2:3], vcc
	s_cbranch_execz .LBB9_288
; %bb.287:
	v_add3_u32 v12, v98, s42, 8
	v_mul_hi_u32 v13, s86, v12
	v_add_u32_e32 v13, v12, v13
	v_lshrrev_b32_e32 v13, s87, v13
	v_mul_lo_u32 v13, v13, s72
	v_sub_u32_e32 v12, v12, v13
	v_mad_i64_i32 v[12:13], s[4:5], v12, s76, 0
	v_lshl_add_u64 v[12:13], v[12:13], 1, v[8:9]
	flat_load_ushort v12, v[12:13]
.LBB9_288:
	s_or_b64 exec, exec, s[2:3]
	v_add_u32_e32 v11, 0x240, v11
	v_lshl_add_u32 v13, v21, 1, v11
	s_waitcnt vmcnt(0) lgkmcnt(0)
	ds_write_b16 v13, v12 offset:11264
	s_and_saveexec_b64 s[2:3], vcc
	s_cbranch_execz .LBB9_290
; %bb.289:
	v_add3_u32 v10, v98, s42, 12
	v_mul_hi_u32 v12, s86, v10
	v_add_u32_e32 v12, v10, v12
	v_lshrrev_b32_e32 v12, s87, v12
	v_mul_lo_u32 v12, v12, s72
	v_sub_u32_e32 v10, v10, v12
	v_mad_i64_i32 v[12:13], s[4:5], v10, s76, 0
	v_lshl_add_u64 v[12:13], v[12:13], 1, v[8:9]
	flat_load_ushort v10, v[12:13]
.LBB9_290:
	s_or_b64 exec, exec, s[2:3]
	v_add_u32_e32 v11, 0x240, v11
	v_lshl_add_u32 v12, v21, 1, v11
	s_waitcnt vmcnt(0) lgkmcnt(0)
	ds_write_b16 v12, v10 offset:11264
	v_mov_b32_e32 v10, 0
	v_mov_b32_e32 v12, 0
	s_and_saveexec_b64 s[2:3], vcc
	s_cbranch_execz .LBB9_292
; %bb.291:
	v_add3_u32 v12, v98, s42, 16
	v_mul_hi_u32 v13, s86, v12
	v_add_u32_e32 v13, v12, v13
	v_lshrrev_b32_e32 v13, s87, v13
	v_mul_lo_u32 v13, v13, s72
	v_sub_u32_e32 v12, v12, v13
	v_mad_i64_i32 v[12:13], s[4:5], v12, s76, 0
	v_lshl_add_u64 v[12:13], v[12:13], 1, v[8:9]
	flat_load_ushort v12, v[12:13]
.LBB9_292:
	s_or_b64 exec, exec, s[2:3]
	v_add_u32_e32 v11, 0x240, v11
	;; [unrolled: 38-line block ×3, first 2 shown]
	v_lshl_add_u32 v11, v21, 1, v11
	s_waitcnt vmcnt(0) lgkmcnt(0)
	ds_write_b16 v11, v12 offset:11264
	s_and_saveexec_b64 s[2:3], vcc
	s_cbranch_execz .LBB9_298
; %bb.297:
	v_add3_u32 v10, v98, s42, 28
	v_mul_hi_u32 v12, s86, v10
	v_add_u32_e32 v12, v10, v12
	v_lshrrev_b32_e32 v12, s87, v12
	v_mul_lo_u32 v12, v12, s72
	v_sub_u32_e32 v10, v10, v12
	v_mad_i64_i32 v[12:13], s[4:5], v10, s76, 0
	v_lshl_add_u64 v[8:9], v[12:13], 1, v[8:9]
	flat_load_ushort v10, v[8:9]
.LBB9_298:
	s_or_b64 exec, exec, s[2:3]
	s_waitcnt vmcnt(0) lgkmcnt(0)
	ds_write_b16 v11, v10 offset:11840
.LBB9_299:
	s_mul_hi_i32 s3, s24, s88
	s_mul_i32 s2, s24, s88
	s_lshl_b64 s[2:3], s[2:3], 2
	s_add_u32 s2, s43, s2
	v_mov_b32_e32 v8, 0
	v_lshl_add_u32 v32, v98, 5, v85
	s_addc_u32 s3, s44, s3
	s_mov_b64 s[4:5], src_private_base
	v_mov_b32_e32 v9, v8
	v_mov_b32_e32 v10, v8
	;; [unrolled: 1-line block ×3, first 2 shown]
	v_cmp_gt_u32_e64 s[18:19], 64, v32
	scratch_store_dwordx4 off, v[8:11], off
                                        ; implicit-def: $vgpr33
	s_and_saveexec_b64 s[6:7], s[18:19]
	s_xor_b64 s[6:7], exec, s[6:7]
	s_cbranch_execz .LBB9_301
; %bb.300:
	v_mul_lo_u32 v10, s88, v32
	v_ashrrev_i32_e32 v11, 31, v10
	v_lshlrev_b32_e32 v9, 4, v21
	v_lshl_add_u64 v[10:11], v[10:11], 2, s[2:3]
	v_and_b32_e32 v12, 16, v9
	v_mov_b32_e32 v13, v8
	v_lshl_add_u64 v[8:9], v[10:11], 0, v[12:13]
	s_mov_b64 s[8:9], 0x80
	v_lshl_add_u64 v[8:9], v[8:9], 0, s[8:9]
	v_mov_b32_e32 v10, s5
	v_cmp_gt_i32_e32 vcc, s26, v32
	v_mul_u32_u24_e32 v13, 0xb0, v32
	v_add3_u32 v12, 0, v13, v12
	v_cndmask_b32_e32 v9, v10, v9, vcc
	v_mov_b32_e32 v10, 0
	v_cndmask_b32_e32 v8, v10, v8, vcc
	flat_load_dwordx4 v[8:11], v[8:9]
	v_lshlrev_b32_e32 v33, 2, v21
	s_waitcnt vmcnt(0) lgkmcnt(0)
	ds_write_b128 v12, v[8:11] offset:128
.LBB9_301:
	s_andn2_saveexec_b64 s[6:7], s[6:7]
; %bb.302:
	v_lshlrev_b32_e32 v33, 2, v21
; %bb.303:
	s_or_b64 exec, exec, s[6:7]
	v_and_b32_e32 v8, 28, v33
	v_mov_b32_e32 v17, 0
	v_lshlrev_b32_e32 v16, 2, v8
	v_lshl_add_u64 v[8:9], v[30:31], 2, s[2:3]
	v_lshl_add_u64 v[8:9], v[8:9], 0, v[16:17]
	v_mov_b32_e32 v14, s5
	v_cmp_gt_i32_e64 s[14:15], s26, v81
	v_mov_b32_e32 v15, 0
	v_ashrrev_i32_e32 v29, 31, v28
	v_cndmask_b32_e64 v9, v14, v9, s[14:15]
	v_cndmask_b32_e64 v8, v15, v8, s[14:15]
	flat_load_dwordx4 v[8:11], v[8:9]
	v_mul_u32_u24_e32 v19, 0xb0, v81
	v_lshl_add_u64 v[12:13], v[28:29], 2, s[2:3]
	v_add3_u32 v29, 0, v19, v16
	v_lshl_add_u64 v[12:13], v[12:13], 0, v[16:17]
	v_cmp_gt_i32_e64 s[12:13], s26, v72
	v_and_b32_e32 v17, 16, v99
	v_readlane_b32 s56, v221, 24
	v_cndmask_b32_e64 v13, v14, v13, s[12:13]
	v_cndmask_b32_e64 v12, v15, v12, s[12:13]
	v_readlane_b32 s70, v221, 38
	v_readlane_b32 s71, v221, 39
	s_and_b64 vcc, exec, s[0:1]
	s_mov_b64 s[30:31], s[70:71]
	v_readlane_b32 s57, v221, 25
	v_readlane_b32 s58, v221, 26
	;; [unrolled: 1-line block ×13, first 2 shown]
	s_waitcnt vmcnt(0) lgkmcnt(0)
	ds_write_b128 v29, v[8:11]
	flat_load_dwordx4 v[8:11], v[12:13]
	v_add_u32_e32 v12, 0, v83
	v_mul_u32_u24_e32 v13, 0xb0, v17
	v_add3_u32 v19, v12, v84, v13
	v_add_u32_e32 v28, 0x1000, v19
	s_waitcnt vmcnt(0) lgkmcnt(0)
	ds_write_b128 v29, v[8:11] offset:5632
	s_waitcnt lgkmcnt(0)
	s_barrier
	ds_read2_b64 v[8:11], v19 offset1:4
	ds_read2_b64 v[34:37], v28 offset0:192 offset1:196
	s_waitcnt lgkmcnt(1)
	v_mfma_f32_16x16x16_f16 v[12:15], v[8:9], v[4:5], 0
	s_waitcnt lgkmcnt(0)
	v_mfma_f32_16x16x16_f16 v[38:41], v[34:35], v[4:5], 0
	v_mfma_f32_16x16x16_f16 v[8:11], v[10:11], v[6:7], v[12:15]
	s_nop 3
	ds_read2_b64 v[12:15], v19 offset0:8 offset1:12
	v_mfma_f32_16x16x16_f16 v[4:7], v[36:37], v[6:7], v[38:41]
	ds_read2_b64 v[34:37], v28 offset0:200 offset1:204
	v_and_b32_e32 v28, 0xfc, v70
	v_add_u32_e32 v17, v17, v28
	s_waitcnt lgkmcnt(1)
	v_mfma_f32_16x16x16_f16 v[8:11], v[12:13], v[0:1], v[8:11]
	s_waitcnt lgkmcnt(0)
	v_mfma_f32_16x16x16_f16 v[4:7], v[34:35], v[0:1], v[4:7]
	v_mfma_f32_16x16x16_f16 v[8:11], v[14:15], v[2:3], v[8:11]
	ds_read_b64 v[12:13], v19 offset:128
	ds_read_b64 v[14:15], v19 offset:5760
	v_add_u32_e32 v19, 32, v17
	s_waitcnt lgkmcnt(0)
	v_mfma_f32_16x16x16_f16 v[0:3], v[36:37], v[2:3], v[4:7]
	s_barrier
	v_mfma_f32_16x16x16_f16 v[8:11], v[12:13], v[26:27], v[8:11]
	v_mfma_f32_16x16x16_f16 v[12:15], v[14:15], v[26:27], v[0:3]
	v_add_u32_e32 v26, 34, v17
	s_cbranch_vccz .LBB9_322
; %bb.304:
	s_movk_i32 s0, 0x90
	s_nop 0
	v_mad_u32_u24 v2, v82, s0, 0
	v_lshlrev_b32_e32 v0, 1, v17
	s_movk_i32 s0, 0x2c00
	v_add_u32_e32 v30, 32, v17
	v_add3_u32 v0, v2, v0, s0
	v_lshl_add_u32 v3, v30, 1, v2
	v_add_u32_e32 v27, 34, v17
	ds_read2_b32 v[0:1], v0 offset1:1
	v_lshl_add_u32 v2, v27, 1, v2
	ds_read_b32 v4, v3 offset:11264
	ds_read_b32 v5, v2 offset:11264
	s_waitcnt lgkmcnt(2)
	v_cvt_f32_f16_e32 v2, v0
	v_cvt_f32_f16_sdwa v3, v0 dst_sel:DWORD dst_unused:UNUSED_PAD src0_sel:WORD_1
	v_cvt_f32_f16_e32 v0, v1
	v_cvt_f32_f16_sdwa v1, v1 dst_sel:DWORD dst_unused:UNUSED_PAD src0_sel:WORD_1
	s_waitcnt lgkmcnt(1)
	v_cvt_f32_f16_e32 v34, v4
	s_waitcnt lgkmcnt(0)
	v_cvt_f32_f16_e32 v36, v5
	v_cvt_f32_f16_sdwa v37, v5 dst_sel:DWORD dst_unused:UNUSED_PAD src0_sel:WORD_1
	v_cvt_f32_f16_sdwa v35, v4 dst_sel:DWORD dst_unused:UNUSED_PAD src0_sel:WORD_1
	v_pk_fma_f32 v[6:7], v[24:25], v[0:1], v[10:11] op_sel_hi:[0,1,1]
	v_pk_fma_f32 v[4:5], v[24:25], v[2:3], v[8:9] op_sel_hi:[0,1,1]
	;; [unrolled: 1-line block ×4, first 2 shown]
	s_cbranch_execnz .LBB9_306
.LBB9_305:
	s_nop 3
	v_mov_b64_e32 v[0:1], v[12:13]
	v_mov_b64_e32 v[4:5], v[8:9]
	v_mov_b32_e32 v27, v26
	v_mov_b32_e32 v30, v19
	v_mov_b64_e32 v[2:3], v[14:15]
	v_mov_b64_e32 v[6:7], v[10:11]
.LBB9_306:
	v_add_f32_e32 v8, 0x40051340, v4
	v_max_f32_e32 v9, v25, v25
	v_max_f32_e32 v8, v9, v8
	v_cmp_gt_u32_e64 s[16:17], s26, v17
	v_or_b32_e32 v9, 1, v17
	v_add_f32_e32 v10, 0x40051340, v5
	v_cndmask_b32_e64 v8, v25, v8, s[16:17]
	v_max_f32_e32 v11, v8, v8
	v_max_f32_e32 v10, v11, v10
	v_cmp_gt_u32_e64 s[10:11], s26, v9
	v_or_b32_e32 v9, 2, v17
	v_cmp_gt_u32_e64 s[8:9], s26, v9
	v_cndmask_b32_e64 v8, v8, v10, s[10:11]
	v_add_f32_e32 v10, 0x40051340, v6
	v_max_f32_e32 v11, v8, v8
	v_max_f32_e32 v10, v11, v10
	v_cndmask_b32_e64 v8, v8, v10, s[8:9]
	v_or_b32_e32 v9, 3, v17
	v_add_f32_e32 v10, 0x40051340, v7
	v_max_f32_e32 v11, v8, v8
	v_max_f32_e32 v10, v11, v10
	v_cmp_gt_u32_e64 s[6:7], s26, v9
	v_add_f32_e32 v9, 0x40051340, v0
	v_cmp_gt_u32_e64 s[4:5], s26, v30
	v_cndmask_b32_e64 v8, v8, v10, s[6:7]
	v_max_f32_e32 v10, v8, v8
	v_max_f32_e32 v9, v10, v9
	v_cndmask_b32_e64 v8, v8, v9, s[4:5]
	v_add_u32_e32 v9, 33, v17
	v_add_f32_e32 v10, 0x40051340, v1
	v_max_f32_e32 v11, v8, v8
	v_max_f32_e32 v10, v11, v10
	v_cmp_gt_u32_e64 s[20:21], s26, v9
	v_add_f32_e32 v9, 0x40051340, v2
	v_cmp_gt_u32_e64 s[0:1], s26, v27
	v_cndmask_b32_e64 v8, v8, v10, s[20:21]
	v_max_f32_e32 v10, v8, v8
	v_max_f32_e32 v9, v10, v9
	v_cndmask_b32_e64 v8, v8, v9, s[0:1]
	v_add_u32_e32 v9, 35, v17
	v_add_f32_e32 v10, 0x40051340, v3
	v_max_f32_e32 v11, v8, v8
	v_max_f32_e32 v10, v11, v10
	v_cmp_gt_u32_e32 vcc, s26, v9
	v_mbcnt_hi_u32_b32 v9, -1, v102
	v_xor_b32_e32 v11, 32, v9
	v_cndmask_b32_e32 v8, v8, v10, vcc
	v_and_b32_e32 v10, 64, v9
	v_add_u32_e32 v10, 64, v10
	v_cmp_lt_i32_e64 s[22:23], v11, v10
	s_mul_hi_i32 s3, s24, s74
	s_mul_i32 s2, s24, s74
	v_cndmask_b32_e64 v11, v9, v11, s[22:23]
	v_lshlrev_b32_e32 v19, 2, v11
	ds_bpermute_b32 v11, v19, v8
	v_max_f32_e32 v8, v8, v8
	s_lshl_b64 s[2:3], s[2:3], 2
	s_add_u32 s2, s33, s2
	v_add_u32_e32 v12, 0x1600, v29
	s_waitcnt lgkmcnt(0)
	v_max_f32_e32 v11, v11, v11
	v_max_f32_e32 v13, v8, v11
	v_xor_b32_e32 v8, 16, v9
	v_cmp_lt_i32_e64 s[22:23], v8, v10
	s_addc_u32 s3, s41, s3
	s_nop 0
	v_cndmask_b32_e64 v8, v9, v8, s[22:23]
	v_lshlrev_b32_e32 v26, 2, v8
	ds_bpermute_b32 v14, v26, v13
	s_mov_b64 s[22:23], src_private_base
	v_mov_b32_e32 v8, 0
	s_mov_b32 s22, 0
	v_mov_b32_e32 v9, v8
	v_mov_b32_e32 v10, v8
	v_mov_b32_e32 v11, v8
	scratch_store_dwordx4 off, v[8:11], off
	s_and_saveexec_b64 s[24:25], s[18:19]
	s_cbranch_execz .LBB9_308
; %bb.307:
	v_mul_lo_u32 v30, s74, v32
	v_lshlrev_b32_e32 v9, 2, v33
	v_ashrrev_i32_e32 v31, 31, v30
	v_and_b32_e32 v10, 16, v9
	v_lshl_add_u64 v[30:31], v[30:31], 2, s[2:3]
	v_mov_b32_e32 v11, v8
	v_lshl_add_u64 v[30:31], v[30:31], 0, v[10:11]
	s_mov_b64 s[18:19], 0x80
	v_lshl_add_u64 v[30:31], v[30:31], 0, s[18:19]
	v_mov_b32_e32 v9, s23
	v_cmp_gt_i32_e64 s[18:19], s26, v32
	s_nop 1
	v_cndmask_b32_e64 v31, v9, v31, s[18:19]
	v_mov_b32_e32 v9, 0
	v_cndmask_b32_e64 v30, v9, v30, s[18:19]
	flat_load_dwordx4 v[34:37], v[30:31]
	v_mul_u32_u24_e32 v9, 0xb0, v32
	v_add3_u32 v9, 0, v9, v10
	s_waitcnt vmcnt(0) lgkmcnt(0)
	ds_write_b128 v9, v[34:37] offset:128
.LBB9_308:
	s_or_b64 exec, exec, s[24:25]
	s_waitcnt lgkmcnt(0)
	v_max_f32_e32 v9, v14, v14
	v_max_f32_e32 v10, v13, v13
	;; [unrolled: 1-line block ×3, first 2 shown]
	v_sub_f32_e32 v4, v4, v24
	s_mov_b32 s25, 0x3fb8aa3b
	v_mul_f32_e32 v9, 0x3fb8aa3b, v4
	v_fma_f32 v10, v4, s25, -v9
	v_rndne_f32_e32 v11, v9
	v_fmac_f32_e32 v10, 0x32a5705f, v4
	v_sub_f32_e32 v9, v9, v11
	v_add_f32_e32 v9, v9, v10
	v_exp_f32_e32 v9, v9
	v_cvt_i32_f32_e32 v10, v11
	s_mov_b32 s24, 0xc2ce8ed0
	v_cmp_ngt_f32_e64 s[18:19], s24, v4
	v_mov_b32_e32 v17, v8
	v_ldexp_f32 v9, v9, v10
	v_lshl_add_u64 v[10:11], v[22:23], 2, s[2:3]
	v_cndmask_b32_e64 v13, 0, v9, s[18:19]
	v_lshl_add_u64 v[8:9], v[10:11], 0, v[16:17]
	v_mov_b32_e32 v14, s23
	v_mov_b32_e32 v15, 0
	v_cndmask_b32_e64 v9, v14, v9, s[14:15]
	v_cndmask_b32_e64 v8, v15, v8, s[14:15]
	flat_load_dwordx4 v[8:11], v[8:9]
	v_sub_f32_e32 v5, v5, v24
	v_mul_f32_e32 v23, 0x3fb8aa3b, v5
	v_fma_f32 v27, v5, s25, -v23
	v_rndne_f32_e32 v30, v23
	v_fmac_f32_e32 v27, 0x32a5705f, v5
	v_sub_f32_e32 v23, v23, v30
	v_add_f32_e32 v23, v23, v27
	v_exp_f32_e32 v23, v23
	v_cvt_i32_f32_e32 v27, v30
	s_mov_b32 s18, 0x42b17218
	v_mov_b32_e32 v22, 0x7f800000
	v_cmp_nlt_f32_e64 s[14:15], s18, v4
	v_cndmask_b32_e64 v7, v7, v7, s[10:11]
	v_sub_f32_e32 v7, v7, v24
	v_cndmask_b32_e64 v4, v22, v13, s[14:15]
	v_ldexp_f32 v13, v23, v27
	v_cmp_ngt_f32_e64 s[14:15], s24, v5
	v_cndmask_b32_e64 v4, 0, v4, s[16:17]
	v_sub_f32_e32 v0, v0, v24
	v_cndmask_b32_e64 v13, 0, v13, s[14:15]
	v_cmp_nlt_f32_e64 s[14:15], s18, v5
	v_cndmask_b32_e64 v5, v6, v6, s[10:11]
	v_sub_f32_e32 v6, v5, v24
	v_mul_f32_e32 v5, 0x3fb8aa3b, v6
	v_fma_f32 v23, v6, s25, -v5
	v_rndne_f32_e32 v30, v5
	v_fmac_f32_e32 v23, 0x32a5705f, v6
	v_sub_f32_e32 v5, v5, v30
	v_add_f32_e32 v5, v5, v23
	v_exp_f32_e32 v23, v5
	v_cvt_i32_f32_e32 v30, v30
	v_cndmask_b32_e64 v13, v22, v13, s[14:15]
	v_mov_b32_e32 v5, s22
	v_add_f32_e32 v27, v13, v4
	v_cndmask_b32_e64 v5, v5, v13, s[10:11]
	v_ldexp_f32 v13, v23, v30
	v_mul_f32_e32 v23, 0x3fb8aa3b, v7
	v_fma_f32 v30, v7, s25, -v23
	v_rndne_f32_e32 v31, v23
	v_fmac_f32_e32 v30, 0x32a5705f, v7
	v_sub_f32_e32 v23, v23, v31
	v_add_f32_e32 v23, v23, v30
	v_exp_f32_e32 v23, v23
	v_cvt_i32_f32_e32 v30, v31
	v_cmp_ngt_f32_e64 s[14:15], s24, v6
	v_cndmask_b32_e64 v1, v1, v1, s[4:5]
	v_sub_f32_e32 v1, v1, v24
	v_cndmask_b32_e64 v13, 0, v13, s[14:15]
	v_cmp_nlt_f32_e64 s[14:15], s18, v6
	v_mov_b32_e32 v6, s22
	v_cndmask_b32_e64 v2, v2, v2, s[4:5]
	v_cndmask_b32_e64 v13, v22, v13, s[14:15]
	;; [unrolled: 1-line block ×3, first 2 shown]
	v_ldexp_f32 v6, v23, v30
	v_mul_f32_e32 v23, 0x3fb8aa3b, v0
	v_fma_f32 v30, v0, s25, -v23
	v_rndne_f32_e32 v32, v23
	v_fmac_f32_e32 v30, 0x32a5705f, v0
	v_sub_f32_e32 v23, v23, v32
	v_add_f32_e32 v23, v23, v30
	v_exp_f32_e32 v23, v23
	v_cvt_i32_f32_e32 v30, v32
	v_cmp_ngt_f32_e64 s[14:15], s24, v7
	v_sub_f32_e32 v2, v2, v24
	v_cndmask_b32_e64 v3, v3, v3, s[4:5]
	v_cndmask_b32_e64 v6, 0, v6, s[14:15]
	v_cmp_nlt_f32_e64 s[14:15], s18, v7
	v_sub_f32_e32 v3, v3, v24
	v_mul_u32_u24_e32 v38, 0xb0, v28
	v_cndmask_b32_e64 v32, v22, v6, s[14:15]
	v_ldexp_f32 v6, v23, v30
	v_cmp_ngt_f32_e64 s[14:15], s24, v0
	v_cvt_f16_f32_e32 v5, v5
	s_waitcnt vmcnt(0) lgkmcnt(0)
	ds_write_b128 v29, v[8:11]
	v_cndmask_b32_e64 v6, 0, v6, s[14:15]
	v_cmp_nlt_f32_e64 s[14:15], s18, v0
	v_mov_b32_e32 v0, s22
	v_cvt_f16_f32_e32 v29, v31
	v_cndmask_b32_e64 v30, v22, v6, s[14:15]
	v_mul_f32_e32 v6, 0x3fb8aa3b, v1
	v_fma_f32 v7, v1, s25, -v6
	v_rndne_f32_e32 v23, v6
	v_fmac_f32_e32 v7, 0x32a5705f, v1
	v_sub_f32_e32 v6, v6, v23
	v_add_f32_e32 v33, v6, v7
	v_mul_lo_u32 v6, s74, v72
	v_ashrrev_i32_e32 v7, 31, v6
	v_lshl_add_u64 v[6:7], v[6:7], 2, s[2:3]
	v_lshl_add_u64 v[6:7], v[6:7], 0, v[16:17]
	v_cndmask_b32_e64 v7, v14, v7, s[12:13]
	v_cndmask_b32_e64 v6, v15, v6, s[12:13]
	flat_load_dwordx4 v[6:9], v[6:7]
	v_exp_f32_e32 v10, v33
	v_cvt_i32_f32_e32 v11, v23
	v_cmp_ngt_f32_e64 s[12:13], s24, v1
	s_mov_b32 s2, 0xc1a00000
	v_cndmask_b32_e64 v0, v0, v30, s[4:5]
	v_ldexp_f32 v10, v10, v11
	v_mul_f32_e32 v11, 0x3fb8aa3b, v2
	v_fma_f32 v14, v2, s25, -v11
	v_rndne_f32_e32 v15, v11
	v_fmac_f32_e32 v14, 0x32a5705f, v2
	v_sub_f32_e32 v11, v11, v15
	v_add_f32_e32 v11, v11, v14
	v_exp_f32_e32 v11, v11
	v_cvt_i32_f32_e32 v14, v15
	v_cndmask_b32_e64 v10, 0, v10, s[12:13]
	v_cmp_nlt_f32_e64 s[12:13], s18, v1
	s_movk_i32 s3, 0x160
	v_mov_b32_e32 v1, s22
	v_cndmask_b32_e64 v33, v22, v10, s[12:13]
	v_ldexp_f32 v10, v11, v14
	v_cmp_ngt_f32_e64 s[12:13], s24, v2
	v_sub_f32_e32 v14, v25, v24
	v_cndmask_b32_e64 v1, v1, v33, s[20:21]
	v_cndmask_b32_e64 v10, 0, v10, s[12:13]
	v_cmp_nlt_f32_e64 s[12:13], s18, v2
	v_mul_f32_e32 v2, 0x3fb8aa3b, v3
	v_rndne_f32_e32 v11, v2
	v_cndmask_b32_e64 v34, v22, v10, s[12:13]
	v_fma_f32 v10, v3, s25, -v2
	v_fmac_f32_e32 v10, 0x32a5705f, v3
	v_sub_f32_e32 v2, v2, v11
	v_add_f32_e32 v2, v2, v10
	v_exp_f32_e32 v10, v2
	v_mul_f32_e32 v2, 0x3fb8aa3b, v14
	v_fma_f32 v15, v14, s25, -v2
	v_rndne_f32_e32 v16, v2
	v_fmac_f32_e32 v15, 0x32a5705f, v14
	v_sub_f32_e32 v2, v2, v16
	v_add_f32_e32 v2, v2, v15
	v_cvt_i32_f32_e32 v11, v11
	v_exp_f32_e32 v15, v2
	v_cvt_i32_f32_e32 v16, v16
	v_cmp_ngt_f32_e64 s[12:13], s24, v14
	v_ldexp_f32 v10, v10, v11
	v_cvt_f16_f32_e32 v23, v1
	v_ldexp_f32 v11, v15, v16
	v_cndmask_b32_e64 v11, 0, v11, s[12:13]
	v_cmp_nlt_f32_e64 s[12:13], s18, v14
	v_or_b32_e32 v16, 3, v70
	v_mul_u32_u24_e32 v37, 0xb0, v16
	v_cndmask_b32_e64 v11, v22, v11, s[12:13]
	v_cmp_le_f32_e64 s[12:13], s2, v14
	v_mul_u32_u24_e32 v16, 0x58, v28
	v_or_b32_e32 v16, v16, v65
	v_cndmask_b32_e64 v25, 0, v11, s[12:13]
	v_cvt_f16_f32_e32 v35, v25
	v_cmp_ngt_f32_e64 s[12:13], s24, v3
	v_lshlrev_b32_e32 v39, 1, v16
	s_mov_b32 s2, 0x5040100
	v_cndmask_b32_e64 v10, 0, v10, s[12:13]
	v_cmp_nlt_f32_e64 s[12:13], s18, v3
	v_mov_b32_e32 v3, s22
	v_mov_b32_e32 v2, s22
	v_cndmask_b32_e64 v36, v22, v10, s[12:13]
	v_cvt_f16_f32_e32 v22, v0
	v_mad_u32_u24 v0, v68, s3, 0
	v_pk_mul_f16 v10, v35, v79 op_sel_hi:[0,1]
	v_cndmask_b32_e32 v15, v3, v36, vcc
	v_cndmask_b32_e64 v3, v3, v32, s[6:7]
	v_cvt_f16_f32_e32 v31, v3
	v_add_u32_e32 v3, v0, v39
	v_cvt_f32_f16_sdwa v1, v10 dst_sel:DWORD dst_unused:UNUSED_PAD src0_sel:WORD_1
	v_cndmask_b32_e64 v2, v2, v34, s[0:1]
	v_pk_mul_f16 v11, v35, v78 op_sel_hi:[0,1]
	v_cvt_f16_f32_e32 v17, v4
	v_cvt_f16_f32_e32 v28, v2
	v_cvt_f32_f16_e32 v2, v11
	v_pk_mul_f16 v14, v35, v80 op_sel_hi:[0,1]
	v_pack_b32_f16 v22, v22, v23
	s_waitcnt vmcnt(0) lgkmcnt(0)
	ds_write_b128 v12, v[6:9]
	v_add3_u32 v6, v0, v38, v67
	v_add3_u32 v7, v0, v37, v67
	s_waitcnt lgkmcnt(0)
	s_barrier
	v_cvt_f32_f16_e32 v0, v10
	ds_read_u16 v8, v6 offset:5808
	ds_read_u16 v9, v7 offset:32
	;; [unrolled: 1-line block ×6, first 2 shown]
	ds_read_u16 v7, v7
	ds_read_u16 v42, v6 offset:5984
	ds_read_u16 v43, v6 offset:240
	;; [unrolled: 1-line block ×9, first 2 shown]
	s_waitcnt lgkmcnt(5)
	v_perm_b32 v7, v7, v16, s2
	ds_read_u16 v16, v6 offset:176
	ds_read_u16 v50, v6 offset:208
	ds_read_u16 v6, v3
	ds_read_u16 v51, v3 offset:32
	ds_read_u16 v52, v3 offset:64
	;; [unrolled: 1-line block ×5, first 2 shown]
	s_waitcnt lgkmcnt(5)
	v_perm_b32 v6, v16, v6, s2
	v_cvt_f32_f16_sdwa v3, v11 dst_sel:DWORD dst_unused:UNUSED_PAD src0_sel:WORD_1
	v_pack_b32_f16 v16, v17, v5
	v_pack_b32_f16 v17, v29, v31
	v_cvt_f16_f32_e32 v11, v15
	v_pk_mul_f16 v5, v35, v74 op_sel_hi:[0,1]
	v_mfma_f32_16x16x16_f16 v[0:3], v[6:7], v[16:17], v[0:3]
	v_perm_b32 v7, v10, v42, s2
	s_waitcnt lgkmcnt(1)
	v_perm_b32 v6, v8, v54, s2
	v_pack_b32_f16 v23, v28, v11
	v_perm_b32 v11, v9, v45, s2
	v_perm_b32 v10, v50, v51, s2
	s_nop 0
	v_cvt_f16_f32_e32 v0, v0
	v_cvt_f16_f32_e32 v1, v1
	v_cvt_f16_f32_e32 v2, v2
	v_cvt_f16_f32_e32 v3, v3
	v_cvt_f32_f16_e32 v0, v0
	v_cvt_f32_f16_e32 v1, v1
	;; [unrolled: 1-line block ×5, first 2 shown]
	v_cvt_f32_f16_sdwa v9, v5 dst_sel:DWORD dst_unused:UNUSED_PAD src0_sel:WORD_1
	v_mfma_f32_16x16x16_f16 v[0:3], v[6:7], v[22:23], v[0:3]
	v_cvt_f32_f16_e32 v6, v14
	v_cvt_f32_f16_sdwa v7, v14 dst_sel:DWORD dst_unused:UNUSED_PAD src0_sel:WORD_1
	v_cndmask_b32_e64 v14, v4, v27, s[10:11]
	v_mul_u32_u24_e32 v15, 0x160, v68
	v_mfma_f32_16x16x16_f16 v[4:7], v[10:11], v[16:17], v[6:9]
	v_add3_u32 v11, 0, 64, v15
	v_add3_u32 v27, v11, v38, v67
	s_nop 0
	v_add3_u32 v8, 0, 32, v15
	v_add_u32_e32 v9, v8, v39
	s_nop 1
	v_cvt_f16_f32_e32 v4, v4
	v_cvt_f16_f32_e32 v5, v5
	;; [unrolled: 1-line block ×4, first 2 shown]
	v_add3_u32 v10, v8, v38, v67
	v_add3_u32 v8, v8, v37, v67
	v_add_u32_e32 v15, v11, v39
	v_add3_u32 v11, v11, v37, v67
	ds_read_u16 v28, v9 offset:5632
	ds_read_u16 v29, v10 offset:5808
	;; [unrolled: 1-line block ×8, first 2 shown]
	s_waitcnt lgkmcnt(4)
	v_perm_b32 v9, v8, v9, s2
	v_perm_b32 v8, v29, v28, s2
	v_cvt_f32_f16_e32 v4, v4
	v_cvt_f32_f16_e32 v5, v5
	;; [unrolled: 1-line block ×4, first 2 shown]
	v_add_f32_e32 v13, v14, v13
	v_cndmask_b32_e64 v14, v14, v13, s[8:9]
	v_pk_mul_f16 v10, v35, v76 op_sel_hi:[0,1]
	v_pk_mul_f16 v11, v35, v75 op_sel_hi:[0,1]
	v_perm_b32 v13, v12, v46, s2
	v_perm_b32 v12, v43, v52, s2
	v_mfma_f32_16x16x16_f16 v[4:7], v[8:9], v[22:23], v[4:7]
	v_cvt_f32_f16_e32 v8, v10
	v_cvt_f32_f16_sdwa v9, v10 dst_sel:DWORD dst_unused:UNUSED_PAD src0_sel:WORD_1
	v_cvt_f32_f16_e32 v10, v11
	v_cvt_f32_f16_sdwa v11, v11 dst_sel:DWORD dst_unused:UNUSED_PAD src0_sel:WORD_1
	v_add_f32_e32 v28, v14, v32
	v_cndmask_b32_e64 v14, v14, v28, s[6:7]
	v_mfma_f32_16x16x16_f16 v[8:11], v[12:13], v[16:17], v[8:11]
	s_waitcnt lgkmcnt(0)
	v_perm_b32 v13, v42, v27, s2
	v_perm_b32 v12, v31, v15, s2
	v_add_f32_e32 v28, v30, v14
	v_cndmask_b32_e64 v27, v14, v28, s[4:5]
	s_nop 1
	v_cvt_f16_f32_e32 v8, v8
	v_cvt_f16_f32_e32 v9, v9
	;; [unrolled: 1-line block ×4, first 2 shown]
	v_cvt_f32_f16_e32 v8, v8
	v_cvt_f32_f16_e32 v9, v9
	;; [unrolled: 1-line block ×4, first 2 shown]
	v_pk_mul_f16 v14, v35, v77 op_sel_hi:[0,1]
	v_pk_mul_f16 v15, v35, v73 op_sel_hi:[0,1]
	v_perm_b32 v29, v40, v47, s2
	v_perm_b32 v28, v44, v53, s2
	v_mfma_f32_16x16x16_f16 v[8:11], v[12:13], v[22:23], v[8:11]
	v_cvt_f32_f16_e32 v12, v14
	v_cvt_f32_f16_sdwa v13, v14 dst_sel:DWORD dst_unused:UNUSED_PAD src0_sel:WORD_1
	v_cvt_f32_f16_e32 v14, v15
	v_cvt_f32_f16_sdwa v15, v15 dst_sel:DWORD dst_unused:UNUSED_PAD src0_sel:WORD_1
	s_add_i32 s4, 0, 0x60
	v_add_f32_e32 v30, v33, v27
	v_mfma_f32_16x16x16_f16 v[12:15], v[28:29], v[16:17], v[12:15]
	v_mov_b32_e32 v28, s4
	s_add_i32 s4, 0, 0x80
	v_mov_b32_e32 v32, s4
	v_cndmask_b32_e64 v27, v27, v30, s[20:21]
	s_nop 2
	v_cvt_f16_f32_e32 v12, v12
	v_cvt_f16_f32_e32 v13, v13
	;; [unrolled: 1-line block ×4, first 2 shown]
	v_mad_u32_u24 v28, v68, s3, v28
	v_mad_u32_u24 v32, v68, s3, v32
	v_add_f32_e32 v30, v34, v27
	v_add_u32_e32 v29, v28, v39
	v_add3_u32 v31, v28, v38, v67
	v_add3_u32 v28, v28, v37, v67
	;; [unrolled: 1-line block ×3, first 2 shown]
	v_add_u32_e32 v33, v32, v39
	v_add3_u32 v32, v32, v37, v67
	ds_read_u16 v37, v29 offset:5632
	ds_read_u16 v38, v31 offset:5808
	;; [unrolled: 1-line block ×8, first 2 shown]
	s_waitcnt lgkmcnt(4)
	v_perm_b32 v29, v28, v29, s2
	v_perm_b32 v28, v38, v37, s2
	v_cvt_f32_f16_e32 v12, v12
	v_cvt_f32_f16_e32 v13, v13
	;; [unrolled: 1-line block ×4, first 2 shown]
	v_cndmask_b32_e64 v27, v27, v30, s[0:1]
	v_pk_mul_f16 v30, v35, v71 op_sel_hi:[0,1]
	v_pk_mul_f16 v31, v35, v69 op_sel_hi:[0,1]
	v_perm_b32 v33, v41, v48, s2
	v_perm_b32 v32, v49, v56, s2
	v_mfma_f32_16x16x16_f16 v[12:15], v[28:29], v[22:23], v[12:15]
	v_cvt_f32_f16_e32 v28, v30
	v_cvt_f32_f16_sdwa v29, v30 dst_sel:DWORD dst_unused:UNUSED_PAD src0_sel:WORD_1
	v_cvt_f32_f16_e32 v30, v31
	v_cvt_f32_f16_sdwa v31, v31 dst_sel:DWORD dst_unused:UNUSED_PAD src0_sel:WORD_1
	v_add_f32_e32 v35, v36, v27
	v_cndmask_b32_e32 v27, v27, v35, vcc
	v_mfma_f32_16x16x16_f16 v[28:31], v[32:33], v[16:17], v[28:31]
	v_fmac_f32_e32 v27, v18, v25
	s_waitcnt lgkmcnt(0)
	v_perm_b32 v33, v42, v34, s2
	v_perm_b32 v32, v40, v39, s2
	s_movk_i32 s4, 0xb0
	s_nop 1
	v_cvt_f16_f32_e32 v25, v31
	v_cvt_f16_f32_e32 v16, v28
	;; [unrolled: 1-line block ×4, first 2 shown]
	v_cvt_f32_f16_e32 v31, v25
	ds_bpermute_b32 v25, v19, v27
	v_cvt_f32_f16_e32 v28, v16
	v_cvt_f32_f16_e32 v29, v17
	;; [unrolled: 1-line block ×3, first 2 shown]
	v_cmp_gt_u32_e64 s[0:1], 16, v21
	s_waitcnt lgkmcnt(0)
	v_mfma_f32_16x16x16_f16 v[16:19], v[32:33], v[22:23], v[28:31]
	v_add_f32_e32 v22, v27, v25
	ds_bpermute_b32 v23, v26, v22
	s_barrier
	s_waitcnt lgkmcnt(0)
	s_and_saveexec_b64 s[2:3], s[0:1]
	s_cbranch_execz .LBB9_310
; %bb.309:
	v_add_f32_e32 v22, v22, v23
	v_or_b32_e32 v23, v99, v21
	v_mad_u32_u24 v23, v23, s4, 0
	ds_write2_b32 v23, v24, v22 offset0:40 offset1:41
.LBB9_310:
	s_or_b64 exec, exec, s[2:3]
	v_cmp_eq_u32_e32 vcc, 0, v101
	v_cmp_eq_u32_e64 s[4:5], 1, v101
	s_waitcnt lgkmcnt(0)
	s_barrier
	s_and_saveexec_b64 s[2:3], s[4:5]
	s_xor_b64 s[2:3], exec, s[2:3]
	s_cbranch_execz .LBB9_312
; %bb.311:
	s_barrier
	s_waitcnt lgkmcnt(0)
                                        ; implicit-def: $vgpr100
                                        ; implicit-def: $vgpr26
.LBB9_312:
	s_andn2_saveexec_b64 s[2:3], s[2:3]
	s_cbranch_execz .LBB9_318
; %bb.313:
	v_or_b32_e32 v23, v99, v20
	s_movk_i32 s4, 0xb0
	v_mad_u32_u24 v22, v23, s4, 0
	ds_read_b64 v[28:29], v22 offset:160
	s_mov_b32 s4, 0x3fb8aa3b
	s_mov_b32 s6, 0x42b17218
	s_waitcnt lgkmcnt(0)
	s_barrier
	ds_bpermute_b32 v22, v26, v28
	v_max_f32_e32 v24, v28, v28
	s_waitcnt lgkmcnt(0)
	v_max_f32_e32 v22, v22, v22
	v_max_f32_e32 v22, v24, v22
	v_sub_f32_e32 v24, v28, v22
	v_mul_f32_e32 v25, 0x3fb8aa3b, v24
	v_fma_f32 v27, v24, s4, -v25
	v_rndne_f32_e32 v28, v25
	v_fmamk_f32 v27, v24, 0x32a5705f, v27
	v_sub_f32_e32 v25, v25, v28
	v_add_f32_e32 v25, v25, v27
	v_cvt_i32_f32_e32 v28, v28
	v_exp_f32_e32 v25, v25
	s_mov_b32 s4, 0xc2ce8ed0
	v_cmp_ngt_f32_e64 s[4:5], s4, v24
	v_mov_b32_e32 v27, 0x7f800000
	v_ldexp_f32 v25, v25, v28
	v_cndmask_b32_e64 v25, 0, v25, s[4:5]
	v_cmp_nlt_f32_e64 s[4:5], s6, v24
	s_nop 1
	v_cndmask_b32_e64 v24, v27, v25, s[4:5]
	v_mul_f32_e32 v25, v29, v24
	ds_bpermute_b32 v25, v26, v25
	v_cmp_gt_u32_e64 s[4:5], 32, v21
	s_waitcnt lgkmcnt(0)
	v_fmac_f32_e32 v25, v29, v24
	s_and_saveexec_b64 s[6:7], s[4:5]
	s_cbranch_execz .LBB9_315
; %bb.314:
	v_mul_u32_u24_e32 v23, 0xb0, v23
	v_add_u32_e32 v23, 0, v23
	ds_write_b64 v23, v[24:25] offset:160
.LBB9_315:
	s_or_b64 exec, exec, s[6:7]
	s_and_saveexec_b64 s[4:5], s[0:1]
	s_cbranch_execz .LBB9_317
; %bb.316:
	s_add_i32 s0, s54, s51
	s_lshl_b32 s0, s0, 5
	s_mov_b32 s1, 0
	s_lshl_b64 s[0:1], s[0:1], 3
	s_add_u32 s0, s30, s0
	v_or_b32_e32 v23, v100, v21
	s_addc_u32 s1, s31, s1
	v_lshlrev_b32_e32 v24, 3, v23
	v_mov_b32_e32 v23, v25
	global_store_dwordx2 v24, v[22:23], s[0:1]
.LBB9_317:
	s_or_b64 exec, exec, s[4:5]
.LBB9_318:
	s_or_b64 exec, exec, s[2:3]
	v_cvt_f16_f32_e32 v0, v0
	v_cvt_f16_f32_e32 v2, v2
	;; [unrolled: 1-line block ×5, first 2 shown]
	s_mov_b32 s3, 0
	v_pack_b32_f16 v2, v2, v3
	v_pack_b32_f16 v0, v0, v1
	v_cvt_f16_f32_e32 v1, v4
	v_cvt_f16_f32_e32 v3, v5
	;; [unrolled: 1-line block ×7, first 2 shown]
	v_pack_b32_f16 v4, v4, v5
	v_pack_b32_f16 v1, v1, v3
	;; [unrolled: 1-line block ×4, first 2 shown]
	v_cvt_f16_f32_e32 v7, v13
	v_cvt_f16_f32_e32 v8, v14
	;; [unrolled: 1-line block ×8, first 2 shown]
	v_pack_b32_f16 v8, v8, v9
	v_pack_b32_f16 v9, v10, v13
	v_or_b32_e32 v10, v99, v65
	v_mad_u32_u24 v10, v10, 44, v66
	v_lshl_add_u32 v10, v10, 2, 0
	v_pack_b32_f16 v6, v6, v7
	v_pack_b32_f16 v7, v11, v12
	ds_write2_b32 v10, v0, v2 offset1:1
	ds_write2_b32 v10, v1, v4 offset0:8 offset1:9
	ds_write2_b32 v10, v5, v3 offset0:16 offset1:17
	ds_write2_b32 v10, v6, v8 offset0:24 offset1:25
	ds_write2_b32 v10, v9, v7 offset0:32 offset1:33
	s_waitcnt lgkmcnt(0)
	s_barrier
	s_and_saveexec_b64 s[0:1], vcc
	s_cbranch_execz .LBB9_320
; %bb.319:
	s_mul_i32 s2, s51, 0x500
	v_add_u32_e32 v12, v64, v98
	s_lshl_b64 s[4:5], s[2:3], 3
	v_lshlrev_b32_e32 v13, 1, v12
	v_and_b32_e32 v14, 15, v12
	s_movk_i32 s2, 0xfe0
	s_add_u32 s6, s30, s4
	v_and_or_b32 v0, v13, s2, v14
	s_movk_i32 s4, 0xb0
	v_mad_u32_u24 v2, v0, s4, 0
	v_lshlrev_b32_e32 v15, 2, v20
	v_add_u32_e32 v0, v2, v15
	ds_read2st64_b32 v[0:1], v0 offset1:11
	v_add_u32_e32 v2, 0xa0, v2
	ds_read2st64_b32 v[2:3], v2 offset1:11
	s_addc_u32 s5, s31, s5
	s_lshl_b32 s2, s54, 6
	s_waitcnt lgkmcnt(1)
	v_cvt_f32_f16_e32 v4, v0
	v_cvt_f32_f16_sdwa v5, v0 dst_sel:DWORD dst_unused:UNUSED_PAD src0_sel:WORD_1
	s_lshl_b64 s[2:3], s[2:3], 3
	s_add_u32 s2, s6, s2
	s_addc_u32 s3, s5, s3
	s_waitcnt lgkmcnt(0)
	v_pk_fma_f32 v[4:5], v[2:3], v[4:5], 0 op_sel_hi:[0,1,0]
	v_add_u32_e32 v2, 4, v12
	v_lshlrev_b32_e32 v6, 1, v2
	v_and_b32_e32 v2, 15, v2
	s_movk_i32 s5, 0x1fe0
	v_and_or_b32 v2, v6, s5, v2
	v_mad_u32_u24 v8, v2, s4, 0
	v_add_u32_e32 v2, v8, v15
	ds_read2st64_b32 v[6:7], v2 offset1:11
	v_cvt_f32_f16_e32 v0, v1
	v_cvt_f32_f16_sdwa v1, v1 dst_sel:DWORD dst_unused:UNUSED_PAD src0_sel:WORD_1
	v_mov_b32_e32 v2, v3
	v_add_u32_e32 v3, 0xa0, v8
	ds_read2st64_b32 v[8:9], v3 offset1:11
	s_waitcnt lgkmcnt(1)
	v_cvt_f32_f16_e32 v10, v6
	v_cvt_f32_f16_sdwa v11, v6 dst_sel:DWORD dst_unused:UNUSED_PAD src0_sel:WORD_1
	v_pk_fma_f32 v[0:1], v[2:3], v[0:1], v[4:5] op_sel_hi:[0,1,1]
	v_add_u32_e32 v3, 8, v12
	v_mul_u32_u24_e32 v16, 40, v12
	v_lshlrev_b32_e32 v4, 1, v3
	v_and_b32_e32 v3, 15, v3
	v_add_lshl_u32 v16, v16, v20, 3
	v_and_or_b32 v3, v4, s5, v3
	global_store_dwordx2 v16, v[0:1], s[2:3]
	s_waitcnt lgkmcnt(0)
	v_pk_fma_f32 v[0:1], v[8:9], v[10:11], 0 op_sel_hi:[0,1,0]
	v_mad_u32_u24 v8, v3, s4, 0
	v_add_u32_e32 v3, v8, v15
	ds_read2st64_b32 v[4:5], v3 offset1:11
	v_cvt_f32_f16_e32 v2, v7
	v_cvt_f32_f16_sdwa v3, v7 dst_sel:DWORD dst_unused:UNUSED_PAD src0_sel:WORD_1
	v_add_u32_e32 v7, 0xa0, v8
	v_mov_b32_e32 v6, v9
	ds_read2st64_b32 v[8:9], v7 offset1:11
	s_waitcnt lgkmcnt(1)
	v_cvt_f32_f16_e32 v10, v4
	v_cvt_f32_f16_sdwa v11, v4 dst_sel:DWORD dst_unused:UNUSED_PAD src0_sel:WORD_1
	v_pk_fma_f32 v[0:1], v[6:7], v[2:3], v[0:1] op_sel_hi:[0,1,1]
	v_add_u32_e32 v3, 12, v12
	v_lshlrev_b32_e32 v4, 1, v3
	v_and_b32_e32 v3, 15, v3
	v_and_or_b32 v3, v4, s5, v3
	global_store_dwordx2 v16, v[0:1], s[2:3] offset:1280
	s_waitcnt lgkmcnt(0)
	v_pk_fma_f32 v[0:1], v[8:9], v[10:11], 0 op_sel_hi:[0,1,0]
	v_mad_u32_u24 v8, v3, s4, 0
	v_add_u32_e32 v3, v8, v15
	ds_read2st64_b32 v[6:7], v3 offset1:11
	v_cvt_f32_f16_e32 v2, v5
	v_cvt_f32_f16_sdwa v3, v5 dst_sel:DWORD dst_unused:UNUSED_PAD src0_sel:WORD_1
	v_add_u32_e32 v5, 0xa0, v8
	v_mov_b32_e32 v4, v9
	ds_read2st64_b32 v[8:9], v5 offset1:11
	s_waitcnt lgkmcnt(1)
	v_cvt_f32_f16_e32 v10, v6
	v_cvt_f32_f16_sdwa v11, v6 dst_sel:DWORD dst_unused:UNUSED_PAD src0_sel:WORD_1
	v_pk_fma_f32 v[0:1], v[4:5], v[2:3], v[0:1] op_sel_hi:[0,1,1]
	v_add_u32_e32 v3, 32, v13
	v_add_u32_e32 v17, 0xa00, v16
	v_and_or_b32 v3, v3, s5, v14
	global_store_dwordx2 v17, v[0:1], s[2:3]
	s_waitcnt lgkmcnt(0)
	v_pk_fma_f32 v[0:1], v[8:9], v[10:11], 0 op_sel_hi:[0,1,0]
	v_mad_u32_u24 v8, v3, s4, 0
	v_add_u32_e32 v3, v8, v15
	ds_read2st64_b32 v[4:5], v3 offset1:11
	v_cvt_f32_f16_e32 v2, v7
	v_cvt_f32_f16_sdwa v3, v7 dst_sel:DWORD dst_unused:UNUSED_PAD src0_sel:WORD_1
	v_add_u32_e32 v7, 0xa0, v8
	v_mov_b32_e32 v6, v9
	ds_read2st64_b32 v[8:9], v7 offset1:11
	s_waitcnt lgkmcnt(1)
	v_cvt_f32_f16_e32 v10, v4
	v_cvt_f32_f16_sdwa v11, v4 dst_sel:DWORD dst_unused:UNUSED_PAD src0_sel:WORD_1
	v_pk_fma_f32 v[0:1], v[6:7], v[2:3], v[0:1] op_sel_hi:[0,1,1]
	v_add_u32_e32 v3, 20, v12
	v_lshlrev_b32_e32 v4, 1, v3
	v_and_b32_e32 v3, 15, v3
	v_add_u32_e32 v17, 0xf00, v16
	v_and_or_b32 v3, v4, s5, v3
	global_store_dwordx2 v17, v[0:1], s[2:3]
	s_waitcnt lgkmcnt(0)
	v_pk_fma_f32 v[0:1], v[8:9], v[10:11], 0 op_sel_hi:[0,1,0]
	v_mad_u32_u24 v8, v3, s4, 0
	v_add_u32_e32 v3, v8, v15
	ds_read2st64_b32 v[6:7], v3 offset1:11
	v_cvt_f32_f16_e32 v2, v5
	v_cvt_f32_f16_sdwa v3, v5 dst_sel:DWORD dst_unused:UNUSED_PAD src0_sel:WORD_1
	v_add_u32_e32 v5, 0xa0, v8
	v_mov_b32_e32 v4, v9
	ds_read2st64_b32 v[8:9], v5 offset1:11
	s_waitcnt lgkmcnt(1)
	v_cvt_f32_f16_e32 v10, v6
	v_cvt_f32_f16_sdwa v11, v6 dst_sel:DWORD dst_unused:UNUSED_PAD src0_sel:WORD_1
	v_pk_fma_f32 v[0:1], v[4:5], v[2:3], v[0:1] op_sel_hi:[0,1,1]
	v_add_u32_e32 v3, 24, v12
	v_lshlrev_b32_e32 v4, 1, v3
	v_and_b32_e32 v3, 15, v3
	v_add_u32_e32 v13, 0x1400, v16
	v_and_or_b32 v3, v4, s5, v3
	global_store_dwordx2 v13, v[0:1], s[2:3]
	s_waitcnt lgkmcnt(0)
	v_pk_fma_f32 v[0:1], v[8:9], v[10:11], 0 op_sel_hi:[0,1,0]
	v_mad_u32_u24 v8, v3, s4, 0
	v_add_u32_e32 v3, v8, v15
	ds_read2st64_b32 v[4:5], v3 offset1:11
	v_cvt_f32_f16_e32 v2, v7
	v_cvt_f32_f16_sdwa v3, v7 dst_sel:DWORD dst_unused:UNUSED_PAD src0_sel:WORD_1
	v_add_u32_e32 v7, 0xa0, v8
	v_mov_b32_e32 v6, v9
	ds_read2st64_b32 v[8:9], v7 offset1:11
	s_waitcnt lgkmcnt(1)
	v_cvt_f32_f16_e32 v10, v4
	v_cvt_f32_f16_sdwa v11, v4 dst_sel:DWORD dst_unused:UNUSED_PAD src0_sel:WORD_1
	v_pk_fma_f32 v[0:1], v[6:7], v[2:3], v[0:1] op_sel_hi:[0,1,1]
	v_add_u32_e32 v3, 28, v12
	v_lshlrev_b32_e32 v4, 1, v3
	v_and_b32_e32 v3, 15, v3
	v_add_u32_e32 v13, 0x1900, v16
	v_and_or_b32 v3, v4, s5, v3
	global_store_dwordx2 v13, v[0:1], s[2:3]
	s_waitcnt lgkmcnt(0)
	v_pk_fma_f32 v[0:1], v[8:9], v[10:11], 0 op_sel_hi:[0,1,0]
	v_mad_u32_u24 v8, v3, s4, 0
	v_add_u32_e32 v3, v8, v15
	ds_read2st64_b32 v[6:7], v3 offset1:11
	v_cvt_f32_f16_e32 v2, v5
	v_cvt_f32_f16_sdwa v3, v5 dst_sel:DWORD dst_unused:UNUSED_PAD src0_sel:WORD_1
	v_add_u32_e32 v5, 0xa0, v8
	v_mov_b32_e32 v4, v9
	ds_read2st64_b32 v[8:9], v5 offset1:11
	s_waitcnt lgkmcnt(1)
	v_cvt_f32_f16_e32 v10, v6
	v_cvt_f32_f16_sdwa v11, v6 dst_sel:DWORD dst_unused:UNUSED_PAD src0_sel:WORD_1
	v_add_u32_e32 v13, 0x1e00, v16
	v_pk_fma_f32 v[0:1], v[4:5], v[2:3], v[0:1] op_sel_hi:[0,1,1]
	global_store_dwordx2 v13, v[0:1], s[2:3]
	s_waitcnt lgkmcnt(0)
	v_pk_fma_f32 v[0:1], v[8:9], v[10:11], 0 op_sel_hi:[0,1,0]
	v_mov_b32_e32 v4, v9
	v_lshl_add_u32 v9, v98, 2, v55
	v_lshlrev_b32_e32 v10, 1, v9
	v_and_b32_e32 v11, 15, v9
	s_movk_i32 s5, 0x3fe0
	v_and_b32_e32 v8, 7, v21
	v_and_or_b32 v6, v10, s5, v11
	v_mad_u32_u24 v12, v6, s4, 0
	v_lshlrev_b32_e32 v13, 2, v8
	v_cvt_f32_f16_e32 v2, v7
	v_cvt_f32_f16_sdwa v3, v7 dst_sel:DWORD dst_unused:UNUSED_PAD src0_sel:WORD_1
	v_add_u32_e32 v6, v12, v13
	v_add_u32_e32 v6, 0x80, v6
	ds_read2st64_b32 v[6:7], v6 offset1:11
	v_add_u32_e32 v5, 0x2300, v16
	v_pk_fma_f32 v[0:1], v[4:5], v[2:3], v[0:1] op_sel_hi:[0,1,1]
	global_store_dwordx2 v5, v[0:1], s[2:3]
	v_add_u32_e32 v0, 0xa0, v12
	ds_read2st64_b32 v[0:1], v0 offset1:11
	s_waitcnt lgkmcnt(1)
	v_cvt_f32_f16_e32 v2, v6
	v_cvt_f32_f16_sdwa v3, v6 dst_sel:DWORD dst_unused:UNUSED_PAD src0_sel:WORD_1
	v_cvt_f32_f16_e32 v4, v7
	v_cvt_f32_f16_sdwa v5, v7 dst_sel:DWORD dst_unused:UNUSED_PAD src0_sel:WORD_1
	s_movk_i32 s5, 0x7fe0
	s_waitcnt lgkmcnt(0)
	v_pk_fma_f32 v[2:3], v[0:1], v[2:3], 0 op_sel_hi:[0,1,0]
	v_mov_b32_e32 v0, v1
	v_pk_fma_f32 v[0:1], v[0:1], v[4:5], v[2:3] op_sel_hi:[0,1,1]
	v_add_u32_e32 v2, 32, v10
	v_and_or_b32 v2, v2, s5, v11
	v_mad_u32_u24 v5, v2, s4, 0
	v_add_u32_e32 v2, v5, v13
	v_add_u32_e32 v2, 0x80, v2
	v_mul_u32_u24_e32 v6, 40, v9
	ds_read2st64_b32 v[2:3], v2 offset1:11
	v_or_b32_e32 v4, v6, v8
	v_lshlrev_b32_e32 v6, 3, v4
	global_store_dwordx2 v6, v[0:1], s[2:3] offset:256
	v_add_u32_e32 v0, 0xa0, v5
	ds_read2st64_b32 v[0:1], v0 offset1:11
	s_waitcnt lgkmcnt(1)
	v_cvt_f32_f16_e32 v4, v2
	v_cvt_f32_f16_sdwa v5, v2 dst_sel:DWORD dst_unused:UNUSED_PAD src0_sel:WORD_1
	v_cvt_f32_f16_e32 v2, v3
	v_cvt_f32_f16_sdwa v3, v3 dst_sel:DWORD dst_unused:UNUSED_PAD src0_sel:WORD_1
	v_add_u32_e32 v6, 0x1400, v6
	s_waitcnt lgkmcnt(0)
	v_pk_fma_f32 v[4:5], v[0:1], v[4:5], 0 op_sel_hi:[0,1,0]
	v_mov_b32_e32 v0, v1
	v_pk_fma_f32 v[0:1], v[0:1], v[2:3], v[4:5] op_sel_hi:[0,1,1]
	global_store_dwordx2 v6, v[0:1], s[2:3] offset:256
.LBB9_320:
	s_or_b64 exec, exec, s[0:1]
	s_barrier
.LBB9_321:
	s_endpgm
.LBB9_322:
                                        ; implicit-def: $vgpr4_vgpr5_vgpr6_vgpr7
                                        ; implicit-def: $vgpr0_vgpr1_vgpr2_vgpr3
                                        ; implicit-def: $vgpr30
                                        ; implicit-def: $vgpr27
	s_branch .LBB9_305
	.section	.rodata,"a",@progbits
	.p2align	6, 0x0
	.amdhsa_kernel _ZL18flash_attn_ext_f16ILi80ELi80ELi32ELi1ELb0ELb0EEvPKcS1_S1_S1_S1_PKiPfP15HIP_vector_typeIfLj2EEffffjfiS5_IjLj3EEiiiiiiiiiiiliiliiiiil
		.amdhsa_group_segment_fixed_size 0
		.amdhsa_private_segment_fixed_size 32
		.amdhsa_kernarg_size 464
		.amdhsa_user_sgpr_count 2
		.amdhsa_user_sgpr_dispatch_ptr 0
		.amdhsa_user_sgpr_queue_ptr 0
		.amdhsa_user_sgpr_kernarg_segment_ptr 1
		.amdhsa_user_sgpr_dispatch_id 0
		.amdhsa_user_sgpr_kernarg_preload_length 0
		.amdhsa_user_sgpr_kernarg_preload_offset 0
		.amdhsa_user_sgpr_private_segment_size 0
		.amdhsa_uses_dynamic_stack 0
		.amdhsa_enable_private_segment 1
		.amdhsa_system_sgpr_workgroup_id_x 1
		.amdhsa_system_sgpr_workgroup_id_y 0
		.amdhsa_system_sgpr_workgroup_id_z 0
		.amdhsa_system_sgpr_workgroup_info 0
		.amdhsa_system_vgpr_workitem_id 1
		.amdhsa_next_free_vgpr 222
		.amdhsa_next_free_sgpr 100
		.amdhsa_accum_offset 224
		.amdhsa_reserve_vcc 1
		.amdhsa_float_round_mode_32 0
		.amdhsa_float_round_mode_16_64 0
		.amdhsa_float_denorm_mode_32 3
		.amdhsa_float_denorm_mode_16_64 3
		.amdhsa_dx10_clamp 1
		.amdhsa_ieee_mode 1
		.amdhsa_fp16_overflow 0
		.amdhsa_tg_split 0
		.amdhsa_exception_fp_ieee_invalid_op 0
		.amdhsa_exception_fp_denorm_src 0
		.amdhsa_exception_fp_ieee_div_zero 0
		.amdhsa_exception_fp_ieee_overflow 0
		.amdhsa_exception_fp_ieee_underflow 0
		.amdhsa_exception_fp_ieee_inexact 0
		.amdhsa_exception_int_div_zero 0
	.end_amdhsa_kernel
	.section	.text._ZL18flash_attn_ext_f16ILi80ELi80ELi32ELi1ELb0ELb0EEvPKcS1_S1_S1_S1_PKiPfP15HIP_vector_typeIfLj2EEffffjfiS5_IjLj3EEiiiiiiiiiiiliiliiiiil,"axG",@progbits,_ZL18flash_attn_ext_f16ILi80ELi80ELi32ELi1ELb0ELb0EEvPKcS1_S1_S1_S1_PKiPfP15HIP_vector_typeIfLj2EEffffjfiS5_IjLj3EEiiiiiiiiiiiliiliiiiil,comdat
.Lfunc_end9:
	.size	_ZL18flash_attn_ext_f16ILi80ELi80ELi32ELi1ELb0ELb0EEvPKcS1_S1_S1_S1_PKiPfP15HIP_vector_typeIfLj2EEffffjfiS5_IjLj3EEiiiiiiiiiiiliiliiiiil, .Lfunc_end9-_ZL18flash_attn_ext_f16ILi80ELi80ELi32ELi1ELb0ELb0EEvPKcS1_S1_S1_S1_PKiPfP15HIP_vector_typeIfLj2EEffffjfiS5_IjLj3EEiiiiiiiiiiiliiliiiiil
                                        ; -- End function
	.section	.AMDGPU.csdata,"",@progbits
; Kernel info:
; codeLenInByte = 46380
; NumSgprs: 106
; NumVgprs: 222
; NumAgprs: 0
; TotalNumVgprs: 222
; ScratchSize: 32
; MemoryBound: 0
; FloatMode: 240
; IeeeMode: 1
; LDSByteSize: 0 bytes/workgroup (compile time only)
; SGPRBlocks: 13
; VGPRBlocks: 27
; NumSGPRsForWavesPerEU: 106
; NumVGPRsForWavesPerEU: 222
; AccumOffset: 224
; Occupancy: 2
; WaveLimiterHint : 1
; COMPUTE_PGM_RSRC2:SCRATCH_EN: 1
; COMPUTE_PGM_RSRC2:USER_SGPR: 2
; COMPUTE_PGM_RSRC2:TRAP_HANDLER: 0
; COMPUTE_PGM_RSRC2:TGID_X_EN: 1
; COMPUTE_PGM_RSRC2:TGID_Y_EN: 0
; COMPUTE_PGM_RSRC2:TGID_Z_EN: 0
; COMPUTE_PGM_RSRC2:TIDIG_COMP_CNT: 1
; COMPUTE_PGM_RSRC3_GFX90A:ACCUM_OFFSET: 55
; COMPUTE_PGM_RSRC3_GFX90A:TG_SPLIT: 0
	.section	.text._ZL18flash_attn_ext_f16ILi80ELi80ELi32ELi1ELb1ELb0EEvPKcS1_S1_S1_S1_PKiPfP15HIP_vector_typeIfLj2EEffffjfiS5_IjLj3EEiiiiiiiiiiiliiliiiiil,"axG",@progbits,_ZL18flash_attn_ext_f16ILi80ELi80ELi32ELi1ELb1ELb0EEvPKcS1_S1_S1_S1_PKiPfP15HIP_vector_typeIfLj2EEffffjfiS5_IjLj3EEiiiiiiiiiiiliiliiiiil,comdat
	.globl	_ZL18flash_attn_ext_f16ILi80ELi80ELi32ELi1ELb1ELb0EEvPKcS1_S1_S1_S1_PKiPfP15HIP_vector_typeIfLj2EEffffjfiS5_IjLj3EEiiiiiiiiiiiliiliiiiil ; -- Begin function _ZL18flash_attn_ext_f16ILi80ELi80ELi32ELi1ELb1ELb0EEvPKcS1_S1_S1_S1_PKiPfP15HIP_vector_typeIfLj2EEffffjfiS5_IjLj3EEiiiiiiiiiiiliiliiiiil
	.p2align	8
	.type	_ZL18flash_attn_ext_f16ILi80ELi80ELi32ELi1ELb1ELb0EEvPKcS1_S1_S1_S1_PKiPfP15HIP_vector_typeIfLj2EEffffjfiS5_IjLj3EEiiiiiiiiiiiliiliiiiil,@function
_ZL18flash_attn_ext_f16ILi80ELi80ELi32ELi1ELb1ELb0EEvPKcS1_S1_S1_S1_PKiPfP15HIP_vector_typeIfLj2EEffffjfiS5_IjLj3EEiiiiiiiiiiiliiliiiiil: ; @_ZL18flash_attn_ext_f16ILi80ELi80ELi32ELi1ELb1ELb0EEvPKcS1_S1_S1_S1_PKiPfP15HIP_vector_typeIfLj2EEffffjfiS5_IjLj3EEiiiiiiiiiiiliiliiiiil
; %bb.0:
	s_add_u32 s8, s0, 0xd0
	s_addc_u32 s9, s1, 0
	s_mov_b32 s32, 0
	s_getpc_b64 s[0:1]
	s_add_u32 s0, s0, _ZL14no_device_codePKciS0_iS0_@rel32@lo+4
	s_addc_u32 s1, s1, _ZL14no_device_codePKciS0_iS0_@rel32@hi+12
	s_swappc_b64 s[30:31], s[0:1]
	.section	.rodata,"a",@progbits
	.p2align	6, 0x0
	.amdhsa_kernel _ZL18flash_attn_ext_f16ILi80ELi80ELi32ELi1ELb1ELb0EEvPKcS1_S1_S1_S1_PKiPfP15HIP_vector_typeIfLj2EEffffjfiS5_IjLj3EEiiiiiiiiiiiliiliiiiil
		.amdhsa_group_segment_fixed_size 0
		.amdhsa_private_segment_fixed_size 16
		.amdhsa_kernarg_size 464
		.amdhsa_user_sgpr_count 2
		.amdhsa_user_sgpr_dispatch_ptr 0
		.amdhsa_user_sgpr_queue_ptr 0
		.amdhsa_user_sgpr_kernarg_segment_ptr 1
		.amdhsa_user_sgpr_dispatch_id 0
		.amdhsa_user_sgpr_kernarg_preload_length 0
		.amdhsa_user_sgpr_kernarg_preload_offset 0
		.amdhsa_user_sgpr_private_segment_size 0
		.amdhsa_uses_dynamic_stack 0
		.amdhsa_enable_private_segment 1
		.amdhsa_system_sgpr_workgroup_id_x 1
		.amdhsa_system_sgpr_workgroup_id_y 0
		.amdhsa_system_sgpr_workgroup_id_z 0
		.amdhsa_system_sgpr_workgroup_info 0
		.amdhsa_system_vgpr_workitem_id 0
		.amdhsa_next_free_vgpr 39
		.amdhsa_next_free_sgpr 34
		.amdhsa_accum_offset 40
		.amdhsa_reserve_vcc 1
		.amdhsa_float_round_mode_32 0
		.amdhsa_float_round_mode_16_64 0
		.amdhsa_float_denorm_mode_32 3
		.amdhsa_float_denorm_mode_16_64 3
		.amdhsa_dx10_clamp 1
		.amdhsa_ieee_mode 1
		.amdhsa_fp16_overflow 0
		.amdhsa_tg_split 0
		.amdhsa_exception_fp_ieee_invalid_op 0
		.amdhsa_exception_fp_denorm_src 0
		.amdhsa_exception_fp_ieee_div_zero 0
		.amdhsa_exception_fp_ieee_overflow 0
		.amdhsa_exception_fp_ieee_underflow 0
		.amdhsa_exception_fp_ieee_inexact 0
		.amdhsa_exception_int_div_zero 0
	.end_amdhsa_kernel
	.section	.text._ZL18flash_attn_ext_f16ILi80ELi80ELi32ELi1ELb1ELb0EEvPKcS1_S1_S1_S1_PKiPfP15HIP_vector_typeIfLj2EEffffjfiS5_IjLj3EEiiiiiiiiiiiliiliiiiil,"axG",@progbits,_ZL18flash_attn_ext_f16ILi80ELi80ELi32ELi1ELb1ELb0EEvPKcS1_S1_S1_S1_PKiPfP15HIP_vector_typeIfLj2EEffffjfiS5_IjLj3EEiiiiiiiiiiiliiliiiiil,comdat
.Lfunc_end10:
	.size	_ZL18flash_attn_ext_f16ILi80ELi80ELi32ELi1ELb1ELb0EEvPKcS1_S1_S1_S1_PKiPfP15HIP_vector_typeIfLj2EEffffjfiS5_IjLj3EEiiiiiiiiiiiliiliiiiil, .Lfunc_end10-_ZL18flash_attn_ext_f16ILi80ELi80ELi32ELi1ELb1ELb0EEvPKcS1_S1_S1_S1_PKiPfP15HIP_vector_typeIfLj2EEffffjfiS5_IjLj3EEiiiiiiiiiiiliiliiiiil
                                        ; -- End function
	.section	.AMDGPU.csdata,"",@progbits
; Kernel info:
; codeLenInByte = 40
; NumSgprs: 40
; NumVgprs: 39
; NumAgprs: 0
; TotalNumVgprs: 39
; ScratchSize: 16
; MemoryBound: 0
; FloatMode: 240
; IeeeMode: 1
; LDSByteSize: 0 bytes/workgroup (compile time only)
; SGPRBlocks: 4
; VGPRBlocks: 4
; NumSGPRsForWavesPerEU: 40
; NumVGPRsForWavesPerEU: 39
; AccumOffset: 40
; Occupancy: 8
; WaveLimiterHint : 1
; COMPUTE_PGM_RSRC2:SCRATCH_EN: 1
; COMPUTE_PGM_RSRC2:USER_SGPR: 2
; COMPUTE_PGM_RSRC2:TRAP_HANDLER: 0
; COMPUTE_PGM_RSRC2:TGID_X_EN: 1
; COMPUTE_PGM_RSRC2:TGID_Y_EN: 0
; COMPUTE_PGM_RSRC2:TGID_Z_EN: 0
; COMPUTE_PGM_RSRC2:TIDIG_COMP_CNT: 0
; COMPUTE_PGM_RSRC3_GFX90A:ACCUM_OFFSET: 9
; COMPUTE_PGM_RSRC3_GFX90A:TG_SPLIT: 0
	.section	.text._ZL33flash_attn_stream_k_fixup_uniformILi80ELi32ELi1EEvPfPK15HIP_vector_typeIfLj2EEiiiiiiS1_IjLj3EES5_S5_,"axG",@progbits,_ZL33flash_attn_stream_k_fixup_uniformILi80ELi32ELi1EEvPfPK15HIP_vector_typeIfLj2EEiiiiiiS1_IjLj3EES5_S5_,comdat
	.globl	_ZL33flash_attn_stream_k_fixup_uniformILi80ELi32ELi1EEvPfPK15HIP_vector_typeIfLj2EEiiiiiiS1_IjLj3EES5_S5_ ; -- Begin function _ZL33flash_attn_stream_k_fixup_uniformILi80ELi32ELi1EEvPfPK15HIP_vector_typeIfLj2EEiiiiiiS1_IjLj3EES5_S5_
	.p2align	8
	.type	_ZL33flash_attn_stream_k_fixup_uniformILi80ELi32ELi1EEvPfPK15HIP_vector_typeIfLj2EEiiiiiiS1_IjLj3EES5_S5_,@function
_ZL33flash_attn_stream_k_fixup_uniformILi80ELi32ELi1EEvPfPK15HIP_vector_typeIfLj2EEiiiiiiS1_IjLj3EES5_S5_: ; @_ZL33flash_attn_stream_k_fixup_uniformILi80ELi32ELi1EEvPfPK15HIP_vector_typeIfLj2EEiiiiiiS1_IjLj3EES5_S5_
; %bb.0:
	s_load_dwordx8 s[8:15], s[0:1], 0x1c
	s_load_dwordx2 s[6:7], s[0:1], 0x10
	s_load_dwordx4 s[16:19], s[0:1], 0x3c
	s_waitcnt lgkmcnt(0)
	s_mul_hi_u32 s5, s11, s2
	s_add_i32 s5, s2, s5
	s_lshr_b32 s5, s5, s12
	s_mul_i32 s11, s5, s13
	s_sub_i32 s12, s2, s11
	s_mul_hi_u32 s11, s12, s14
	s_add_i32 s11, s12, s11
	s_lshr_b32 s11, s11, s15
	s_mul_i32 s13, s11, s16
	s_sub_i32 s12, s12, s13
	;; [unrolled: 5-line block ×3, first 2 shown]
	s_lshl_b32 s12, s17, 5
	s_add_i32 s12, s12, s3
	s_cmp_lt_i32 s12, s6
	s_cselect_b64 s[12:13], -1, 0
	s_add_i32 s16, s16, s4
	s_cmp_lt_i32 s16, s9
	s_cselect_b64 s[14:15], -1, 0
	s_and_b64 s[12:13], s[12:13], s[14:15]
	s_andn2_b64 vcc, exec, s[12:13]
	s_cbranch_vccnz .LBB11_6
; %bb.1:
	s_load_dwordx4 s[12:15], s[0:1], 0x0
	s_mul_i32 s0, s5, s6
	s_mul_i32 s11, s11, s9
	s_add_i32 s0, s0, s3
	s_mul_i32 s0, s0, s7
	s_add_i32 s5, s16, s11
	s_mul_i32 s1, s7, s17
	s_add_i32 s0, s5, s0
	s_mulk_i32 s1, 0xa00
	s_mulk_i32 s0, 0x50
	s_add_i32 s0, s0, s1
	v_add_u32_e32 v4, s0, v0
	s_waitcnt lgkmcnt(0)
	v_mov_b32_e32 v2, s12
	v_mov_b32_e32 v3, s13
	v_ashrrev_i32_e32 v5, 31, v4
	v_lshl_add_u64 v[2:3], v[4:5], 2, v[2:3]
	global_load_dword v7, v[2:3], off
	s_mul_i32 s6, s2, s10
	s_add_i32 s7, s6, s10
	s_add_i32 s3, s3, s4
	s_lshl_b32 s0, s7, 5
	s_add_i32 s0, s3, s0
	s_sub_i32 s0, s0, 32
	s_ashr_i32 s1, s0, 31
	s_lshl_b64 s[0:1], s[0:1], 3
	s_add_u32 s0, s14, s0
	s_addc_u32 s1, s15, s1
	s_load_dword s9, s[0:1], 0x4
	s_add_i32 s4, s7, -2
	s_cmp_lt_i32 s4, s6
	s_cbranch_scc1 .LBB11_4
; %bb.2:
	s_lshl_b32 s4, s8, 7
	s_ashr_i32 s5, s4, 31
	s_lshl_b64 s[4:5], s[4:5], 2
	s_add_u32 s4, s14, s4
	s_addc_u32 s5, s15, s5
	s_load_dword s0, s[0:1], 0x0
	s_add_i32 s2, s2, 1
	s_mul_i32 s10, s10, s2
	s_mul_i32 s1, s3, 0x50
	s_lshl_b32 s2, s10, 5
	s_mulk_i32 s10, 0xa00
	s_add_i32 s2, s3, s2
	s_lshl_b32 s3, s8, 5
	s_add_i32 s1, s1, s10
	s_add_i32 s2, s2, s3
	v_add_u32_e32 v0, s1, v0
	s_add_i32 s7, s7, -1
	s_sub_i32 s2, s2, 64
	v_add_u32_e32 v0, 0xffffec00, v0
	s_waitcnt lgkmcnt(0)
	v_mov_b32_e32 v6, s9
	v_mov_b32_e32 v5, s0
	s_mov_b32 s8, 0x3fb8aa3b
	s_mov_b32 s9, 0xc2ce8ed0
	;; [unrolled: 1-line block ×3, first 2 shown]
	v_mov_b32_e32 v4, 0x7f800000
	s_mov_b32 s11, 0xc1a00000
.LBB11_3:                               ; =>This Inner Loop Header: Depth=1
	v_ashrrev_i32_e32 v1, 31, v0
	v_lshl_add_u64 v[8:9], v[0:1], 2, s[4:5]
	global_load_dword v1, v[8:9], off
	s_ashr_i32 s3, s2, 31
	s_lshl_b64 s[0:1], s[2:3], 3
	s_add_u32 s0, s14, s0
	s_addc_u32 s1, s15, s1
	s_load_dwordx2 s[12:13], s[0:1], 0x0
	s_waitcnt vmcnt(1)
	v_mov_b32_e32 v8, v7
	v_max_f32_e32 v7, v5, v5
	v_mov_b32_e32 v9, v6
	s_add_i32 s7, s7, -1
	s_waitcnt lgkmcnt(0)
	v_max_f32_e64 v6, s12, s12
	v_max_f32_e32 v6, v7, v6
	v_sub_f32_e32 v10, s12, v6
	v_sub_f32_e32 v7, v5, v6
	v_mul_f32_e32 v11, 0x3fb8aa3b, v10
	v_mov_b32_e32 v5, v6
	v_mul_f32_e32 v6, 0x3fb8aa3b, v7
	v_fma_f32 v14, v10, s8, -v11
	v_rndne_f32_e32 v15, v11
	v_fma_f32 v12, v7, s8, -v6
	v_rndne_f32_e32 v13, v6
	v_fmac_f32_e32 v14, 0x32a5705f, v10
	v_sub_f32_e32 v11, v11, v15
	v_fmac_f32_e32 v12, 0x32a5705f, v7
	v_sub_f32_e32 v6, v6, v13
	v_add_f32_e32 v11, v11, v14
	v_cvt_i32_f32_e32 v15, v15
	v_add_f32_e32 v6, v6, v12
	v_exp_f32_e32 v11, v11
	v_cvt_i32_f32_e32 v13, v13
	v_exp_f32_e32 v6, v6
	v_cmp_ngt_f32_e32 vcc, s9, v10
	v_ldexp_f32 v11, v11, v15
	v_cmp_ngt_f32_e64 s[0:1], s9, v7
	v_ldexp_f32 v6, v6, v13
	v_cndmask_b32_e32 v11, 0, v11, vcc
	v_cmp_nlt_f32_e32 vcc, s10, v10
	v_cndmask_b32_e64 v6, 0, v6, s[0:1]
	v_cmp_nlt_f32_e64 s[0:1], s10, v7
	v_cndmask_b32_e32 v11, v4, v11, vcc
	v_cmp_le_f32_e32 vcc, s11, v10
	v_cndmask_b32_e64 v6, v4, v6, s[0:1]
	v_cmp_le_f32_e64 s[0:1], s11, v7
	v_cndmask_b32_e32 v7, 0, v11, vcc
	s_sub_i32 s2, s2, 32
	v_cndmask_b32_e64 v10, 0, v6, s[0:1]
	v_mul_f32_e32 v6, s13, v7
	v_add_u32_e32 v0, 0xfffff600, v0
	s_cmp_le_i32 s7, s6
	v_fmac_f32_e32 v6, v9, v10
	s_waitcnt vmcnt(0)
	v_mul_f32_e32 v7, v1, v7
	v_fmac_f32_e32 v7, v8, v10
	s_cbranch_scc0 .LBB11_3
	s_branch .LBB11_5
.LBB11_4:
	s_waitcnt lgkmcnt(0)
	v_mov_b32_e32 v6, s9
.LBB11_5:
	s_waitcnt vmcnt(0)
	v_div_scale_f32 v0, s[0:1], v6, v6, v7
	v_rcp_f32_e32 v1, v0
	v_div_scale_f32 v4, vcc, v7, v6, v7
	v_fma_f32 v5, -v0, v1, 1.0
	v_fmac_f32_e32 v1, v5, v1
	v_mul_f32_e32 v5, v4, v1
	v_fma_f32 v8, -v0, v5, v4
	v_fmac_f32_e32 v5, v8, v1
	v_fma_f32 v0, -v0, v5, v4
	v_div_fmas_f32 v0, v0, v1, v5
	v_div_fixup_f32 v0, v0, v6, v7
	global_store_dword v[2:3], v0, off
.LBB11_6:
	s_endpgm
	.section	.rodata,"a",@progbits
	.p2align	6, 0x0
	.amdhsa_kernel _ZL33flash_attn_stream_k_fixup_uniformILi80ELi32ELi1EEvPfPK15HIP_vector_typeIfLj2EEiiiiiiS1_IjLj3EES5_S5_
		.amdhsa_group_segment_fixed_size 0
		.amdhsa_private_segment_fixed_size 0
		.amdhsa_kernarg_size 76
		.amdhsa_user_sgpr_count 2
		.amdhsa_user_sgpr_dispatch_ptr 0
		.amdhsa_user_sgpr_queue_ptr 0
		.amdhsa_user_sgpr_kernarg_segment_ptr 1
		.amdhsa_user_sgpr_dispatch_id 0
		.amdhsa_user_sgpr_kernarg_preload_length 0
		.amdhsa_user_sgpr_kernarg_preload_offset 0
		.amdhsa_user_sgpr_private_segment_size 0
		.amdhsa_uses_dynamic_stack 0
		.amdhsa_enable_private_segment 0
		.amdhsa_system_sgpr_workgroup_id_x 1
		.amdhsa_system_sgpr_workgroup_id_y 1
		.amdhsa_system_sgpr_workgroup_id_z 1
		.amdhsa_system_sgpr_workgroup_info 0
		.amdhsa_system_vgpr_workitem_id 0
		.amdhsa_next_free_vgpr 16
		.amdhsa_next_free_sgpr 20
		.amdhsa_accum_offset 16
		.amdhsa_reserve_vcc 1
		.amdhsa_float_round_mode_32 0
		.amdhsa_float_round_mode_16_64 0
		.amdhsa_float_denorm_mode_32 3
		.amdhsa_float_denorm_mode_16_64 3
		.amdhsa_dx10_clamp 1
		.amdhsa_ieee_mode 1
		.amdhsa_fp16_overflow 0
		.amdhsa_tg_split 0
		.amdhsa_exception_fp_ieee_invalid_op 0
		.amdhsa_exception_fp_denorm_src 0
		.amdhsa_exception_fp_ieee_div_zero 0
		.amdhsa_exception_fp_ieee_overflow 0
		.amdhsa_exception_fp_ieee_underflow 0
		.amdhsa_exception_fp_ieee_inexact 0
		.amdhsa_exception_int_div_zero 0
	.end_amdhsa_kernel
	.section	.text._ZL33flash_attn_stream_k_fixup_uniformILi80ELi32ELi1EEvPfPK15HIP_vector_typeIfLj2EEiiiiiiS1_IjLj3EES5_S5_,"axG",@progbits,_ZL33flash_attn_stream_k_fixup_uniformILi80ELi32ELi1EEvPfPK15HIP_vector_typeIfLj2EEiiiiiiS1_IjLj3EES5_S5_,comdat
.Lfunc_end11:
	.size	_ZL33flash_attn_stream_k_fixup_uniformILi80ELi32ELi1EEvPfPK15HIP_vector_typeIfLj2EEiiiiiiS1_IjLj3EES5_S5_, .Lfunc_end11-_ZL33flash_attn_stream_k_fixup_uniformILi80ELi32ELi1EEvPfPK15HIP_vector_typeIfLj2EEiiiiiiS1_IjLj3EES5_S5_
                                        ; -- End function
	.section	.AMDGPU.csdata,"",@progbits
; Kernel info:
; codeLenInByte = 820
; NumSgprs: 26
; NumVgprs: 16
; NumAgprs: 0
; TotalNumVgprs: 16
; ScratchSize: 0
; MemoryBound: 0
; FloatMode: 240
; IeeeMode: 1
; LDSByteSize: 0 bytes/workgroup (compile time only)
; SGPRBlocks: 3
; VGPRBlocks: 1
; NumSGPRsForWavesPerEU: 26
; NumVGPRsForWavesPerEU: 16
; AccumOffset: 16
; Occupancy: 8
; WaveLimiterHint : 0
; COMPUTE_PGM_RSRC2:SCRATCH_EN: 0
; COMPUTE_PGM_RSRC2:USER_SGPR: 2
; COMPUTE_PGM_RSRC2:TRAP_HANDLER: 0
; COMPUTE_PGM_RSRC2:TGID_X_EN: 1
; COMPUTE_PGM_RSRC2:TGID_Y_EN: 1
; COMPUTE_PGM_RSRC2:TGID_Z_EN: 1
; COMPUTE_PGM_RSRC2:TIDIG_COMP_CNT: 0
; COMPUTE_PGM_RSRC3_GFX90A:ACCUM_OFFSET: 3
; COMPUTE_PGM_RSRC3_GFX90A:TG_SPLIT: 0
	.section	.text._ZL33flash_attn_stream_k_fixup_generalILi80ELi32ELi1EEvPfPK15HIP_vector_typeIfLj2EEiiiiS1_IjLj3EES5_S5_S5_,"axG",@progbits,_ZL33flash_attn_stream_k_fixup_generalILi80ELi32ELi1EEvPfPK15HIP_vector_typeIfLj2EEiiiiS1_IjLj3EES5_S5_S5_,comdat
	.globl	_ZL33flash_attn_stream_k_fixup_generalILi80ELi32ELi1EEvPfPK15HIP_vector_typeIfLj2EEiiiiS1_IjLj3EES5_S5_S5_ ; -- Begin function _ZL33flash_attn_stream_k_fixup_generalILi80ELi32ELi1EEvPfPK15HIP_vector_typeIfLj2EEiiiiS1_IjLj3EES5_S5_S5_
	.p2align	8
	.type	_ZL33flash_attn_stream_k_fixup_generalILi80ELi32ELi1EEvPfPK15HIP_vector_typeIfLj2EEiiiiS1_IjLj3EES5_S5_S5_,@function
_ZL33flash_attn_stream_k_fixup_generalILi80ELi32ELi1EEvPfPK15HIP_vector_typeIfLj2EEiiiiS1_IjLj3EES5_S5_S5_: ; @_ZL33flash_attn_stream_k_fixup_generalILi80ELi32ELi1EEvPfPK15HIP_vector_typeIfLj2EEiiiiS1_IjLj3EES5_S5_S5_
; %bb.0:
	s_load_dwordx4 s[12:15], s[0:1], 0x10
	s_load_dword s22, s[0:1], 0x50
	s_mov_b32 s8, 0
	s_waitcnt lgkmcnt(0)
	s_mul_hi_i32 s9, s15, s2
	s_cmp_lg_u64 s[8:9], 0
	s_mul_i32 s5, s15, s2
	s_cbranch_scc0 .LBB12_21
; %bb.1:
	v_cvt_f32_u32_e32 v1, s22
	v_cvt_f32_ubyte0_e32 v2, 0
	s_sub_u32 s8, 0, s22
	s_subb_u32 s10, 0, 0
	v_fmamk_f32 v1, v2, 0x4f800000, v1
	v_rcp_f32_e32 v1, v1
	s_nop 0
	v_mul_f32_e32 v1, 0x5f7ffffc, v1
	v_mul_f32_e32 v2, 0x2f800000, v1
	v_trunc_f32_e32 v2, v2
	v_fmamk_f32 v1, v2, 0xcf800000, v1
	v_cvt_u32_f32_e32 v2, v2
	v_cvt_u32_f32_e32 v1, v1
	v_readfirstlane_b32 s11, v2
	v_readfirstlane_b32 s16, v1
	s_mul_i32 s17, s8, s11
	s_mul_hi_u32 s19, s8, s16
	s_mul_i32 s18, s10, s16
	s_add_i32 s17, s19, s17
	s_add_i32 s17, s17, s18
	s_mul_i32 s20, s8, s16
	s_mul_hi_u32 s18, s16, s17
	s_mul_i32 s19, s16, s17
	s_mul_hi_u32 s16, s16, s20
	s_add_u32 s16, s16, s19
	s_addc_u32 s18, 0, s18
	s_mul_hi_u32 s21, s11, s20
	s_mul_i32 s20, s11, s20
	s_add_u32 s16, s16, s20
	s_mul_hi_u32 s19, s11, s17
	s_addc_u32 s16, s18, s21
	s_addc_u32 s18, s19, 0
	s_mul_i32 s17, s11, s17
	s_add_u32 s16, s16, s17
	s_addc_u32 s17, 0, s18
	v_add_co_u32_e32 v1, vcc, s16, v1
	s_cmp_lg_u64 vcc, 0
	s_addc_u32 s11, s11, s17
	v_readfirstlane_b32 s17, v1
	s_mul_i32 s16, s8, s11
	s_mul_hi_u32 s18, s8, s17
	s_add_i32 s16, s18, s16
	s_mul_i32 s10, s10, s17
	s_add_i32 s16, s16, s10
	s_mul_i32 s8, s8, s17
	s_mul_hi_u32 s18, s11, s8
	s_mul_i32 s19, s11, s8
	s_mul_i32 s21, s17, s16
	s_mul_hi_u32 s8, s17, s8
	s_mul_hi_u32 s20, s17, s16
	s_add_u32 s8, s8, s21
	s_addc_u32 s17, 0, s20
	s_add_u32 s8, s8, s19
	s_mul_hi_u32 s10, s11, s16
	s_addc_u32 s8, s17, s18
	s_addc_u32 s10, s10, 0
	s_mul_i32 s16, s11, s16
	s_add_u32 s8, s8, s16
	s_addc_u32 s10, 0, s10
	v_add_co_u32_e32 v1, vcc, s8, v1
	s_cmp_lg_u64 vcc, 0
	s_addc_u32 s16, s11, s10
	s_ashr_i32 s10, s9, 31
	s_add_u32 s8, s5, s10
	s_mov_b32 s11, s10
	s_addc_u32 s9, s9, s10
	s_xor_b64 s[8:9], s[8:9], s[10:11]
	v_readfirstlane_b32 s19, v1
	s_mul_i32 s18, s8, s16
	s_mul_hi_u32 s20, s8, s19
	s_mul_hi_u32 s17, s8, s16
	s_add_u32 s18, s20, s18
	s_addc_u32 s17, 0, s17
	s_mul_hi_u32 s21, s9, s19
	s_mul_i32 s19, s9, s19
	s_add_u32 s18, s18, s19
	s_mul_hi_u32 s20, s9, s16
	s_addc_u32 s17, s17, s21
	s_addc_u32 s18, s20, 0
	s_mul_i32 s16, s9, s16
	s_add_u32 s16, s17, s16
	s_addc_u32 s17, 0, s18
	s_add_u32 s18, s16, 1
	s_addc_u32 s19, s17, 0
	s_add_u32 s20, s16, 2
	s_mul_i32 s23, s22, s17
	s_mul_hi_u32 s24, s22, s16
	s_addc_u32 s21, s17, 0
	s_add_i32 s24, s24, s23
	s_mul_i32 s23, s22, s16
	v_mov_b32_e32 v1, s23
	v_sub_co_u32_e32 v1, vcc, s8, v1
	s_cmp_lg_u64 vcc, 0
	s_subb_u32 s8, s9, s24
	v_subrev_co_u32_e32 v2, vcc, s22, v1
	s_cmp_lg_u64 vcc, 0
	s_subb_u32 s9, s8, 0
	v_readfirstlane_b32 s23, v2
	s_cmp_ge_u32 s23, s22
	s_cselect_b32 s23, -1, 0
	s_cmp_eq_u32 s9, 0
	s_cselect_b32 s9, s23, -1
	s_cmp_lg_u32 s9, 0
	s_cselect_b32 s9, s21, s19
	v_readfirstlane_b32 s19, v1
	s_cselect_b32 s18, s20, s18
	s_cmp_ge_u32 s19, s22
	s_cselect_b32 s19, -1, 0
	s_cmp_eq_u32 s8, 0
	s_cselect_b32 s8, s19, -1
	s_cmp_lg_u32 s8, 0
	s_cselect_b32 s9, s9, s17
	s_cselect_b32 s8, s18, s16
	s_xor_b64 s[8:9], s[8:9], s[10:11]
	s_sub_u32 s20, s8, s10
	s_load_dwordx4 s[16:19], s[0:1], 0x44
	s_cbranch_execnz .LBB12_3
.LBB12_2:
	v_cvt_f32_u32_e32 v1, s22
	s_sub_i32 s6, 0, s22
	v_rcp_iflag_f32_e32 v1, v1
	s_nop 0
	v_mul_f32_e32 v1, 0x4f7ffffe, v1
	v_cvt_u32_f32_e32 v1, v1
	s_nop 0
	v_readfirstlane_b32 s7, v1
	s_mul_i32 s6, s6, s7
	s_mul_hi_u32 s6, s7, s6
	s_add_i32 s7, s7, s6
	s_mul_hi_u32 s6, s5, s7
	s_mul_i32 s8, s6, s22
	s_sub_i32 s5, s5, s8
	s_add_i32 s7, s6, 1
	s_sub_i32 s8, s5, s22
	s_cmp_ge_u32 s5, s22
	s_cselect_b32 s6, s7, s6
	s_cselect_b32 s5, s8, s5
	s_add_i32 s7, s6, 1
	s_cmp_ge_u32 s5, s22
	s_cselect_b32 s20, s7, s6
.LBB12_3:
	s_add_i32 s5, s2, 1
	s_mul_hi_i32 s9, s15, s5
	s_mov_b32 s8, 0
	s_cmp_lg_u64 s[8:9], 0
	s_mul_i32 s5, s15, s5
	s_cbranch_scc0 .LBB12_22
; %bb.4:
	v_cvt_f32_u32_e32 v1, s22
	v_cvt_f32_ubyte0_e32 v2, 0
	s_sub_u32 s8, 0, s22
	s_subb_u32 s10, 0, 0
	v_fmamk_f32 v1, v2, 0x4f800000, v1
	v_rcp_f32_e32 v1, v1
	s_nop 0
	v_mul_f32_e32 v1, 0x5f7ffffc, v1
	v_mul_f32_e32 v2, 0x2f800000, v1
	v_trunc_f32_e32 v2, v2
	v_fmamk_f32 v1, v2, 0xcf800000, v1
	v_cvt_u32_f32_e32 v2, v2
	v_cvt_u32_f32_e32 v1, v1
	v_readfirstlane_b32 s11, v2
	s_waitcnt lgkmcnt(0)
	v_readfirstlane_b32 s19, v1
	s_mul_i32 s21, s8, s11
	s_mul_hi_u32 s24, s8, s19
	s_mul_i32 s23, s10, s19
	s_add_i32 s21, s24, s21
	s_add_i32 s21, s21, s23
	s_mul_i32 s25, s8, s19
	s_mul_hi_u32 s23, s19, s21
	s_mul_i32 s24, s19, s21
	s_mul_hi_u32 s19, s19, s25
	s_add_u32 s19, s19, s24
	s_addc_u32 s23, 0, s23
	s_mul_hi_u32 s26, s11, s25
	s_mul_i32 s25, s11, s25
	s_add_u32 s19, s19, s25
	s_mul_hi_u32 s24, s11, s21
	s_addc_u32 s19, s23, s26
	s_addc_u32 s23, s24, 0
	s_mul_i32 s21, s11, s21
	s_add_u32 s19, s19, s21
	s_addc_u32 s21, 0, s23
	v_add_co_u32_e32 v1, vcc, s19, v1
	s_cmp_lg_u64 vcc, 0
	s_addc_u32 s11, s11, s21
	v_readfirstlane_b32 s21, v1
	s_mul_i32 s19, s8, s11
	s_mul_hi_u32 s23, s8, s21
	s_add_i32 s19, s23, s19
	s_mul_i32 s10, s10, s21
	s_add_i32 s19, s19, s10
	s_mul_i32 s8, s8, s21
	s_mul_hi_u32 s23, s11, s8
	s_mul_i32 s24, s11, s8
	s_mul_i32 s26, s21, s19
	s_mul_hi_u32 s8, s21, s8
	s_mul_hi_u32 s25, s21, s19
	s_add_u32 s8, s8, s26
	s_addc_u32 s21, 0, s25
	s_add_u32 s8, s8, s24
	s_mul_hi_u32 s10, s11, s19
	s_addc_u32 s8, s21, s23
	s_addc_u32 s10, s10, 0
	s_mul_i32 s19, s11, s19
	s_add_u32 s8, s8, s19
	s_addc_u32 s10, 0, s10
	v_add_co_u32_e32 v1, vcc, s8, v1
	s_cmp_lg_u64 vcc, 0
	s_addc_u32 s19, s11, s10
	s_ashr_i32 s10, s9, 31
	s_add_u32 s8, s5, s10
	s_mov_b32 s11, s10
	s_addc_u32 s9, s9, s10
	s_xor_b64 s[8:9], s[8:9], s[10:11]
	v_readfirstlane_b32 s23, v1
	s_mul_i32 s21, s8, s19
	s_mul_hi_u32 s24, s8, s23
	s_mul_hi_u32 s11, s8, s19
	s_add_u32 s21, s24, s21
	s_addc_u32 s11, 0, s11
	s_mul_hi_u32 s25, s9, s23
	s_mul_i32 s23, s9, s23
	s_add_u32 s21, s21, s23
	s_mul_hi_u32 s24, s9, s19
	s_addc_u32 s11, s11, s25
	s_addc_u32 s21, s24, 0
	s_mul_i32 s19, s9, s19
	s_add_u32 s11, s11, s19
	s_addc_u32 s19, 0, s21
	s_mul_i32 s19, s22, s19
	s_mul_hi_u32 s24, s22, s11
	s_add_i32 s24, s24, s19
	s_mul_i32 s19, s22, s11
	v_mov_b32_e32 v1, s19
	s_add_u32 s21, s11, 1
	s_add_u32 s23, s11, 2
	v_sub_co_u32_e32 v1, vcc, s8, v1
	s_cmp_lg_u64 vcc, 0
	s_subb_u32 s8, s9, s24
	v_subrev_co_u32_e32 v2, vcc, s22, v1
	s_cmp_lg_u64 vcc, 0
	s_subb_u32 s9, s8, 0
	v_cmp_le_u32_e32 vcc, s22, v2
	s_cmp_eq_u32 s9, 0
	v_mov_b32_e32 v3, s21
	v_cndmask_b32_e64 v2, 0, -1, vcc
	s_cselect_b64 vcc, -1, 0
	v_cndmask_b32_e32 v2, -1, v2, vcc
	v_mov_b32_e32 v4, s23
	v_cmp_ne_u32_e32 vcc, 0, v2
	s_cmp_eq_u32 s8, 0
	s_nop 0
	v_cndmask_b32_e32 v2, v3, v4, vcc
	v_cmp_le_u32_e32 vcc, s22, v1
	v_mov_b32_e32 v3, s11
	s_nop 0
	v_cndmask_b32_e64 v1, 0, -1, vcc
	s_cselect_b64 vcc, -1, 0
	v_cndmask_b32_e32 v1, -1, v1, vcc
	v_cmp_ne_u32_e32 vcc, 0, v1
	s_nop 1
	v_cndmask_b32_e32 v1, v3, v2, vcc
	v_xor_b32_e32 v1, s10, v1
	v_subrev_co_u32_e32 v2, vcc, s10, v1
	s_cbranch_execnz .LBB12_6
.LBB12_5:
	v_cvt_f32_u32_e32 v1, s22
	s_sub_i32 s6, 0, s22
	s_mov_b32 s7, 0
	v_rcp_iflag_f32_e32 v1, v1
	s_nop 0
	v_mul_f32_e32 v1, 0x4f7ffffe, v1
	v_cvt_u32_f32_e32 v1, v1
	s_nop 0
	v_readfirstlane_b32 s8, v1
	s_mul_i32 s6, s6, s8
	s_mul_hi_u32 s6, s8, s6
	s_add_i32 s8, s8, s6
	s_mul_hi_u32 s6, s5, s8
	s_mul_i32 s9, s6, s22
	s_sub_i32 s5, s5, s9
	s_add_i32 s8, s6, 1
	s_sub_i32 s9, s5, s22
	s_cmp_ge_u32 s5, s22
	s_cselect_b32 s6, s8, s6
	s_cselect_b32 s5, s9, s5
	s_add_i32 s8, s6, 1
	s_cmp_ge_u32 s5, s22
	s_cselect_b32 s6, s8, s6
	v_mov_b64_e32 v[2:3], s[6:7]
.LBB12_6:
	s_waitcnt lgkmcnt(0)
	s_mul_hi_u32 s5, s20, s16
	s_add_i32 s5, s5, s20
	v_mul_hi_u32 v1, v2, s16
	s_lshr_b32 s19, s5, s17
	v_add_u32_e32 v1, v1, v2
	s_mul_i32 s5, s19, s18
	v_lshrrev_b32_e32 v1, s17, v1
	s_cmp_eq_u32 s5, s20
	v_cmp_eq_u32_e64 s[6:7], s19, v1
	v_mul_lo_u32 v1, v1, s18
	v_cmp_eq_u32_e32 vcc, s20, v2
	s_cselect_b64 s[10:11], -1, 0
	v_cmp_ne_u32_e64 s[8:9], v1, v2
	s_and_b64 s[6:7], s[6:7], s[8:9]
	s_or_b64 s[8:9], vcc, s[10:11]
	s_or_b64 s[6:7], s[8:9], s[6:7]
	s_and_b64 vcc, exec, s[6:7]
	s_cbranch_vccnz .LBB12_24
; %bb.7:
	s_load_dwordx8 s[24:31], s[0:1], 0x20
	s_load_dword s5, s[0:1], 0x40
	s_waitcnt lgkmcnt(0)
	s_mul_hi_u32 s6, s20, s24
	s_add_i32 s6, s6, s20
	s_lshr_b32 s7, s6, s25
	s_mul_i32 s6, s7, s26
	s_sub_i32 s6, s20, s6
	s_mul_hi_u32 s8, s6, s27
	s_add_i32 s8, s6, s8
	s_lshr_b32 s23, s8, s28
	s_mul_i32 s8, s23, s29
	s_sub_i32 s6, s6, s8
	;; [unrolled: 5-line block ×3, first 2 shown]
	s_mul_hi_u32 s6, s5, s16
	s_add_i32 s5, s5, s6
	s_lshr_b32 s24, s5, s17
	s_lshl_b32 s5, s24, 5
	s_add_i32 s5, s5, s3
	s_cmp_lt_i32 s5, s12
	s_cselect_b64 s[8:9], -1, 0
	s_add_i32 s25, s25, s4
	s_cmp_lt_i32 s25, s14
	s_cselect_b64 s[10:11], -1, 0
	s_and_b64 s[8:9], s[8:9], s[10:11]
	s_andn2_b64 vcc, exec, s[8:9]
	s_mov_b32 s6, 0
	s_cbranch_vccnz .LBB12_24
; %bb.8:
	s_load_dwordx4 s[8:11], s[0:1], 0x0
	s_lshl_b32 s0, s22, 7
	s_mov_b32 s1, s6
	s_add_i32 s21, s3, s4
	s_lshl_b64 s[0:1], s[0:1], 2
	s_waitcnt lgkmcnt(0)
	s_add_u32 s4, s10, s0
	s_mul_i32 s0, s7, s12
	s_addc_u32 s5, s11, s1
	s_mul_i32 s23, s23, s14
	s_add_i32 s0, s0, s3
	s_mul_i32 s0, s0, s13
	s_add_i32 s3, s25, s23
	s_mul_i32 s1, s13, s24
	s_add_i32 s0, s3, s0
	s_mulk_i32 s1, 0xa00
	s_mulk_i32 s0, 0x50
	s_add_i32 s1, s1, s0
	v_add_u32_e32 v4, s1, v0
	v_mov_b32_e32 v2, s8
	v_mov_b32_e32 v3, s9
	v_ashrrev_i32_e32 v5, 31, v4
	v_lshl_add_u64 v[2:3], v[4:5], 2, v[2:3]
	global_load_dword v5, v[2:3], off
	s_lshl_b32 s0, s2, 5
	s_add_i32 s0, s0, s21
	s_ashr_i32 s1, s0, 31
	s_lshl_b64 s[0:1], s[0:1], 3
	s_add_u32 s0, s10, s0
	s_addc_u32 s1, s11, s1
	s_add_i32 s12, s2, -1
	s_mul_i32 s2, s21, 0x50
	v_add_u32_e32 v4, s2, v0
	v_cvt_f32_u32_e32 v0, s22
	v_cvt_f32_ubyte0_e32 v1, 0
	s_load_dwordx2 s[0:1], s[0:1], 0x0
	v_mov_b32_e32 v8, s20
	v_fmac_f32_e32 v0, 0x4f800000, v1
	v_rcp_f32_e32 v0, v0
	v_cvt_f32_u32_e32 v1, s22
	s_waitcnt lgkmcnt(0)
	v_mov_b32_e32 v6, s1
	v_mov_b32_e32 v7, s0
	v_mul_f32_e32 v0, 0x5f7ffffc, v0
	v_rcp_iflag_f32_e32 v1, v1
	v_mul_f32_e32 v9, 0x2f800000, v0
	v_trunc_f32_e32 v10, v9
	v_fmac_f32_e32 v0, 0xcf800000, v10
	v_cvt_u32_f32_e32 v9, v0
	v_mul_f32_e32 v0, 0x4f7ffffe, v1
	v_cvt_u32_f32_e32 v10, v10
	v_cvt_u32_f32_e32 v11, v0
	s_mov_b32 s8, 0x3fb8aa3b
	s_mov_b32 s9, 0xc2ce8ed0
	s_mov_b32 s13, 0x42b17218
	s_mov_b32 s14, 0xc1a00000
	v_mov_b32_e32 v12, 0x7f800000
	s_mul_hi_i32 s7, s12, s15
	s_cmp_lg_u64 s[6:7], 0
	s_mul_i32 s2, s12, s15
	s_cbranch_scc0 .LBB12_15
.LBB12_9:
	s_sub_u32 s0, 0, s22
	v_readfirstlane_b32 s3, v9
	v_readfirstlane_b32 s24, v10
	s_subb_u32 s1, 0, 0
	s_mul_hi_u32 s23, s0, s3
	s_mul_i32 s25, s0, s24
	s_mul_i32 s20, s1, s3
	s_add_i32 s23, s23, s25
	s_add_i32 s23, s23, s20
	s_mul_i32 s26, s0, s3
	s_mul_hi_u32 s20, s3, s23
	s_mul_i32 s25, s3, s23
	s_mul_hi_u32 s3, s3, s26
	s_add_u32 s3, s3, s25
	s_addc_u32 s20, 0, s20
	s_mul_hi_u32 s27, s24, s26
	s_mul_i32 s26, s24, s26
	s_add_u32 s3, s3, s26
	s_mul_hi_u32 s25, s24, s23
	s_addc_u32 s3, s20, s27
	s_addc_u32 s20, s25, 0
	s_mul_i32 s23, s24, s23
	s_add_u32 s3, s3, s23
	s_addc_u32 s20, 0, s20
	v_add_co_u32_e32 v0, vcc, s3, v9
	s_cmp_lg_u64 vcc, 0
	s_addc_u32 s3, s24, s20
	v_readfirstlane_b32 s23, v0
	s_mul_i32 s20, s0, s3
	s_mul_hi_u32 s24, s0, s23
	s_add_i32 s20, s24, s20
	s_mul_i32 s1, s1, s23
	s_add_i32 s20, s20, s1
	s_mul_i32 s0, s0, s23
	s_mul_hi_u32 s24, s3, s0
	s_mul_i32 s25, s3, s0
	s_mul_i32 s27, s23, s20
	s_mul_hi_u32 s0, s23, s0
	s_mul_hi_u32 s26, s23, s20
	s_add_u32 s0, s0, s27
	s_addc_u32 s23, 0, s26
	s_add_u32 s0, s0, s25
	s_mul_hi_u32 s1, s3, s20
	s_addc_u32 s0, s23, s24
	s_addc_u32 s1, s1, 0
	s_mul_i32 s20, s3, s20
	s_add_u32 s0, s0, s20
	s_addc_u32 s1, 0, s1
	v_add_co_u32_e32 v0, vcc, s0, v0
	s_cmp_lg_u64 vcc, 0
	s_addc_u32 s3, s3, s1
	s_ashr_i32 s0, s7, 31
	s_add_u32 s24, s2, s0
	s_mov_b32 s1, s0
	s_addc_u32 s25, s7, s0
	s_xor_b64 s[24:25], s[24:25], s[0:1]
	v_readfirstlane_b32 s20, v0
	s_mul_i32 s7, s24, s3
	s_mul_hi_u32 s23, s24, s20
	s_mul_hi_u32 s1, s24, s3
	s_add_u32 s7, s23, s7
	s_addc_u32 s1, 0, s1
	s_mul_hi_u32 s26, s25, s20
	s_mul_i32 s20, s25, s20
	s_add_u32 s7, s7, s20
	s_mul_hi_u32 s23, s25, s3
	s_addc_u32 s1, s1, s26
	s_addc_u32 s7, s23, 0
	s_mul_i32 s3, s25, s3
	s_add_u32 s1, s1, s3
	s_addc_u32 s3, 0, s7
	s_mul_i32 s3, s22, s3
	s_mul_hi_u32 s23, s22, s1
	s_add_i32 s23, s23, s3
	s_mul_i32 s3, s22, s1
	v_mov_b32_e32 v0, s3
	s_add_u32 s7, s1, 1
	s_add_u32 s20, s1, 2
	v_sub_co_u32_e32 v0, vcc, s24, v0
	s_cmp_lg_u64 vcc, 0
	s_subb_u32 s3, s25, s23
	v_subrev_co_u32_e32 v1, vcc, s22, v0
	s_cmp_lg_u64 vcc, 0
	s_subb_u32 s23, s3, 0
	v_cmp_le_u32_e32 vcc, s22, v1
	s_cmp_eq_u32 s23, 0
	v_mov_b32_e32 v13, s7
	v_cndmask_b32_e64 v1, 0, -1, vcc
	s_cselect_b64 vcc, -1, 0
	v_cndmask_b32_e32 v1, -1, v1, vcc
	v_mov_b32_e32 v14, s20
	v_cmp_ne_u32_e32 vcc, 0, v1
	s_cmp_eq_u32 s3, 0
	s_nop 0
	v_cndmask_b32_e32 v1, v13, v14, vcc
	v_cmp_le_u32_e32 vcc, s22, v0
	v_mov_b32_e32 v13, s1
	s_nop 0
	v_cndmask_b32_e64 v0, 0, -1, vcc
	s_cselect_b64 vcc, -1, 0
	v_cndmask_b32_e32 v0, -1, v0, vcc
	v_cmp_ne_u32_e32 vcc, 0, v0
	s_nop 1
	v_cndmask_b32_e32 v0, v13, v1, vcc
	v_xor_b32_e32 v0, s0, v0
	v_subrev_co_u32_e32 v0, vcc, s0, v0
	s_cbranch_execnz .LBB12_11
.LBB12_10:
	s_sub_i32 s0, 0, s22
	v_mul_lo_u32 v0, s0, v11
	v_mul_hi_u32 v0, v11, v0
	v_add_u32_e32 v0, v11, v0
	v_mul_hi_u32 v0, s2, v0
	v_mul_lo_u32 v13, v0, s22
	v_sub_u32_e32 v13, s2, v13
	v_add_u32_e32 v1, 1, v0
	v_subrev_u32_e32 v14, s22, v13
	v_cmp_le_u32_e32 vcc, s22, v13
	s_nop 1
	v_cndmask_b32_e32 v13, v13, v14, vcc
	v_cndmask_b32_e32 v0, v0, v1, vcc
	v_add_u32_e32 v1, 1, v0
	v_cmp_le_u32_e32 vcc, s22, v13
	s_nop 1
	v_cndmask_b32_e32 v0, v0, v1, vcc
.LBB12_11:
	v_cmp_ne_u32_e32 vcc, v8, v0
	s_cbranch_vccz .LBB12_14
; %bb.12:
	s_add_i32 s0, s12, s22
	s_lshl_b32 s0, s0, 5
	v_mul_hi_u32 v1, v0, s16
	s_add_i32 s0, s0, s21
	s_mov_b32 s1, s6
	v_add_u32_e32 v1, v1, v0
	s_lshl_b64 s[0:1], s[0:1], 3
	v_lshrrev_b32_e32 v1, s17, v1
	s_add_u32 s2, s10, s0
	v_mul_lo_u32 v13, v1, s18
	s_addc_u32 s3, s11, s1
	v_cmp_eq_u32_e32 vcc, v13, v0
	v_cmp_gt_u32_e64 s[0:1], s19, v1
	s_or_b64 s[0:1], s[0:1], vcc
	s_and_b64 vcc, exec, s[0:1]
	s_cbranch_vccnz .LBB12_16
; %bb.13:
	s_add_i32 s7, s12, -1
	s_mov_b64 s[0:1], 0
	s_branch .LBB12_17
.LBB12_14:
                                        ; implicit-def: $sgpr0_sgpr1
                                        ; implicit-def: $vgpr14
                                        ; implicit-def: $vgpr1
                                        ; implicit-def: $vgpr13
                                        ; implicit-def: $sgpr7
                                        ; implicit-def: $vgpr0
	s_branch .LBB12_18
.LBB12_15:
                                        ; implicit-def: $vgpr0_vgpr1
	s_branch .LBB12_10
.LBB12_16:
	s_mov_b64 s[0:1], -1
	s_mov_b32 s7, s12
	v_mov_b32_e32 v0, v8
.LBB12_17:
	s_mul_i32 s20, s12, 0xa00
	v_add_u32_e32 v14, s20, v4
	v_ashrrev_i32_e32 v15, 31, v14
	v_lshl_add_u64 v[14:15], v[14:15], 2, s[4:5]
	global_load_dword v14, v[14:15], off
	s_load_dwordx2 s[2:3], s[2:3], 0x0
	v_max_f32_e32 v1, v7, v7
	s_waitcnt lgkmcnt(0)
	v_max_f32_e64 v13, s2, s2
	v_max_f32_e32 v1, v1, v13
	v_sub_f32_e32 v13, v7, v1
	v_sub_f32_e32 v15, s2, v1
	v_mul_f32_e32 v16, 0x3fb8aa3b, v13
	v_mul_f32_e32 v17, 0x3fb8aa3b, v15
	v_fma_f32 v18, v13, s8, -v16
	v_rndne_f32_e32 v19, v16
	v_fma_f32 v20, v15, s8, -v17
	v_rndne_f32_e32 v21, v17
	v_fmac_f32_e32 v18, 0x32a5705f, v13
	v_sub_f32_e32 v16, v16, v19
	v_fmac_f32_e32 v20, 0x32a5705f, v15
	v_sub_f32_e32 v17, v17, v21
	v_add_f32_e32 v16, v16, v18
	v_cvt_i32_f32_e32 v19, v19
	v_add_f32_e32 v17, v17, v20
	v_exp_f32_e32 v16, v16
	v_cvt_i32_f32_e32 v21, v21
	v_exp_f32_e32 v17, v17
	v_cmp_ngt_f32_e32 vcc, s9, v13
	v_ldexp_f32 v16, v16, v19
	v_ldexp_f32 v17, v17, v21
	v_cndmask_b32_e32 v16, 0, v16, vcc
	v_cmp_ngt_f32_e32 vcc, s9, v15
	s_nop 1
	v_cndmask_b32_e32 v17, 0, v17, vcc
	v_cmp_nlt_f32_e32 vcc, s13, v13
	s_nop 1
	v_cndmask_b32_e32 v16, v12, v16, vcc
	v_cmp_nlt_f32_e32 vcc, s13, v15
	s_nop 1
	v_cndmask_b32_e32 v17, v12, v17, vcc
	v_cmp_le_f32_e32 vcc, s14, v13
	s_nop 1
	v_cndmask_b32_e32 v16, 0, v16, vcc
	v_cmp_le_f32_e32 vcc, s14, v15
	s_nop 1
	v_cndmask_b32_e32 v15, 0, v17, vcc
	v_mul_f32_e32 v13, s3, v15
	v_fmac_f32_e32 v13, v6, v16
	s_waitcnt vmcnt(0)
	v_mul_f32_e32 v14, v14, v15
	v_fmac_f32_e32 v14, v5, v16
	s_cbranch_execnz .LBB12_19
.LBB12_18:
	s_add_i32 s7, s12, -1
	s_mov_b64 s[0:1], 0
	v_mov_b32_e32 v0, v8
	v_mov_b32_e32 v13, v6
	;; [unrolled: 1-line block ×3, first 2 shown]
	s_waitcnt vmcnt(0)
	v_mov_b32_e32 v14, v5
.LBB12_19:
	s_andn2_b64 vcc, exec, s[0:1]
	s_cbranch_vccz .LBB12_23
; %bb.20:
	v_mov_b32_e32 v8, v0
	s_mov_b32 s12, s7
	v_mov_b32_e32 v6, v13
	v_mov_b32_e32 v7, v1
	s_waitcnt vmcnt(0)
	v_mov_b32_e32 v5, v14
	s_mul_hi_i32 s7, s12, s15
	s_cmp_lg_u64 s[6:7], 0
	s_mul_i32 s2, s12, s15
	s_cbranch_scc1 .LBB12_9
	s_branch .LBB12_15
.LBB12_21:
                                        ; implicit-def: $sgpr20_sgpr21
	s_load_dwordx4 s[16:19], s[0:1], 0x44
	s_branch .LBB12_2
.LBB12_22:
                                        ; implicit-def: $vgpr2_vgpr3
	s_branch .LBB12_5
.LBB12_23:
	v_div_scale_f32 v0, s[0:1], v13, v13, v14
	v_rcp_f32_e32 v1, v0
	v_div_scale_f32 v4, vcc, v14, v13, v14
	s_waitcnt vmcnt(0)
	v_fma_f32 v5, -v0, v1, 1.0
	v_fmac_f32_e32 v1, v5, v1
	v_mul_f32_e32 v5, v4, v1
	v_fma_f32 v6, -v0, v5, v4
	v_fmac_f32_e32 v5, v6, v1
	v_fma_f32 v0, -v0, v5, v4
	v_div_fmas_f32 v0, v0, v1, v5
	v_div_fixup_f32 v0, v0, v13, v14
	global_store_dword v[2:3], v0, off
.LBB12_24:
	s_endpgm
	.section	.rodata,"a",@progbits
	.p2align	6, 0x0
	.amdhsa_kernel _ZL33flash_attn_stream_k_fixup_generalILi80ELi32ELi1EEvPfPK15HIP_vector_typeIfLj2EEiiiiS1_IjLj3EES5_S5_S5_
		.amdhsa_group_segment_fixed_size 0
		.amdhsa_private_segment_fixed_size 0
		.amdhsa_kernarg_size 336
		.amdhsa_user_sgpr_count 2
		.amdhsa_user_sgpr_dispatch_ptr 0
		.amdhsa_user_sgpr_queue_ptr 0
		.amdhsa_user_sgpr_kernarg_segment_ptr 1
		.amdhsa_user_sgpr_dispatch_id 0
		.amdhsa_user_sgpr_kernarg_preload_length 0
		.amdhsa_user_sgpr_kernarg_preload_offset 0
		.amdhsa_user_sgpr_private_segment_size 0
		.amdhsa_uses_dynamic_stack 0
		.amdhsa_enable_private_segment 0
		.amdhsa_system_sgpr_workgroup_id_x 1
		.amdhsa_system_sgpr_workgroup_id_y 1
		.amdhsa_system_sgpr_workgroup_id_z 1
		.amdhsa_system_sgpr_workgroup_info 0
		.amdhsa_system_vgpr_workitem_id 0
		.amdhsa_next_free_vgpr 22
		.amdhsa_next_free_sgpr 32
		.amdhsa_accum_offset 24
		.amdhsa_reserve_vcc 1
		.amdhsa_float_round_mode_32 0
		.amdhsa_float_round_mode_16_64 0
		.amdhsa_float_denorm_mode_32 3
		.amdhsa_float_denorm_mode_16_64 3
		.amdhsa_dx10_clamp 1
		.amdhsa_ieee_mode 1
		.amdhsa_fp16_overflow 0
		.amdhsa_tg_split 0
		.amdhsa_exception_fp_ieee_invalid_op 0
		.amdhsa_exception_fp_denorm_src 0
		.amdhsa_exception_fp_ieee_div_zero 0
		.amdhsa_exception_fp_ieee_overflow 0
		.amdhsa_exception_fp_ieee_underflow 0
		.amdhsa_exception_fp_ieee_inexact 0
		.amdhsa_exception_int_div_zero 0
	.end_amdhsa_kernel
	.section	.text._ZL33flash_attn_stream_k_fixup_generalILi80ELi32ELi1EEvPfPK15HIP_vector_typeIfLj2EEiiiiS1_IjLj3EES5_S5_S5_,"axG",@progbits,_ZL33flash_attn_stream_k_fixup_generalILi80ELi32ELi1EEvPfPK15HIP_vector_typeIfLj2EEiiiiS1_IjLj3EES5_S5_S5_,comdat
.Lfunc_end12:
	.size	_ZL33flash_attn_stream_k_fixup_generalILi80ELi32ELi1EEvPfPK15HIP_vector_typeIfLj2EEiiiiS1_IjLj3EES5_S5_S5_, .Lfunc_end12-_ZL33flash_attn_stream_k_fixup_generalILi80ELi32ELi1EEvPfPK15HIP_vector_typeIfLj2EEiiiiS1_IjLj3EES5_S5_S5_
                                        ; -- End function
	.section	.AMDGPU.csdata,"",@progbits
; Kernel info:
; codeLenInByte = 2860
; NumSgprs: 38
; NumVgprs: 22
; NumAgprs: 0
; TotalNumVgprs: 22
; ScratchSize: 0
; MemoryBound: 0
; FloatMode: 240
; IeeeMode: 1
; LDSByteSize: 0 bytes/workgroup (compile time only)
; SGPRBlocks: 4
; VGPRBlocks: 2
; NumSGPRsForWavesPerEU: 38
; NumVGPRsForWavesPerEU: 22
; AccumOffset: 24
; Occupancy: 8
; WaveLimiterHint : 0
; COMPUTE_PGM_RSRC2:SCRATCH_EN: 0
; COMPUTE_PGM_RSRC2:USER_SGPR: 2
; COMPUTE_PGM_RSRC2:TRAP_HANDLER: 0
; COMPUTE_PGM_RSRC2:TGID_X_EN: 1
; COMPUTE_PGM_RSRC2:TGID_Y_EN: 1
; COMPUTE_PGM_RSRC2:TGID_Z_EN: 1
; COMPUTE_PGM_RSRC2:TIDIG_COMP_CNT: 0
; COMPUTE_PGM_RSRC3_GFX90A:ACCUM_OFFSET: 5
; COMPUTE_PGM_RSRC3_GFX90A:TG_SPLIT: 0
	.section	.text._ZL26flash_attn_combine_resultsILi80EEvPKfPK15HIP_vector_typeIfLj2EEPfi,"axG",@progbits,_ZL26flash_attn_combine_resultsILi80EEvPKfPK15HIP_vector_typeIfLj2EEPfi,comdat
	.globl	_ZL26flash_attn_combine_resultsILi80EEvPKfPK15HIP_vector_typeIfLj2EEPfi ; -- Begin function _ZL26flash_attn_combine_resultsILi80EEvPKfPK15HIP_vector_typeIfLj2EEPfi
	.p2align	8
	.type	_ZL26flash_attn_combine_resultsILi80EEvPKfPK15HIP_vector_typeIfLj2EEPfi,@function
_ZL26flash_attn_combine_resultsILi80EEvPKfPK15HIP_vector_typeIfLj2EEPfi: ; @_ZL26flash_attn_combine_resultsILi80EEvPKfPK15HIP_vector_typeIfLj2EEPfi
; %bb.0:
	s_load_dwordx2 s[6:7], s[0:1], 0x20
	s_load_dword s25, s[0:1], 0x18
	s_load_dwordx4 s[16:19], s[0:1], 0x0
	s_load_dwordx2 s[14:15], s[0:1], 0x10
	s_waitcnt lgkmcnt(0)
	s_mul_i32 s0, s6, s4
	s_add_i32 s0, s0, s2
	s_mul_i32 s24, s0, s7
	s_add_i32 s24, s24, s3
	s_lshl_b32 s12, s25, 1
	s_mul_i32 s0, s24, s25
	v_cmp_gt_i32_e32 vcc, s12, v0
	s_and_saveexec_b64 s[2:3], vcc
	s_cbranch_execz .LBB13_13
; %bb.1:
	v_xad_u32 v1, v0, -1, s12
	s_movk_i32 s4, 0x4f
	s_ashr_i32 s1, s0, 31
	v_cmp_lt_u32_e32 vcc, s4, v1
	s_mov_b64 s[6:7], -1
	v_mov_b32_e32 v2, v0
	s_and_saveexec_b64 s[4:5], vcc
	s_cbranch_execz .LBB13_10
; %bb.2:
	s_mov_b32 s6, 0xcccccccd
	v_mul_hi_u32 v1, v1, s6
	v_lshrrev_b32_e32 v6, 6, v1
	s_lshl_b64 s[6:7], s[0:1], 3
	v_add_u32_e32 v2, -1, v6
	s_add_u32 s6, s18, s6
	v_add_u32_e32 v1, 0x50, v0
	v_lshrrev_b32_e32 v3, 1, v2
	s_addc_u32 s7, s19, s7
	v_add_u32_e32 v7, 1, v3
	v_cmp_lt_u32_e32 vcc, 13, v2
	v_mov_b32_e32 v4, 0
	v_mov_b64_e32 v[2:3], v[0:1]
	s_and_saveexec_b64 s[8:9], vcc
	s_cbranch_execz .LBB13_6
; %bb.3:
	v_and_b32_e32 v8, -8, v7
	s_mov_b32 s13, 0
	v_lshl_add_u32 v9, v0, 2, 0
	s_mov_b64 s[10:11], 0
	v_mov_b32_e32 v5, 0
	v_mov_b64_e32 v[2:3], v[0:1]
.LBB13_4:                               ; =>This Inner Loop Header: Depth=1
	v_mov_b32_e32 v4, v2
	v_lshl_add_u64 v[24:25], v[4:5], 2, s[6:7]
	v_mov_b32_e32 v4, v3
	v_lshl_add_u64 v[26:27], v[4:5], 2, s[6:7]
	v_add_u32_e32 v4, 0xa0, v2
	v_add_u32_e32 v10, 0xa0, v3
	v_mov_b32_e32 v11, v5
	global_load_dword v1, v[24:25], off
	global_load_dword v28, v[26:27], off
	v_lshl_add_u64 v[24:25], v[4:5], 2, s[6:7]
	v_add_u32_e32 v4, 0x140, v2
	v_lshl_add_u64 v[10:11], v[10:11], 2, s[6:7]
	v_lshl_add_u64 v[26:27], v[4:5], 2, s[6:7]
	v_add_u32_e32 v4, 0x1e0, v2
	v_add_u32_e32 v12, 0x140, v3
	v_mov_b32_e32 v13, v5
	v_add_u32_e32 v14, 0x1e0, v3
	v_mov_b32_e32 v15, v5
	global_load_dword v29, v[24:25], off
	global_load_dword v30, v[10:11], off
	v_lshl_add_u64 v[10:11], v[4:5], 2, s[6:7]
	v_add_u32_e32 v4, 0x280, v2
	v_lshl_add_u64 v[12:13], v[12:13], 2, s[6:7]
	v_lshl_add_u64 v[14:15], v[14:15], 2, s[6:7]
	global_load_dword v24, v[26:27], off
	global_load_dword v25, v[12:13], off
	;; [unrolled: 1-line block ×4, first 2 shown]
	v_lshl_add_u64 v[10:11], v[4:5], 2, s[6:7]
	v_add_u32_e32 v4, 0x320, v2
	v_add_u32_e32 v16, 0x280, v3
	v_mov_b32_e32 v17, v5
	v_add_u32_e32 v18, 0x320, v3
	v_mov_b32_e32 v19, v5
	v_lshl_add_u64 v[12:13], v[4:5], 2, s[6:7]
	v_add_u32_e32 v4, 0x3c0, v2
	v_add_u32_e32 v20, 0x3c0, v3
	v_mov_b32_e32 v21, v5
	v_add_u32_e32 v22, 0x460, v3
	v_mov_b32_e32 v23, v5
	v_lshl_add_u64 v[16:17], v[16:17], 2, s[6:7]
	v_lshl_add_u64 v[18:19], v[18:19], 2, s[6:7]
	global_load_dword v14, v[10:11], off
	global_load_dword v15, v[16:17], off
	v_lshl_add_u64 v[10:11], v[4:5], 2, s[6:7]
	v_add_u32_e32 v4, 0x460, v2
	v_lshl_add_u64 v[20:21], v[20:21], 2, s[6:7]
	v_lshl_add_u64 v[22:23], v[22:23], 2, s[6:7]
	global_load_dword v16, v[12:13], off
	global_load_dword v17, v[18:19], off
	v_lshl_add_u64 v[12:13], v[4:5], 2, s[6:7]
	global_load_dword v18, v[10:11], off
	global_load_dword v19, v[20:21], off
	;; [unrolled: 1-line block ×4, first 2 shown]
	v_add_u32_e32 v8, -8, v8
	s_add_i32 s13, s13, 16
	v_cmp_eq_u32_e32 vcc, 0, v8
	v_add_u32_e32 v10, 0x400, v9
	v_add_u32_e32 v11, 0x600, v9
	;; [unrolled: 1-line block ×7, first 2 shown]
	v_mov_b32_e32 v4, s13
	s_or_b64 s[10:11], vcc, s[10:11]
	v_add_u32_e32 v2, 0x500, v2
	s_waitcnt vmcnt(14)
	ds_write2_b32 v9, v1, v28 offset1:80
	s_waitcnt vmcnt(12)
	ds_write2_b32 v9, v29, v30 offset0:160 offset1:240
	v_add_u32_e32 v9, 0x1400, v9
	s_waitcnt vmcnt(10)
	ds_write2_b32 v10, v24, v25 offset0:64 offset1:144
	s_waitcnt vmcnt(8)
	ds_write2_b32 v11, v31, v32 offset0:96 offset1:176
	;; [unrolled: 2-line block ×6, first 2 shown]
	s_andn2_b64 exec, exec, s[10:11]
	s_cbranch_execnz .LBB13_4
; %bb.5:
	s_or_b64 exec, exec, s[10:11]
.LBB13_6:
	s_or_b64 exec, exec, s[8:9]
	v_and_b32_e32 v1, 7, v7
	v_cmp_ne_u32_e32 vcc, 0, v1
	s_and_saveexec_b64 s[8:9], vcc
	s_cbranch_execz .LBB13_9
; %bb.7:
	s_movk_i32 s10, 0x140
	v_mul_lo_u32 v4, v4, s10
	v_lshlrev_b32_e32 v5, 2, v0
	v_add3_u32 v7, v4, v5, 0
	s_mov_b64 s[10:11], 0
	v_mov_b32_e32 v5, 0
.LBB13_8:                               ; =>This Inner Loop Header: Depth=1
	v_mov_b32_e32 v4, v2
	v_lshl_add_u64 v[8:9], v[4:5], 2, s[6:7]
	v_mov_b32_e32 v4, v3
	v_lshl_add_u64 v[10:11], v[4:5], 2, s[6:7]
	global_load_dword v4, v[8:9], off
	global_load_dword v12, v[10:11], off
	v_add_u32_e32 v1, -1, v1
	v_cmp_eq_u32_e32 vcc, 0, v1
	v_add_u32_e32 v2, 0xa0, v2
	v_add_u32_e32 v3, 0xa0, v3
	s_or_b64 s[10:11], vcc, s[10:11]
	s_waitcnt vmcnt(0)
	ds_write2_b32 v7, v4, v12 offset1:80
	v_add_u32_e32 v7, 0x280, v7
	s_andn2_b64 exec, exec, s[10:11]
	s_cbranch_execnz .LBB13_8
.LBB13_9:
	s_or_b64 exec, exec, s[8:9]
	v_add_u32_e32 v1, 1, v6
	v_and_b32_e32 v4, 0x7fffffe, v1
	s_movk_i32 s6, 0x50
	v_mad_u64_u32 v[2:3], s[6:7], v4, s6, v[0:1]
	v_cmp_ne_u32_e32 vcc, v1, v4
	s_orn2_b64 s[6:7], vcc, exec
.LBB13_10:
	s_or_b64 exec, exec, s[4:5]
	s_and_b64 exec, exec, s[6:7]
	s_cbranch_execz .LBB13_13
; %bb.11:
	s_lshl_b64 s[4:5], s[0:1], 3
	s_add_u32 s4, s18, s4
	v_mov_b32_e32 v3, 0
	s_addc_u32 s5, s19, s5
	v_lshl_add_u64 v[4:5], v[2:3], 2, s[4:5]
	v_lshl_add_u32 v1, v2, 2, 0
	s_mov_b64 s[4:5], 0
	s_mov_b64 s[6:7], 0x140
.LBB13_12:                              ; =>This Inner Loop Header: Depth=1
	global_load_dword v3, v[4:5], off
	v_add_u32_e32 v2, 0x50, v2
	v_cmp_le_i32_e32 vcc, s12, v2
	v_lshl_add_u64 v[4:5], v[4:5], 0, s[6:7]
	s_or_b64 s[4:5], vcc, s[4:5]
	s_waitcnt vmcnt(0)
	ds_write_b32 v1, v3
	v_add_u32_e32 v1, 0x140, v1
	s_andn2_b64 exec, exec, s[4:5]
	s_cbranch_execnz .LBB13_12
.LBB13_13:
	s_or_b64 exec, exec, s[2:3]
	v_mov_b32_e32 v1, 0
	s_waitcnt lgkmcnt(0)
	s_barrier
	ds_read_b32 v1, v1
	s_cmp_lt_i32 s25, 2
	s_cbranch_scc1 .LBB13_21
; %bb.14:
	s_add_i32 s1, s25, -1
	s_add_i32 s2, s25, -2
	s_cmp_lt_u32 s2, 7
	s_cbranch_scc1 .LBB13_18
; %bb.15:
	s_mov_b32 s4, 0
	s_add_i32 s2, 0, 8
	s_and_b32 s3, s1, -8
.LBB13_16:                              ; =>This Inner Loop Header: Depth=1
	v_mov_b32_e32 v8, s2
	ds_read2_b32 v[2:3], v8 offset1:2
	ds_read2_b32 v[4:5], v8 offset0:4 offset1:6
	ds_read2_b32 v[6:7], v8 offset0:8 offset1:10
	;; [unrolled: 1-line block ×3, first 2 shown]
	s_mov_b32 s5, s4
	s_waitcnt lgkmcnt(3)
	v_max3_f32 v1, v1, v2, v3
	s_waitcnt lgkmcnt(2)
	v_max3_f32 v1, v1, v4, v5
	s_add_i32 s2, s2, 64
	s_add_i32 s4, s4, 8
	s_waitcnt lgkmcnt(1)
	v_max3_f32 v1, v1, v6, v7
	s_cmp_eq_u32 s3, s4
	s_waitcnt lgkmcnt(0)
	v_max3_f32 v1, v1, v8, v9
	s_cbranch_scc0 .LBB13_16
; %bb.17:
	s_add_i32 s2, s5, 9
	s_and_b32 s1, s1, 7
	s_cmp_eq_u32 s1, 0
	s_cbranch_scc0 .LBB13_19
	s_branch .LBB13_21
.LBB13_18:
	s_mov_b32 s2, 1
	s_and_b32 s1, s1, 7
	s_cmp_eq_u32 s1, 0
	s_cbranch_scc1 .LBB13_21
.LBB13_19:
	s_lshl_b32 s2, s2, 3
	s_add_i32 s2, s2, 0
.LBB13_20:                              ; =>This Inner Loop Header: Depth=1
	v_mov_b32_e32 v2, s2
	ds_read_b32 v2, v2
	s_waitcnt lgkmcnt(1)
	v_max_f32_e32 v1, v1, v1
	s_add_i32 s2, s2, 8
	s_add_i32 s1, s1, -1
	s_cmp_lg_u32 s1, 0
	s_waitcnt lgkmcnt(0)
	v_max_f32_e32 v2, v2, v2
	v_max_f32_e32 v1, v1, v2
	s_cbranch_scc1 .LBB13_20
.LBB13_21:
	s_cmp_lt_i32 s25, 1
	s_cbranch_scc1 .LBB13_26
; %bb.22:
	s_mul_i32 s18, s0, 0x50
	s_ashr_i32 s19, s18, 31
	s_cmp_lt_u32 s25, 8
	v_mov_b32_e32 v8, 0
	s_cbranch_scc1 .LBB13_27
; %bb.23:
	s_lshl_b64 s[0:1], s[18:19], 2
	s_add_u32 s20, s16, s0
	s_addc_u32 s21, s17, s1
	v_lshlrev_b32_e32 v2, 2, v0
	v_mov_b32_e32 v3, 0
	v_lshl_add_u64 v[4:5], s[20:21], 0, v[2:3]
	s_mov_b64 s[0:1], 0x140
	s_and_b32 s26, s25, 0x7ffffff8
	v_lshl_add_u64 v[4:5], v[4:5], 0, s[0:1]
	v_add_u32_e32 v6, 0x140, v0
	s_mov_b32 s27, 0
	s_mov_b32 s28, 0x3fb8aa3b
	s_mov_b32 s29, 0xc2ce8ed0
	s_mov_b32 s30, 0x42b17218
	v_mov_b32_e32 v10, 0x7f800000
	s_mov_b64 s[22:23], 0xa00
	s_mov_b32 s31, 0
	v_mov_b32_e32 v9, 0
	v_mov_b32_e32 v8, 0
.LBB13_24:                              ; =>This Inner Loop Header: Depth=1
	v_add_u32_e32 v2, 0xfffffec0, v6
	v_mov_b32_e32 v11, s27
	v_mov_b32_e32 v7, v3
	v_lshl_add_u64 v[28:29], v[2:3], 2, s[20:21]
	global_load_dword v34, v[4:5], off
	global_load_dword v35, v[4:5], off offset:320
	ds_read2_b64 v[12:15], v11 offset1:1
	ds_read2_b64 v[16:19], v11 offset0:2 offset1:3
	v_lshl_add_u64 v[30:31], v[6:7], 2, s[20:21]
	ds_read2_b64 v[20:23], v11 offset0:4 offset1:5
	ds_read2_b64 v[24:27], v11 offset0:6 offset1:7
	global_load_dword v7, v[28:29], off
	v_add_u32_e32 v2, 0xffffffb0, v6
	v_lshl_add_u64 v[32:33], v[2:3], 2, s[20:21]
	v_add_u32_e32 v2, 0x50, v6
	v_lshl_add_u64 v[28:29], v[2:3], 2, s[20:21]
	v_add_u32_e32 v2, 0xa0, v6
	global_load_dword v11, v[32:33], off
	global_load_dword v36, v[30:31], off
	v_lshl_add_u64 v[30:31], v[2:3], 2, s[20:21]
	v_add_u32_e32 v2, 0xf0, v6
	global_load_dword v32, v[28:29], off
	v_lshl_add_u64 v[28:29], v[2:3], 2, s[20:21]
	global_load_dword v2, v[30:31], off
	s_waitcnt lgkmcnt(3)
	v_sub_f32_e32 v12, v12, v1
	global_load_dword v28, v[28:29], off
	v_sub_f32_e32 v14, v14, v1
	v_mul_f32_e32 v29, 0x3fb8aa3b, v12
	v_mul_f32_e32 v30, 0x3fb8aa3b, v14
	s_waitcnt lgkmcnt(2)
	v_sub_f32_e32 v16, v16, v1
	v_sub_f32_e32 v18, v18, v1
	s_waitcnt lgkmcnt(1)
	v_sub_f32_e32 v20, v20, v1
	v_sub_f32_e32 v22, v22, v1
	v_fma_f32 v41, v12, s28, -v29
	v_rndne_f32_e32 v42, v29
	v_fma_f32 v43, v14, s28, -v30
	v_rndne_f32_e32 v44, v30
	v_mul_f32_e32 v31, 0x3fb8aa3b, v16
	v_mul_f32_e32 v33, 0x3fb8aa3b, v18
	;; [unrolled: 1-line block ×4, first 2 shown]
	v_fmac_f32_e32 v41, 0x32a5705f, v12
	v_sub_f32_e32 v29, v29, v42
	v_fmac_f32_e32 v43, 0x32a5705f, v14
	v_sub_f32_e32 v30, v30, v44
	s_waitcnt lgkmcnt(0)
	v_sub_f32_e32 v24, v24, v1
	v_sub_f32_e32 v26, v26, v1
	v_fma_f32 v45, v16, s28, -v31
	v_rndne_f32_e32 v46, v31
	v_fma_f32 v47, v18, s28, -v33
	v_rndne_f32_e32 v48, v33
	;; [unrolled: 2-line block ×3, first 2 shown]
	v_add_f32_e32 v29, v29, v41
	v_fma_f32 v41, v22, s28, -v38
	v_add_f32_e32 v30, v30, v43
	v_rndne_f32_e32 v43, v38
	v_mul_f32_e32 v39, 0x3fb8aa3b, v24
	v_mul_f32_e32 v40, 0x3fb8aa3b, v26
	v_fmac_f32_e32 v45, 0x32a5705f, v16
	v_sub_f32_e32 v31, v31, v46
	v_fmac_f32_e32 v47, 0x32a5705f, v18
	v_sub_f32_e32 v33, v33, v48
	v_fmac_f32_e32 v49, 0x32a5705f, v20
	v_sub_f32_e32 v37, v37, v50
	v_fmac_f32_e32 v41, 0x32a5705f, v22
	v_sub_f32_e32 v38, v38, v43
	v_add_f32_e32 v31, v31, v45
	v_fma_f32 v45, v24, s28, -v39
	v_add_f32_e32 v33, v33, v47
	v_rndne_f32_e32 v47, v39
	v_add_f32_e32 v37, v37, v49
	v_fma_f32 v49, v26, s28, -v40
	v_add_f32_e32 v38, v38, v41
	v_rndne_f32_e32 v41, v40
	v_cvt_i32_f32_e32 v42, v42
	v_fmac_f32_e32 v45, 0x32a5705f, v24
	v_sub_f32_e32 v39, v39, v47
	v_fmac_f32_e32 v49, 0x32a5705f, v26
	v_sub_f32_e32 v40, v40, v41
	v_exp_f32_e32 v29, v29
	v_cvt_i32_f32_e32 v44, v44
	v_add_f32_e32 v39, v39, v45
	v_add_f32_e32 v40, v40, v49
	v_exp_f32_e32 v30, v30
	v_cvt_i32_f32_e32 v46, v46
	v_cvt_i32_f32_e32 v48, v48
	v_cvt_i32_f32_e32 v50, v50
	v_cvt_i32_f32_e32 v43, v43
	v_cvt_i32_f32_e32 v47, v47
	v_cvt_i32_f32_e32 v41, v41
	v_exp_f32_e32 v31, v31
	v_exp_f32_e32 v33, v33
	;; [unrolled: 1-line block ×6, first 2 shown]
	v_ldexp_f32 v29, v29, v42
	v_cmp_ngt_f32_e64 s[12:13], s29, v12
	v_ldexp_f32 v30, v30, v44
	v_cmp_ngt_f32_e32 vcc, s29, v14
	v_cndmask_b32_e64 v29, 0, v29, s[12:13]
	v_cmp_nlt_f32_e64 s[12:13], s30, v12
	v_ldexp_f32 v31, v31, v46
	v_cmp_ngt_f32_e64 s[0:1], s29, v16
	v_ldexp_f32 v33, v33, v48
	v_cmp_ngt_f32_e64 s[2:3], s29, v18
	v_ldexp_f32 v37, v37, v50
	v_cmp_ngt_f32_e64 s[4:5], s29, v20
	v_ldexp_f32 v38, v38, v43
	v_cmp_ngt_f32_e64 s[6:7], s29, v22
	v_ldexp_f32 v39, v39, v47
	v_cmp_ngt_f32_e64 s[8:9], s29, v24
	v_ldexp_f32 v40, v40, v41
	v_cmp_ngt_f32_e64 s[10:11], s29, v26
	v_cndmask_b32_e32 v30, 0, v30, vcc
	v_cmp_nlt_f32_e32 vcc, s30, v14
	v_cndmask_b32_e64 v12, v10, v29, s[12:13]
	v_cndmask_b32_e64 v14, 0, v31, s[0:1]
	v_cmp_nlt_f32_e64 s[0:1], s30, v16
	v_cndmask_b32_e64 v16, 0, v33, s[2:3]
	v_cmp_nlt_f32_e64 s[2:3], s30, v18
	;; [unrolled: 2-line block ×6, first 2 shown]
	v_cndmask_b32_e32 v26, v10, v30, vcc
	v_fmac_f32_e32 v9, v12, v13
	s_waitcnt vmcnt(5)
	v_fmac_f32_e32 v8, v7, v12
	v_cndmask_b32_e64 v14, v10, v14, s[0:1]
	v_fmac_f32_e32 v9, v26, v15
	v_fmac_f32_e32 v8, v34, v26
	v_cndmask_b32_e64 v16, v10, v16, s[2:3]
	v_fmac_f32_e32 v9, v14, v17
	;; [unrolled: 3-line block ×3, first 2 shown]
	s_waitcnt vmcnt(4)
	v_fmac_f32_e32 v8, v11, v16
	v_cndmask_b32_e64 v20, v10, v20, s[6:7]
	v_fmac_f32_e32 v9, v18, v21
	s_waitcnt vmcnt(3)
	v_fmac_f32_e32 v8, v36, v18
	v_cndmask_b32_e64 v22, v10, v22, s[8:9]
	v_fmac_f32_e32 v9, v20, v23
	s_waitcnt vmcnt(2)
	v_fmac_f32_e32 v8, v32, v20
	s_add_i32 s31, s31, 8
	s_add_i32 s27, s27, 64
	v_cndmask_b32_e64 v24, v10, v24, s[10:11]
	v_fmac_f32_e32 v9, v22, v25
	s_waitcnt vmcnt(1)
	v_fmac_f32_e32 v8, v2, v22
	v_lshl_add_u64 v[4:5], v[4:5], 0, s[22:23]
	s_cmp_eq_u32 s26, s31
	v_add_u32_e32 v6, 0x280, v6
	v_fmac_f32_e32 v9, v24, v27
	s_waitcnt vmcnt(0)
	v_fmac_f32_e32 v8, v28, v24
	s_cbranch_scc0 .LBB13_24
; %bb.25:
	s_and_b32 s2, s25, 7
	s_cmp_eq_u32 s2, 0
	s_cbranch_scc0 .LBB13_28
	s_branch .LBB13_30
.LBB13_26:
	s_waitcnt lgkmcnt(0)
	v_mov_b32_e32 v1, 0x7fc00000
	s_branch .LBB13_31
.LBB13_27:
	s_mov_b32 s26, 0
	v_mov_b32_e32 v9, 0
	s_and_b32 s2, s25, 7
	s_cmp_eq_u32 s2, 0
	s_cbranch_scc1 .LBB13_30
.LBB13_28:
	s_lshl_b64 s[0:1], s[18:19], 2
	s_mul_i32 s3, s26, 0x50
	s_add_u32 s0, s16, s0
	v_add_u32_e32 v2, s3, v0
	v_mov_b32_e32 v3, 0
	s_addc_u32 s1, s17, s1
	v_lshl_add_u64 v[2:3], v[2:3], 2, s[0:1]
	s_lshl_b32 s0, s26, 3
	s_add_i32 s3, s0, 0
	s_mov_b32 s4, 0x3fb8aa3b
	s_mov_b32 s5, 0xc2ce8ed0
	;; [unrolled: 1-line block ×3, first 2 shown]
	v_mov_b32_e32 v4, 0x7f800000
	s_mov_b64 s[0:1], 0x140
.LBB13_29:                              ; =>This Inner Loop Header: Depth=1
	global_load_dword v5, v[2:3], off
	v_mov_b32_e32 v6, s3
	ds_read_b64 v[6:7], v6
	s_add_i32 s3, s3, 8
	s_add_i32 s2, s2, -1
	v_lshl_add_u64 v[2:3], v[2:3], 0, s[0:1]
	s_cmp_lg_u32 s2, 0
	s_waitcnt lgkmcnt(0)
	v_sub_f32_e32 v6, v6, v1
	v_mul_f32_e32 v10, 0x3fb8aa3b, v6
	v_fma_f32 v11, v6, s4, -v10
	v_rndne_f32_e32 v12, v10
	v_fmac_f32_e32 v11, 0x32a5705f, v6
	v_sub_f32_e32 v10, v10, v12
	v_add_f32_e32 v10, v10, v11
	v_cvt_i32_f32_e32 v12, v12
	v_exp_f32_e32 v10, v10
	v_cmp_ngt_f32_e32 vcc, s5, v6
	v_ldexp_f32 v10, v10, v12
	s_nop 0
	v_cndmask_b32_e32 v10, 0, v10, vcc
	v_cmp_nlt_f32_e32 vcc, s6, v6
	s_nop 1
	v_cndmask_b32_e32 v6, v4, v10, vcc
	v_fmac_f32_e32 v9, v6, v7
	s_waitcnt vmcnt(0)
	v_fmac_f32_e32 v8, v5, v6
	s_cbranch_scc1 .LBB13_29
.LBB13_30:
	s_waitcnt lgkmcnt(0)
	v_div_scale_f32 v1, s[0:1], v9, v9, v8
	v_rcp_f32_e32 v2, v1
	v_div_scale_f32 v3, vcc, v8, v9, v8
	v_fma_f32 v4, -v1, v2, 1.0
	v_fmac_f32_e32 v2, v4, v2
	v_mul_f32_e32 v4, v3, v2
	v_fma_f32 v5, -v1, v4, v3
	v_fmac_f32_e32 v4, v5, v2
	v_fma_f32 v1, -v1, v4, v3
	v_div_fmas_f32 v1, v1, v2, v4
	v_div_fixup_f32 v1, v1, v9, v8
.LBB13_31:
	s_mul_i32 s0, s24, 0x50
	s_ashr_i32 s1, s0, 31
	s_lshl_b64 s[0:1], s[0:1], 2
	s_add_u32 s0, s14, s0
	s_addc_u32 s1, s15, s1
	v_lshlrev_b32_e32 v0, 2, v0
	global_store_dword v0, v1, s[0:1]
	s_endpgm
	.section	.rodata,"a",@progbits
	.p2align	6, 0x0
	.amdhsa_kernel _ZL26flash_attn_combine_resultsILi80EEvPKfPK15HIP_vector_typeIfLj2EEPfi
		.amdhsa_group_segment_fixed_size 0
		.amdhsa_private_segment_fixed_size 0
		.amdhsa_kernarg_size 288
		.amdhsa_user_sgpr_count 2
		.amdhsa_user_sgpr_dispatch_ptr 0
		.amdhsa_user_sgpr_queue_ptr 0
		.amdhsa_user_sgpr_kernarg_segment_ptr 1
		.amdhsa_user_sgpr_dispatch_id 0
		.amdhsa_user_sgpr_kernarg_preload_length 0
		.amdhsa_user_sgpr_kernarg_preload_offset 0
		.amdhsa_user_sgpr_private_segment_size 0
		.amdhsa_uses_dynamic_stack 0
		.amdhsa_enable_private_segment 0
		.amdhsa_system_sgpr_workgroup_id_x 1
		.amdhsa_system_sgpr_workgroup_id_y 1
		.amdhsa_system_sgpr_workgroup_id_z 1
		.amdhsa_system_sgpr_workgroup_info 0
		.amdhsa_system_vgpr_workitem_id 0
		.amdhsa_next_free_vgpr 51
		.amdhsa_next_free_sgpr 32
		.amdhsa_accum_offset 52
		.amdhsa_reserve_vcc 1
		.amdhsa_float_round_mode_32 0
		.amdhsa_float_round_mode_16_64 0
		.amdhsa_float_denorm_mode_32 3
		.amdhsa_float_denorm_mode_16_64 3
		.amdhsa_dx10_clamp 1
		.amdhsa_ieee_mode 1
		.amdhsa_fp16_overflow 0
		.amdhsa_tg_split 0
		.amdhsa_exception_fp_ieee_invalid_op 0
		.amdhsa_exception_fp_denorm_src 0
		.amdhsa_exception_fp_ieee_div_zero 0
		.amdhsa_exception_fp_ieee_overflow 0
		.amdhsa_exception_fp_ieee_underflow 0
		.amdhsa_exception_fp_ieee_inexact 0
		.amdhsa_exception_int_div_zero 0
	.end_amdhsa_kernel
	.section	.text._ZL26flash_attn_combine_resultsILi80EEvPKfPK15HIP_vector_typeIfLj2EEPfi,"axG",@progbits,_ZL26flash_attn_combine_resultsILi80EEvPKfPK15HIP_vector_typeIfLj2EEPfi,comdat
.Lfunc_end13:
	.size	_ZL26flash_attn_combine_resultsILi80EEvPKfPK15HIP_vector_typeIfLj2EEPfi, .Lfunc_end13-_ZL26flash_attn_combine_resultsILi80EEvPKfPK15HIP_vector_typeIfLj2EEPfi
                                        ; -- End function
	.section	.AMDGPU.csdata,"",@progbits
; Kernel info:
; codeLenInByte = 2924
; NumSgprs: 38
; NumVgprs: 51
; NumAgprs: 0
; TotalNumVgprs: 51
; ScratchSize: 0
; MemoryBound: 0
; FloatMode: 240
; IeeeMode: 1
; LDSByteSize: 0 bytes/workgroup (compile time only)
; SGPRBlocks: 4
; VGPRBlocks: 6
; NumSGPRsForWavesPerEU: 38
; NumVGPRsForWavesPerEU: 51
; AccumOffset: 52
; Occupancy: 8
; WaveLimiterHint : 1
; COMPUTE_PGM_RSRC2:SCRATCH_EN: 0
; COMPUTE_PGM_RSRC2:USER_SGPR: 2
; COMPUTE_PGM_RSRC2:TRAP_HANDLER: 0
; COMPUTE_PGM_RSRC2:TGID_X_EN: 1
; COMPUTE_PGM_RSRC2:TGID_Y_EN: 1
; COMPUTE_PGM_RSRC2:TGID_Z_EN: 1
; COMPUTE_PGM_RSRC2:TIDIG_COMP_CNT: 0
; COMPUTE_PGM_RSRC3_GFX90A:ACCUM_OFFSET: 12
; COMPUTE_PGM_RSRC3_GFX90A:TG_SPLIT: 0
	.section	.text._ZL18flash_attn_ext_f16ILi96ELi96ELi32ELi1ELb0ELb0EEvPKcS1_S1_S1_S1_PKiPfP15HIP_vector_typeIfLj2EEffffjfiS5_IjLj3EEiiiiiiiiiiiliiliiiiil,"axG",@progbits,_ZL18flash_attn_ext_f16ILi96ELi96ELi32ELi1ELb0ELb0EEvPKcS1_S1_S1_S1_PKiPfP15HIP_vector_typeIfLj2EEffffjfiS5_IjLj3EEiiiiiiiiiiiliiliiiiil,comdat
	.globl	_ZL18flash_attn_ext_f16ILi96ELi96ELi32ELi1ELb0ELb0EEvPKcS1_S1_S1_S1_PKiPfP15HIP_vector_typeIfLj2EEffffjfiS5_IjLj3EEiiiiiiiiiiiliiliiiiil ; -- Begin function _ZL18flash_attn_ext_f16ILi96ELi96ELi32ELi1ELb0ELb0EEvPKcS1_S1_S1_S1_PKiPfP15HIP_vector_typeIfLj2EEffffjfiS5_IjLj3EEiiiiiiiiiiiliiliiiiil
	.p2align	8
	.type	_ZL18flash_attn_ext_f16ILi96ELi96ELi32ELi1ELb0ELb0EEvPKcS1_S1_S1_S1_PKiPfP15HIP_vector_typeIfLj2EEffffjfiS5_IjLj3EEiiiiiiiiiiiliiliiiiil,@function
_ZL18flash_attn_ext_f16ILi96ELi96ELi32ELi1ELb0ELb0EEvPKcS1_S1_S1_S1_PKiPfP15HIP_vector_typeIfLj2EEffffjfiS5_IjLj3EEiiiiiiiiiiiliiliiiiil: ; @_ZL18flash_attn_ext_f16ILi96ELi96ELi32ELi1ELb0ELb0EEvPKcS1_S1_S1_S1_PKiPfP15HIP_vector_typeIfLj2EEffffjfiS5_IjLj3EEiiiiiiiiiiiliiliiiiil
; %bb.0:
	s_load_dwordx2 s[10:11], s[0:1], 0x80
	s_load_dwordx4 s[72:75], s[0:1], 0x64
	s_mov_b32 s54, s2
                                        ; implicit-def: $vgpr238 : SGPR spill to VGPR lane
	s_load_dword s55, s[0:1], 0xd0
	s_mov_b32 s4, 0
	s_waitcnt lgkmcnt(0)
	s_abs_i32 s2, s11
	v_cvt_f32_u32_e32 v1, s2
	s_sub_i32 s6, 0, s2
	s_abs_i32 s5, s73
	s_xor_b32 s3, s73, s11
	v_rcp_iflag_f32_e32 v1, v1
	s_ashr_i32 s3, s3, 31
	v_cvt_f32_u32_e32 v2, s55
	v_cvt_f32_ubyte0_e32 v3, 0
	v_mul_f32_e32 v1, 0x4f7ffffe, v1
	v_cvt_u32_f32_e32 v1, v1
	s_nop 0
	v_readfirstlane_b32 s7, v1
	s_mul_i32 s6, s6, s7
	s_mul_hi_u32 s6, s7, s6
	s_add_i32 s7, s7, s6
	s_mul_hi_u32 s6, s5, s7
	s_mul_i32 s7, s6, s2
	s_sub_i32 s5, s5, s7
	s_add_i32 s8, s6, 1
	s_sub_i32 s7, s5, s2
	s_cmp_ge_u32 s5, s2
	s_cselect_b32 s6, s8, s6
	s_cselect_b32 s5, s7, s5
	s_add_i32 s7, s6, 1
	s_cmp_ge_u32 s5, s2
	s_cselect_b32 s2, s7, s6
	s_add_i32 s5, s10, 63
	s_xor_b32 s2, s2, s3
	s_ashr_i32 s6, s5, 31
	s_sub_i32 s3, s2, s3
	s_lshr_b32 s2, s6, 26
	s_add_i32 s5, s5, s2
	s_add_i32 s2, s72, 31
	s_lshr_b32 s2, s2, 5
	s_ashr_i32 s5, s5, 6
	v_writelane_b32 v238, s2, 0
	v_writelane_b32 v238, s5, 1
	s_mul_i32 s2, s2, s5
	v_writelane_b32 v238, s3, 2
	v_writelane_b32 v238, s2, 3
	s_mul_i32 s3, s2, s3
	s_mov_b32 s2, s10
	v_writelane_b32 v238, s2, 4
	s_nop 1
	v_writelane_b32 v238, s3, 5
	s_mul_i32 s2, s3, s11
	s_mul_i32 s6, s2, s74
	v_writelane_b32 v238, s3, 6
	s_ashr_i32 s7, s6, 31
	v_writelane_b32 v238, s2, 7
	s_mul_i32 s2, s7, s54
	s_mul_hi_u32 s3, s6, s54
	s_add_i32 s5, s3, s2
	s_mul_i32 s8, s6, s54
	s_cmp_lg_u64 s[4:5], 0
	s_cbranch_scc0 .LBB14_2
; %bb.1:
	v_fmamk_f32 v1, v3, 0x4f800000, v2
	v_rcp_f32_e32 v1, v1
	s_sub_u32 s4, 0, s55
	s_subb_u32 s9, 0, 0
	s_mov_b64 s[2:3], 0
	v_mul_f32_e32 v1, 0x5f7ffffc, v1
	v_mul_f32_e32 v4, 0x2f800000, v1
	v_trunc_f32_e32 v4, v4
	v_fmamk_f32 v1, v4, 0xcf800000, v1
	v_cvt_u32_f32_e32 v4, v4
	v_cvt_u32_f32_e32 v1, v1
	v_readfirstlane_b32 s10, v4
	v_readfirstlane_b32 s11, v1
	s_mul_hi_u32 s13, s4, s11
	s_mul_i32 s14, s4, s10
	s_mul_i32 s12, s9, s11
	s_add_i32 s13, s13, s14
	s_add_i32 s13, s13, s12
	s_mul_i32 s15, s4, s11
	s_mul_hi_u32 s12, s11, s13
	s_mul_i32 s14, s11, s13
	s_mul_hi_u32 s11, s11, s15
	s_add_u32 s11, s11, s14
	s_addc_u32 s12, 0, s12
	s_mul_hi_u32 s16, s10, s15
	s_mul_i32 s15, s10, s15
	s_add_u32 s11, s11, s15
	s_mul_hi_u32 s14, s10, s13
	s_addc_u32 s11, s12, s16
	s_addc_u32 s12, s14, 0
	s_mul_i32 s13, s10, s13
	s_add_u32 s11, s11, s13
	s_addc_u32 s12, 0, s12
	v_add_co_u32_e32 v1, vcc, s11, v1
	s_cmp_lg_u64 vcc, 0
	s_addc_u32 s10, s10, s12
	v_readfirstlane_b32 s12, v1
	s_mul_i32 s11, s4, s10
	s_mul_hi_u32 s13, s4, s12
	s_add_i32 s11, s13, s11
	s_mul_i32 s9, s9, s12
	s_add_i32 s11, s11, s9
	s_mul_i32 s4, s4, s12
	s_mul_hi_u32 s13, s10, s4
	s_mul_i32 s14, s10, s4
	s_mul_i32 s16, s12, s11
	s_mul_hi_u32 s4, s12, s4
	s_mul_hi_u32 s15, s12, s11
	s_add_u32 s4, s4, s16
	s_addc_u32 s12, 0, s15
	s_add_u32 s4, s4, s14
	s_mul_hi_u32 s9, s10, s11
	s_addc_u32 s4, s12, s13
	s_addc_u32 s9, s9, 0
	s_mul_i32 s11, s10, s11
	s_add_u32 s4, s4, s11
	s_addc_u32 s9, 0, s9
	v_add_co_u32_e32 v1, vcc, s4, v1
	s_cmp_lg_u64 vcc, 0
	s_addc_u32 s9, s10, s9
	s_ashr_i32 s10, s5, 31
	s_add_u32 s4, s8, s10
	s_mov_b32 s11, s10
	s_addc_u32 s5, s5, s10
	s_xor_b64 s[4:5], s[4:5], s[10:11]
	v_readfirstlane_b32 s14, v1
	s_mul_i32 s13, s4, s9
	s_mul_hi_u32 s15, s4, s14
	s_mul_hi_u32 s12, s4, s9
	s_add_u32 s13, s15, s13
	s_addc_u32 s12, 0, s12
	s_mul_hi_u32 s16, s5, s14
	s_mul_i32 s14, s5, s14
	s_add_u32 s13, s13, s14
	s_mul_hi_u32 s15, s5, s9
	s_addc_u32 s12, s12, s16
	s_addc_u32 s13, s15, 0
	s_mul_i32 s9, s5, s9
	s_add_u32 s9, s12, s9
	s_addc_u32 s12, 0, s13
	s_add_u32 s13, s9, 1
	s_addc_u32 s14, s12, 0
	s_add_u32 s15, s9, 2
	s_mul_i32 s17, s55, s12
	s_mul_hi_u32 s18, s55, s9
	s_addc_u32 s16, s12, 0
	s_add_i32 s18, s18, s17
	s_mul_i32 s17, s55, s9
	v_mov_b32_e32 v1, s17
	v_sub_co_u32_e32 v1, vcc, s4, v1
	s_cmp_lg_u64 vcc, 0
	s_subb_u32 s4, s5, s18
	v_subrev_co_u32_e32 v4, vcc, s55, v1
	s_cmp_lg_u64 vcc, 0
	s_subb_u32 s5, s4, 0
	v_readfirstlane_b32 s17, v4
	s_cmp_ge_u32 s17, s55
	s_cselect_b32 s17, -1, 0
	s_cmp_eq_u32 s5, 0
	s_cselect_b32 s5, s17, -1
	s_cmp_lg_u32 s5, 0
	s_cselect_b32 s5, s16, s14
	v_readfirstlane_b32 s14, v1
	s_cselect_b32 s13, s15, s13
	s_cmp_ge_u32 s14, s55
	s_cselect_b32 s14, -1, 0
	s_cmp_eq_u32 s4, 0
	s_cselect_b32 s4, s14, -1
	s_cmp_lg_u32 s4, 0
	s_cselect_b32 s5, s5, s12
	s_cselect_b32 s4, s13, s9
	s_xor_b64 s[4:5], s[4:5], s[10:11]
	s_sub_u32 s98, s4, s10
	s_branch .LBB14_3
.LBB14_2:
	s_mov_b64 s[2:3], -1
                                        ; implicit-def: $sgpr98_sgpr99
.LBB14_3:
	s_load_dwordx2 s[4:5], s[0:1], 0x74
	v_cvt_f32_u32_e32 v1, s55
	s_andn2_b64 vcc, exec, s[2:3]
	s_waitcnt lgkmcnt(0)
	v_writelane_b32 v238, s4, 8
	s_nop 1
	v_writelane_b32 v238, s5, 9
	s_cbranch_vccnz .LBB14_5
; %bb.4:
	v_rcp_iflag_f32_e32 v4, v1
	s_sub_i32 s2, 0, s55
	v_mul_f32_e32 v4, 0x4f7ffffe, v4
	v_cvt_u32_f32_e32 v4, v4
	s_nop 0
	v_readfirstlane_b32 s3, v4
	s_mul_i32 s2, s2, s3
	s_mul_hi_u32 s2, s3, s2
	s_add_i32 s3, s3, s2
	s_mul_hi_u32 s2, s8, s3
	s_mul_i32 s4, s2, s55
	s_sub_i32 s4, s8, s4
	s_add_i32 s3, s2, 1
	s_sub_i32 s5, s4, s55
	s_cmp_ge_u32 s4, s55
	s_cselect_b32 s2, s3, s2
	s_cselect_b32 s4, s5, s4
	s_add_i32 s3, s2, 1
	s_cmp_ge_u32 s4, s55
	s_cselect_b32 s98, s3, s2
.LBB14_5:
	s_add_i32 s4, s54, 1
	s_mul_i32 s2, s7, s4
	s_mul_hi_u32 s3, s6, s4
	s_add_i32 s3, s3, s2
	s_mov_b32 s2, 0
	s_cmp_lg_u64 s[2:3], 0
	s_mul_i32 s2, s6, s4
	s_cbranch_scc0 .LBB14_296
; %bb.6:
	v_fmamk_f32 v2, v3, 0x4f800000, v2
	v_rcp_f32_e32 v2, v2
	s_sub_u32 s6, 0, s55
	s_subb_u32 s7, 0, 0
	v_mul_f32_e32 v2, 0x5f7ffffc, v2
	v_mul_f32_e32 v3, 0x2f800000, v2
	v_trunc_f32_e32 v3, v3
	v_fmamk_f32 v2, v3, 0xcf800000, v2
	v_cvt_u32_f32_e32 v3, v3
	v_cvt_u32_f32_e32 v2, v2
	v_readfirstlane_b32 s8, v3
	v_readfirstlane_b32 s9, v2
	s_mul_hi_u32 s11, s6, s9
	s_mul_i32 s12, s6, s8
	s_mul_i32 s10, s7, s9
	s_add_i32 s11, s11, s12
	s_add_i32 s11, s11, s10
	s_mul_i32 s13, s6, s9
	s_mul_hi_u32 s10, s9, s11
	s_mul_i32 s12, s9, s11
	s_mul_hi_u32 s9, s9, s13
	s_add_u32 s9, s9, s12
	s_addc_u32 s10, 0, s10
	s_mul_hi_u32 s14, s8, s13
	s_mul_i32 s13, s8, s13
	s_add_u32 s9, s9, s13
	s_mul_hi_u32 s12, s8, s11
	s_addc_u32 s9, s10, s14
	s_addc_u32 s10, s12, 0
	s_mul_i32 s11, s8, s11
	s_add_u32 s9, s9, s11
	s_addc_u32 s10, 0, s10
	v_add_co_u32_e32 v2, vcc, s9, v2
	s_cmp_lg_u64 vcc, 0
	s_addc_u32 s8, s8, s10
	v_readfirstlane_b32 s10, v2
	s_mul_i32 s9, s6, s8
	s_mul_hi_u32 s11, s6, s10
	s_add_i32 s9, s11, s9
	s_mul_i32 s7, s7, s10
	s_add_i32 s9, s9, s7
	s_mul_i32 s6, s6, s10
	s_mul_hi_u32 s11, s8, s6
	s_mul_i32 s12, s8, s6
	s_mul_i32 s14, s10, s9
	s_mul_hi_u32 s6, s10, s6
	s_mul_hi_u32 s13, s10, s9
	s_add_u32 s6, s6, s14
	s_addc_u32 s10, 0, s13
	s_add_u32 s6, s6, s12
	s_mul_hi_u32 s7, s8, s9
	s_addc_u32 s6, s10, s11
	s_addc_u32 s7, s7, 0
	s_mul_i32 s9, s8, s9
	s_add_u32 s6, s6, s9
	s_addc_u32 s7, 0, s7
	v_add_co_u32_e32 v2, vcc, s6, v2
	s_cmp_lg_u64 vcc, 0
	s_addc_u32 s10, s8, s7
	s_ashr_i32 s6, s3, 31
	s_add_u32 s8, s2, s6
	s_mov_b32 s7, s6
	s_addc_u32 s9, s3, s6
	s_xor_b64 s[8:9], s[8:9], s[6:7]
	v_readfirstlane_b32 s12, v2
	s_mul_i32 s11, s8, s10
	s_mul_hi_u32 s13, s8, s12
	s_mul_hi_u32 s3, s8, s10
	s_add_u32 s11, s13, s11
	s_addc_u32 s3, 0, s3
	s_mul_hi_u32 s14, s9, s12
	s_mul_i32 s12, s9, s12
	s_add_u32 s11, s11, s12
	s_mul_hi_u32 s13, s9, s10
	s_addc_u32 s3, s3, s14
	s_addc_u32 s11, s13, 0
	s_mul_i32 s10, s9, s10
	s_add_u32 s3, s3, s10
	s_addc_u32 s10, 0, s11
	s_add_u32 s11, s3, 1
	s_addc_u32 s12, s10, 0
	s_add_u32 s13, s3, 2
	s_mul_i32 s15, s55, s10
	s_mul_hi_u32 s16, s55, s3
	s_addc_u32 s14, s10, 0
	s_add_i32 s16, s16, s15
	s_mul_i32 s15, s55, s3
	v_mov_b32_e32 v2, s15
	v_sub_co_u32_e32 v2, vcc, s8, v2
	s_cmp_lg_u64 vcc, 0
	s_subb_u32 s8, s9, s16
	v_subrev_co_u32_e32 v3, vcc, s55, v2
	s_cmp_lg_u64 vcc, 0
	s_subb_u32 s9, s8, 0
	v_readfirstlane_b32 s15, v3
	s_cmp_ge_u32 s15, s55
	s_cselect_b32 s15, -1, 0
	s_cmp_eq_u32 s9, 0
	s_cselect_b32 s9, s15, -1
	s_cmp_lg_u32 s9, 0
	s_cselect_b32 s9, s14, s12
	v_readfirstlane_b32 s12, v2
	s_cselect_b32 s11, s13, s11
	s_cmp_ge_u32 s12, s55
	s_cselect_b32 s12, -1, 0
	s_cmp_eq_u32 s8, 0
	s_cselect_b32 s8, s12, -1
	s_cmp_lg_u32 s8, 0
	s_cselect_b32 s9, s9, s10
	s_cselect_b32 s8, s11, s3
	s_xor_b64 s[8:9], s[8:9], s[6:7]
	s_sub_u32 s6, s8, s6
	v_writelane_b32 v238, s6, 10
	s_nop 1
	v_writelane_b32 v238, s7, 11
	s_load_dwordx2 s[88:89], s[0:1], 0x5c
	s_cbranch_execnz .LBB14_8
.LBB14_7:
	v_rcp_iflag_f32_e32 v1, v1
	s_sub_i32 s3, 0, s55
	v_mul_f32_e32 v1, 0x4f7ffffe, v1
	v_cvt_u32_f32_e32 v1, v1
	s_nop 0
	v_readfirstlane_b32 s4, v1
	s_mul_i32 s3, s3, s4
	s_mul_hi_u32 s3, s4, s3
	s_add_i32 s4, s4, s3
	s_mul_hi_u32 s3, s2, s4
	s_mul_i32 s5, s3, s55
	s_sub_i32 s2, s2, s5
	s_add_i32 s4, s3, 1
	s_sub_i32 s5, s2, s55
	s_cmp_ge_u32 s2, s55
	s_cselect_b32 s3, s4, s3
	s_cselect_b32 s2, s5, s2
	s_add_i32 s4, s3, 1
	s_cmp_ge_u32 s2, s55
	s_cselect_b32 s2, s4, s3
	v_writelane_b32 v238, s2, 10
	s_nop 1
	v_writelane_b32 v238, s3, 11
.LBB14_8:
	s_load_dwordx16 s[56:71], s[0:1], 0x0
	s_load_dwordx4 s[20:23], s[0:1], 0x40
	s_load_dword s2, s[0:1], 0x50
	s_ashr_i32 s46, s75, 3
	v_bfe_u32 v101, v0, 10, 10
	s_mov_b32 s81, 0
	v_lshlrev_b32_e32 v100, 1, v101
	s_waitcnt lgkmcnt(0)
	v_writelane_b32 v238, s2, 12
	s_load_dwordx2 s[2:3], s[0:1], 0x8c
	s_load_dwordx4 s[4:7], s[0:1], 0x98
	s_load_dwordx2 s[8:9], s[0:1], 0xa8
	s_load_dwordx2 s[16:17], s[0:1], 0xb8
	s_nop 0
	s_load_dwordx2 s[0:1], s[0:1], 0xc8
	v_lshlrev_b32_e32 v103, 3, v101
	s_waitcnt lgkmcnt(0)
	s_ashr_i32 s86, s2, 2
	s_ashr_i32 s74, s6, 2
	v_writelane_b32 v238, s8, 13
	s_ashr_i32 s76, s17, 1
	v_lshlrev_b32_e32 v102, 4, v101
	v_writelane_b32 v238, s9, 14
	v_writelane_b32 v238, s0, 15
	v_and_b32_e32 v104, 1, v101
	s_nop 0
	v_writelane_b32 v238, s1, 16
	s_mov_b32 s1, s3
	v_readlane_b32 s8, v238, 1
	s_abs_i32 s33, s8
	v_cvt_f32_u32_e32 v1, s33
	v_writelane_b32 v238, s0, 17
	s_mov_b32 s3, s7
	v_rcp_iflag_f32_e32 v1, v1
	v_writelane_b32 v238, s1, 18
	s_mov_b64 s[0:1], s[4:5]
	v_writelane_b32 v238, s0, 19
	v_mul_f32_e32 v1, 0x4f7ffffe, v1
	v_cvt_u32_f32_e32 v1, v1
	v_writelane_b32 v238, s1, 20
	v_writelane_b32 v238, s2, 21
	v_writelane_b32 v238, s3, 22
	s_sub_i32 s2, 0, s33
	v_readfirstlane_b32 s3, v1
	s_mul_i32 s2, s2, s3
	s_ashr_i32 s1, s8, 31
	s_mul_hi_u32 s2, s3, s2
	v_writelane_b32 v238, s1, 23
	s_abs_i32 s1, s98
	s_add_i32 s41, s3, s2
	s_mul_hi_u32 s2, s1, s41
	s_mul_i32 s2, s2, s33
	s_sub_i32 s1, s1, s2
	s_ashr_i32 s0, s98, 31
	s_sub_i32 s2, s1, s33
	s_cmp_ge_u32 s1, s33
	s_cselect_b32 s1, s2, s1
	s_sub_i32 s2, s1, s33
	s_cmp_ge_u32 s1, s33
	s_cselect_b32 s1, s2, s1
	s_xor_b32 s1, s1, s0
	s_sub_i32 s42, s1, s0
	v_readlane_b32 s0, v238, 10
	s_mov_b32 s4, s0
	s_sub_i32 s0, s0, s98
	s_add_i32 s2, s0, s42
	s_min_i32 s25, s8, s2
	s_cmp_gt_i32 s4, s98
	v_readlane_b32 s1, v238, 11
	s_cselect_b64 s[26:27], -1, 0
	s_cmp_le_i32 s4, s98
	v_cvt_f16_f32_e32 v1, s20
	s_cselect_b64 s[0:1], -1, 0
	s_cmp_gt_i32 s8, s2
	s_cselect_b64 s[2:3], -1, 0
	s_or_b64 s[0:1], s[2:3], s[0:1]
	s_and_b64 vcc, exec, s[0:1]
	v_pack_b32_f16 v31, v1, v1
	s_cbranch_vccz .LBB14_11
; %bb.9:
	s_andn2_b64 vcc, exec, s[26:27]
	s_cbranch_vccz .LBB14_254
.LBB14_10:
	s_endpgm
.LBB14_11:
	s_cmp_lg_u64 s[62:63], 0
	v_writelane_b32 v238, s55, 24
	s_cselect_b64 s[0:1], -1, 0
	v_and_b32_e32 v26, 0x3ff, v0
	v_writelane_b32 v238, s0, 25
	s_cmp_eq_u64 s[64:65], 0
	v_lshrrev_b32_e32 v4, 3, v26
	v_writelane_b32 v238, s1, 26
	s_cselect_b64 s[0:1], -1, 0
	v_and_b32_e32 v28, 15, v26
	v_and_b32_e32 v5, 30, v4
	v_writelane_b32 v238, s0, 27
	s_cmp_lg_u64 s[66:67], 0
	v_mul_u32_u24_e32 v3, 0xd0, v28
	v_lshlrev_b32_e32 v6, 2, v5
	v_writelane_b32 v238, s1, 28
	s_cselect_b64 s[0:1], -1, 0
	v_add3_u32 v27, 0, v3, v6
	v_lshrrev_b32_e32 v3, 2, v26
	v_lshlrev_b32_e32 v7, 2, v26
	v_writelane_b32 v238, s0, 29
	s_movk_i32 s2, 0xd0
	v_add_u32_e32 v33, v102, v3
	v_and_b32_e32 v30, 12, v7
	v_writelane_b32 v238, s1, 30
	v_mad_u32_u24 v6, v33, s2, 0
	v_lshlrev_b32_e32 v8, 2, v30
	s_movk_i32 s0, 0x80
	v_add_u32_e32 v105, v103, v4
	v_and_b32_e32 v32, 28, v7
	v_add3_u32 v49, v6, v8, s0
	v_mul_u32_u24_e32 v4, 0xd0, v105
	v_lshlrev_b32_e32 v6, 2, v32
	v_add3_u32 v106, 0, v4, v6
	v_and_b32_e32 v4, 60, v3
	v_and_b32_e32 v6, 8, v103
	v_mul_u32_u24_e32 v7, 0x68, v4
	s_movk_i32 s1, 0x1a0
	v_or_b32_e32 v7, v7, v28
	v_mul_u32_u24_e32 v8, 0xd0, v4
	v_or_b32_e32 v3, 3, v3
	v_mul_u32_u24_e32 v9, 0x1a0, v6
	v_mad_u32_u24 v10, v6, s1, 0
	v_lshlrev_b32_e32 v11, 1, v28
	v_mul_u32_u24_e32 v3, 0xd0, v3
	v_lshlrev_b32_e32 v7, 1, v7
	v_add3_u32 v108, v10, v8, v11
	v_add3_u32 v8, 0, 32, v9
	v_add_u32_e32 v107, v10, v7
	v_add3_u32 v109, v10, v3, v11
	v_add_u32_e32 v110, v8, v7
	v_mad_u32_u24 v10, v4, s2, v8
	v_add3_u32 v112, v8, v3, v11
	v_add3_u32 v8, 0, 64, v9
	s_add_i32 s3, 0, 0x60
	v_add_u32_e32 v113, v8, v7
	v_mad_u32_u24 v9, v4, s2, v8
	v_add3_u32 v115, v8, v3, v11
	v_mov_b32_e32 v8, s3
	s_movk_i32 s0, 0x1a00
	v_mad_u32_u24 v8, v6, s1, v8
	s_add_i32 s3, 0, 0x80
	v_add3_u32 v114, v9, v11, s0
	v_add_u32_e32 v116, v8, v7
	v_mad_u32_u24 v9, v4, s2, v8
	v_add3_u32 v118, v8, v3, v11
	v_mov_b32_e32 v8, s3
	v_mad_u32_u24 v8, v6, s1, v8
	s_add_i32 s3, 0, 0xa0
	v_add3_u32 v117, v9, v11, s0
	v_add_u32_e32 v119, v8, v7
	v_mad_u32_u24 v9, v4, s2, v8
	v_add3_u32 v121, v8, v3, v11
	v_mov_b32_e32 v8, s3
	v_lshrrev_b32_e32 v1, 5, v26
	v_mad_u32_u24 v6, v6, s1, v8
	v_add_u32_e32 v122, v6, v7
	v_mad_u32_u24 v7, v4, s2, v6
	v_add3_u32 v124, v6, v3, v11
	v_or_b32_e32 v3, v102, v28
	v_add_u32_e32 v125, v1, v101
	v_add3_u32 v111, v10, v11, s0
	v_add3_u32 v120, v9, v11, s0
	;; [unrolled: 1-line block ×3, first 2 shown]
	v_mad_u32_u24 v3, v3, 52, v5
	v_lshlrev_b32_e32 v5, 1, v125
	v_and_b32_e32 v6, 15, v125
	s_movk_i32 s0, 0x3e0
	v_add_u32_e32 v127, 4, v125
	v_and_or_b32 v7, v5, s0, v6
	v_lshlrev_b32_e32 v5, 1, v127
	v_and_b32_e32 v8, 15, v127
	s_movk_i32 s0, 0x7e0
	v_add_u32_e32 v128, 8, v125
	v_and_or_b32 v8, v5, s0, v8
	v_lshlrev_b32_e32 v5, 1, v128
	v_and_b32_e32 v9, 15, v128
	v_add_u32_e32 v129, 12, v125
	v_and_or_b32 v9, v5, s0, v9
	v_lshlrev_b32_e32 v5, 1, v129
	v_and_b32_e32 v10, 15, v129
	v_add_u32_e32 v130, 16, v125
	v_and_or_b32 v10, v5, s0, v10
	v_lshlrev_b32_e32 v5, 1, v130
	v_add_u32_e32 v131, 20, v125
	v_lshrrev_b32_e32 v2, 4, v26
	v_and_or_b32 v6, v5, s0, v6
	v_lshlrev_b32_e32 v5, 1, v131
	v_and_b32_e32 v11, 15, v131
	v_add_u32_e32 v132, 24, v125
	v_add_u32_e32 v126, v2, v100
	v_and_or_b32 v11, v5, s0, v11
	v_lshlrev_b32_e32 v5, 1, v132
	v_and_b32_e32 v12, 15, v132
	v_add_u32_e32 v133, 28, v125
	v_and_or_b32 v12, v5, s0, v12
	v_lshlrev_b32_e32 v5, 1, v133
	v_and_b32_e32 v13, 15, v133
	v_add_u32_e32 v134, 8, v126
	v_and_or_b32 v13, v5, s0, v13
	v_lshlrev_b32_e32 v5, 1, v134
	s_movk_i32 s3, 0xfe0
	v_and_b32_e32 v14, 15, v134
	v_and_or_b32 v14, v5, s3, v14
	v_lshlrev_b32_e32 v5, 1, v126
	v_and_b32_e32 v15, 15, v126
	s_lshl_b32 s80, s54, 5
	v_and_or_b32 v16, v5, s0, v15
	s_ashr_i32 s77, s76, 31
	s_ashr_i32 s87, s86, 31
	;; [unrolled: 1-line block ×3, first 2 shown]
	v_writelane_b32 v238, s54, 31
	s_lshl_b64 s[0:1], s[80:81], 3
	v_add_u32_e32 v135, 16, v126
	s_add_u32 s14, s70, s0
	v_readlane_b32 s20, v238, 7
	v_lshlrev_b32_e32 v5, 1, v135
	s_addc_u32 s15, s71, s1
	s_abs_i32 s24, s20
	v_and_or_b32 v15, v5, s3, v15
	v_cvt_f32_u32_e32 v5, s24
	v_readlane_b32 s19, v238, 6
	s_abs_i32 s26, s19
	v_cvt_f32_u32_e32 v19, s26
	v_rcp_iflag_f32_e32 v5, v5
	s_mov_b32 s0, s16
	v_add_u32_e32 v136, 24, v126
	v_readlane_b32 s18, v238, 3
	v_writelane_b32 v238, s0, 32
	v_lshlrev_b32_e32 v17, 1, v136
	v_and_b32_e32 v18, 15, v136
	v_mul_f32_e32 v5, 0x4f7ffffe, v5
	s_abs_i32 s27, s18
	v_writelane_b32 v238, s1, 33
	s_abs_i32 s0, s16
	v_and_or_b32 v17, v17, s3, v18
	v_cvt_u32_f32_e32 v5, v5
	v_rcp_iflag_f32_e32 v18, v19
	v_cvt_f32_u32_e32 v19, s27
	v_cvt_f32_u32_e32 v20, s0
	v_readfirstlane_b32 s3, v5
	v_writelane_b32 v238, s0, 34
	v_rcp_iflag_f32_e32 v5, v19
	v_rcp_iflag_f32_e32 v19, v20
	s_sub_i32 s0, 0, s0
	s_mov_b64 s[6:7], s[22:23]
	v_mul_f32_e32 v5, 0x4f7ffffe, v5
	v_mul_f32_e32 v19, 0x4f7ffffe, v19
	v_cvt_u32_f32_e32 v5, v5
	v_cvt_u32_f32_e32 v19, v19
	s_mov_b32 s5, s21
	v_add_u32_e32 v138, v1, v100
	v_readfirstlane_b32 s17, v5
	v_mul_lo_u32 v5, s0, v19
	s_mul_i32 s0, s72, s73
	v_writelane_b32 v238, s0, 35
	v_writelane_b32 v238, s4, 36
	v_mul_u32_u24_e32 v1, 0x90, v101
	v_lshlrev_b32_e32 v34, 1, v26
	v_writelane_b32 v238, s5, 37
	v_writelane_b32 v238, s6, 38
	;; [unrolled: 1-line block ×3, first 2 shown]
	v_cmp_nle_f32_e64 s[0:1], s21, 0
	v_add3_u32 v140, 0, v1, v34
	v_and_b32_e32 v1, 16, v102
	v_writelane_b32 v238, s0, 40
	v_lshl_add_u32 v139, v101, 2, v2
	v_add_u32_e32 v141, v1, v4
	v_add_u16_e32 v2, v1, v4
	v_mul_u32_u24_e32 v142, 0xd0, v1
	v_and_b32_e32 v1, 0x7f0, v103
	v_writelane_b32 v238, s1, 41
	v_mad_u32_u24 v143, v1, s2, v27
	s_mul_i32 s2, s73, 48
	v_writelane_b32 v238, s2, 42
	s_ashr_i32 s2, s20, 31
	v_mul_f32_e32 v18, 0x4f7ffffe, v18
	v_writelane_b32 v238, s2, 43
	s_sub_i32 s2, 0, s24
	v_cvt_u32_f32_e32 v18, v18
	s_mul_i32 s2, s2, s3
	s_movk_i32 s8, 0x90
	v_or_b32_e32 v1, v1, v28
	s_mul_hi_u32 s2, s3, s2
	v_mad_u32_u24 v1, v1, s8, 0
	v_lshrrev_b16_e32 v2, 1, v2
	v_add_u32_e32 v145, 32, v141
	v_add_u32_e32 v147, 34, v141
	v_writelane_b32 v238, s24, 44
	s_add_i32 s2, s3, s2
	v_lshl_add_u32 v144, v2, 2, v1
	v_lshl_add_u32 v146, v145, 1, v1
	;; [unrolled: 1-line block ×3, first 2 shown]
	v_add_u32_e32 v1, v102, v26
	v_and_b32_e32 v48, 31, v26
	v_writelane_b32 v238, s2, 45
	s_ashr_i32 s2, s19, 31
	v_readfirstlane_b32 s16, v18
	v_mul_u32_u24_e32 v149, 0xd0, v1
	v_add_u32_e32 v1, v102, v48
	v_writelane_b32 v238, s2, 46
	s_sub_i32 s2, 0, s26
	v_mul_u32_u24_e32 v150, 0xd0, v1
	v_or_b32_e32 v1, v103, v26
	s_mul_i32 s2, s2, s16
	v_lshlrev_b32_e32 v4, 3, v1
	v_mad_u32_u24 v1, v138, 52, v48
	s_mul_hi_u32 s2, s16, s2
	v_lshl_add_u32 v152, v1, 2, 0
	v_mad_u32_u24 v1, v139, 52, v28
	v_writelane_b32 v238, s26, 47
	s_add_i32 s2, s16, s2
	v_lshl_add_u32 v153, v1, 2, 0
	v_mad_u32_u24 v1, v7, 52, v48
	v_writelane_b32 v238, s2, 48
	s_ashr_i32 s2, s18, 31
	v_lshl_add_u32 v155, v1, 2, 0
	v_mad_u32_u24 v1, v8, 52, v48
	v_writelane_b32 v238, s2, 49
	s_sub_i32 s2, 0, s27
	v_lshl_add_u32 v157, v1, 2, 0
	v_mad_u32_u24 v1, v9, 52, v48
	s_mul_i32 s2, s2, s17
	v_lshl_add_u32 v159, v1, 2, 0
	v_mad_u32_u24 v1, v10, 52, v48
	s_mul_hi_u32 s2, s17, s2
	v_lshl_add_u32 v161, v1, 2, 0
	v_mad_u32_u24 v1, v6, 52, v48
	v_writelane_b32 v238, s27, 50
	s_add_i32 s2, s17, s2
	v_lshl_add_u32 v163, v1, 2, 0
	v_mad_u32_u24 v1, v11, 52, v48
	v_writelane_b32 v238, s2, 51
	v_cmp_eq_u32_e64 s[2:3], 0, v104
	v_lshl_add_u32 v165, v1, 2, 0
	v_mad_u32_u24 v1, v12, 52, v48
	v_writelane_b32 v238, s2, 52
	v_lshl_add_u32 v167, v1, 2, 0
	v_mad_u32_u24 v1, v13, 52, v48
	v_writelane_b32 v238, s3, 53
	v_cmp_eq_u32_e64 s[2:3], 1, v104
	v_lshl_add_u32 v169, v1, 2, 0
	v_mad_u32_u24 v1, v16, 52, v28
	v_writelane_b32 v238, s2, 54
	v_lshl_add_u32 v171, v1, 2, 0
	v_mad_u32_u24 v1, v14, 52, v28
	v_writelane_b32 v238, s3, 55
	v_cmp_gt_u32_e64 s[2:3], 16, v26
	v_lshl_add_u32 v173, v1, 2, 0
	v_mad_u32_u24 v1, v15, 52, v28
	v_writelane_b32 v238, s2, 56
	v_mul_hi_u32 v5, v19, v5
	v_mov_b32_e32 v2, 0
	v_lshl_add_u32 v175, v1, 2, 0
	v_mad_u32_u24 v1, v17, 52, v28
	v_writelane_b32 v238, s3, 57
	v_cmp_gt_u32_e64 s[2:3], 32, v26
	v_add_u32_e32 v137, v19, v5
	v_mul_lo_u32 v36, s86, v33
	v_mul_lo_u32 v42, s74, v33
	v_mov_b32_e32 v5, v2
	v_lshl_add_u32 v177, v1, 2, 0
	v_and_b32_e32 v1, 3, v26
	s_mov_b64 s[26:27], s[76:77]
	v_writelane_b32 v238, s2, 58
	v_ashrrev_i32_e32 v37, 31, v36
	v_mul_lo_u32 v38, s86, v105
	v_ashrrev_i32_e32 v43, 31, v42
	v_mul_lo_u32 v44, s74, v105
	v_lshl_add_u64 v[50:51], s[14:15], 0, v[4:5]
	v_lshlrev_b32_e32 v4, 4, v1
	v_and_b32_e32 v1, 7, v26
	v_writelane_b32 v238, s3, 59
	s_mov_b32 s2, s26
	v_lshl_add_u32 v40, s86, 5, v38
	v_lshl_add_u32 v46, s74, 5, v44
	v_mul_u32_u24_e32 v154, 0xd0, v7
	v_mul_u32_u24_e32 v162, 0xd0, v6
	v_lshl_add_u64 v[6:7], v[42:43], 2, v[4:5]
	v_lshlrev_b32_e32 v54, 4, v1
	v_lshl_add_u64 v[4:5], v[36:37], 2, v[4:5]
                                        ; implicit-def: $vgpr1
	v_writelane_b32 v238, s2, 60
	s_mov_b64 s[82:83], src_private_base
	v_ashrrev_i32_e32 v39, 31, v38
	v_ashrrev_i32_e32 v41, 31, v40
	v_ashrrev_i32_e32 v45, 31, v44
	v_ashrrev_i32_e32 v47, 31, v46
	v_lshl_add_u64 v[6:7], v[6:7], 0, s[60:61]
	s_mov_b64 s[84:85], 0x80
	v_lshl_add_u64 v[4:5], v[4:5], 0, s[58:59]
	v_mbcnt_lo_u32_b32 v1, -1, 0
	v_writelane_b32 v238, s3, 61
	s_lshl_b64 s[2:3], s[26:27], 1
                                        ; implicit-def: $vgpr237 : SGPR spill to VGPR lane
	v_cmp_lt_u32_e64 s[0:1], 63, v26
	s_mov_b32 s82, 0
	v_cmp_gt_u32_e64 s[52:53], 64, v33
	v_cmp_gt_u32_e64 s[4:5], 64, v105
	;; [unrolled: 1-line block ×6, first 2 shown]
	v_lshl_add_u32 v151, v3, 2, 0
	v_mul_u32_u24_e32 v156, 0xd0, v8
	v_mul_u32_u24_e32 v158, 0xd0, v9
	;; [unrolled: 1-line block ×10, first 2 shown]
	v_mov_b32_e32 v29, v2
	v_lshl_add_u64 v[52:53], v[6:7], 0, s[84:85]
	v_mov_b32_e32 v55, v2
	v_lshl_add_u64 v[56:57], v[4:5], 0, s[84:85]
	v_mov_b32_e32 v35, v2
	s_mov_b32 s73, 0x42b17218
	s_mov_b32 s76, 0x3fb8aa3b
	;; [unrolled: 1-line block ×5, first 2 shown]
	v_mbcnt_hi_u32_b32 v178, -1, v1
	v_add_u32_e32 v179, 4, v101
	v_add_u32_e32 v180, 0x240, v140
	;; [unrolled: 1-line block ×22, first 2 shown]
	v_or_b32_e32 v201, 1, v141
	v_or_b32_e32 v202, 2, v141
	v_or_b32_e32 v203, 3, v141
	v_add_u32_e32 v204, 33, v141
	v_add_u32_e32 v205, 35, v141
	;; [unrolled: 1-line block ×6, first 2 shown]
	v_mov_b32_e32 v210, 0x3e91f4c4
	v_mov_b32_e32 v211, 0x37000000
	;; [unrolled: 1-line block ×4, first 2 shown]
	v_lshl_add_u64 v[58:59], v[44:45], 2, s[60:61]
	v_lshl_add_u64 v[60:61], v[46:47], 2, s[60:61]
	v_lshl_add_u64 v[62:63], v[38:39], 2, s[58:59]
	v_lshl_add_u64 v[64:65], v[40:41], 2, s[58:59]
	v_cmp_gt_u32_e64 s[14:15], 61, v141
	v_cmp_gt_u32_e64 s[16:17], 32, v141
	v_cmp_gt_u32_e64 s[18:19], 31, v141
	v_cmp_gt_u32_e64 s[20:21], 30, v141
	v_cmp_gt_u32_e64 s[22:23], 29, v141
	s_lshl_b64 s[30:31], s[74:75], 8
	s_lshl_b64 s[96:97], s[86:87], 8
	v_writelane_b32 v238, s2, 62
	v_writelane_b32 v237, s46, 0
	;; [unrolled: 1-line block ×4, first 2 shown]
	s_branch .LBB14_14
.LBB14_12:                              ;   in Loop: Header=BB14_14 Depth=1
	s_or_b64 exec, exec, s[28:29]
	s_barrier
.LBB14_13:                              ;   in Loop: Header=BB14_14 Depth=1
	v_readlane_b32 s28, v238, 1
	s_add_i32 s2, s98, s28
	s_abs_i32 s25, s2
	v_readlane_b32 s41, v237, 1
	s_mul_hi_u32 s26, s25, s41
	s_mul_i32 s26, s26, s33
	s_sub_i32 s25, s25, s26
	s_ashr_i32 s3, s2, 31
	s_sub_i32 s26, s25, s33
	s_cmp_ge_u32 s25, s33
	s_cselect_b32 s25, s26, s25
	s_sub_i32 s26, s25, s33
	s_cmp_ge_u32 s25, s33
	s_cselect_b32 s25, s26, s25
	s_xor_b32 s25, s25, s3
	s_sub_i32 s3, s3, s25
	s_add_i32 s98, s2, s3
	v_readlane_b32 s2, v238, 10
	s_mov_b32 s26, s2
	s_sub_i32 s2, s2, s98
	s_min_i32 s25, s28, s2
	s_cmp_gt_i32 s26, s98
	v_readlane_b32 s3, v238, 11
	s_cselect_b64 s[26:27], -1, 0
	s_cmp_le_i32 s28, s2
	s_cselect_b64 s[2:3], -1, 0
	s_and_b64 s[2:3], s[2:3], s[26:27]
	s_mov_b32 s42, 0
	s_and_b64 vcc, exec, s[2:3]
	s_cbranch_vccz .LBB14_253
.LBB14_14:                              ; =>This Loop Header: Depth=1
                                        ;     Child Loop BB14_171 Depth 2
                                        ;     Child Loop BB14_48 Depth 2
	s_ashr_i32 s2, s98, 31
	v_readlane_b32 s3, v238, 43
	s_xor_b32 s2, s2, s3
	s_abs_i32 s3, s98
	v_readlane_b32 s26, v238, 45
	s_mul_hi_u32 s26, s3, s26
	v_readlane_b32 s29, v238, 44
	s_mul_i32 s27, s26, s29
	s_sub_i32 s3, s3, s27
	s_add_i32 s27, s26, 1
	s_sub_i32 s28, s3, s29
	s_cmp_ge_u32 s3, s29
	s_cselect_b32 s26, s27, s26
	s_cselect_b32 s3, s28, s3
	s_add_i32 s27, s26, 1
	s_cmp_ge_u32 s3, s29
	s_cselect_b32 s3, s27, s26
	s_xor_b32 s3, s3, s2
	s_sub_i32 s26, s3, s2
	v_readlane_b32 s2, v238, 25
	v_readlane_b32 s3, v238, 26
	s_andn2_b64 vcc, exec, s[2:3]
	s_ashr_i32 s27, s26, 31
	s_cbranch_vccnz .LBB14_16
; %bb.15:                               ;   in Loop: Header=BB14_14 Depth=1
	s_abs_i32 s2, s26
	v_mul_hi_u32 v1, s2, v137
	v_readlane_b32 s3, v238, 34
	s_nop 1
	v_mul_lo_u32 v1, v1, s3
	v_sub_u32_e32 v1, s2, v1
	v_subrev_u32_e32 v3, s3, v1
	v_cmp_le_u32_e32 vcc, s3, v1
	s_nop 1
	v_cndmask_b32_e32 v1, v1, v3, vcc
	v_subrev_u32_e32 v3, s3, v1
	v_cmp_le_u32_e32 vcc, s3, v1
	v_readlane_b32 s2, v238, 15
	v_readlane_b32 s3, v238, 16
	v_cndmask_b32_e32 v1, v1, v3, vcc
	v_xor_b32_e32 v1, s27, v1
	v_subrev_u32_e32 v1, s27, v1
	v_ashrrev_i32_e32 v3, 31, v1
	v_mul_lo_u32 v4, v1, s3
	v_mul_hi_u32 v5, v1, s2
	v_add_u32_e32 v4, v5, v4
	v_mul_lo_u32 v3, v3, s2
	v_add_u32_e32 v5, v4, v3
	v_mul_lo_u32 v4, v1, s2
	v_lshl_add_u64 v[68:69], s[62:63], 0, v[4:5]
	s_branch .LBB14_17
.LBB14_16:                              ;   in Loop: Header=BB14_14 Depth=1
	v_mov_b64_e32 v[68:69], 0
.LBB14_17:                              ;   in Loop: Header=BB14_14 Depth=1
	v_readlane_b32 s2, v238, 7
	s_mul_i32 s2, s26, s2
	s_sub_i32 s2, s98, s2
	s_ashr_i32 s3, s2, 31
	v_readlane_b32 s28, v238, 46
	s_xor_b32 s3, s3, s28
	s_abs_i32 s28, s2
	v_readlane_b32 s29, v238, 48
	s_mul_hi_u32 s29, s28, s29
	v_readlane_b32 s36, v238, 47
	s_mul_i32 s34, s29, s36
	s_sub_i32 s28, s28, s34
	s_add_i32 s34, s29, 1
	s_sub_i32 s35, s28, s36
	s_cmp_ge_u32 s28, s36
	s_cselect_b32 s29, s34, s29
	s_cselect_b32 s28, s35, s28
	s_add_i32 s34, s29, 1
	s_cmp_ge_u32 s28, s36
	s_cselect_b32 s28, s34, s29
	s_xor_b32 s28, s28, s3
	s_sub_i32 s43, s28, s3
	v_readlane_b32 s3, v238, 6
	s_mul_i32 s3, s43, s3
	s_sub_i32 s2, s2, s3
	s_ashr_i32 s3, s2, 31
	v_readlane_b32 s28, v238, 49
	s_xor_b32 s3, s3, s28
	s_abs_i32 s28, s2
	v_readlane_b32 s29, v238, 51
	s_mul_hi_u32 s29, s28, s29
	v_readlane_b32 s36, v238, 50
	s_mul_i32 s34, s29, s36
	s_sub_i32 s28, s28, s34
	s_add_i32 s34, s29, 1
	s_sub_i32 s35, s28, s36
	s_cmp_ge_u32 s28, s36
	s_cselect_b32 s29, s34, s29
	s_cselect_b32 s28, s35, s28
	s_add_i32 s34, s29, 1
	s_cmp_ge_u32 s28, s36
	s_cselect_b32 s28, s34, s29
	s_xor_b32 s28, s28, s3
	s_sub_i32 s3, s28, s3
	v_readlane_b32 s28, v238, 2
	s_mul_i32 s28, s43, s28
	s_add_i32 s40, s28, s3
	v_readlane_b32 s28, v238, 40
	v_readlane_b32 s29, v238, 41
	s_andn2_b64 vcc, exec, s[28:29]
	v_mov_b32_e32 v66, 1.0
	s_cbranch_vccnz .LBB14_19
; %bb.18:                               ;   in Loop: Header=BB14_14 Depth=1
	v_readlane_b32 s29, v238, 12
	s_sub_i32 s28, s40, s29
	s_lshl_b32 s28, s28, 1
	s_add_i32 s34, s40, 1
	s_or_b32 s35, s28, 1
	s_cmp_lt_u32 s40, s29
	v_readlane_b32 s36, v238, 36
	s_cselect_b64 vcc, -1, 0
	v_readlane_b32 s38, v238, 38
	v_readlane_b32 s39, v238, 39
	s_and_b64 s[28:29], vcc, exec
	v_mov_b32_e32 v3, s38
	v_mov_b32_e32 v1, s39
	s_cselect_b32 s28, s34, s35
	v_cndmask_b32_e32 v3, v1, v3, vcc
	v_cvt_f32_i32_e32 v1, s28
	v_cmp_neq_f32_e32 vcc, 1.0, v3
	s_mov_b32 s28, 0x3f2aaaab
	s_mov_b32 s29, 0x7f800000
	v_cndmask_b32_e32 v20, 1.0, v1, vcc
	v_cmp_eq_f32_e32 vcc, 0, v20
	s_brev_b32 s44, -2
	v_readlane_b32 s37, v238, 37
	v_cndmask_b32_e64 v21, |v3|, 1.0, vcc
	v_frexp_mant_f32_e32 v1, v21
	v_cmp_gt_f32_e64 s[34:35], s28, v1
	s_mov_b32 s28, 0x3f317218
	v_cndmask_b32_e64 v3, v3, 1.0, vcc
	v_cndmask_b32_e64 v4, 1.0, 2.0, s[34:35]
	v_mul_f32_e32 v1, v1, v4
	v_add_f32_e32 v4, 1.0, v1
	v_rcp_f32_e32 v12, v4
	v_add_f32_e32 v5, -1.0, v4
	v_sub_f32_e32 v7, v1, v5
	v_add_f32_e32 v5, -1.0, v1
	v_mul_f32_e32 v1, v5, v12
	v_mul_f32_e32 v6, v4, v1
	v_fma_f32 v8, v1, v4, -v6
	v_fmac_f32_e32 v8, v1, v7
	v_add_f32_e32 v4, v6, v8
	v_sub_f32_e32 v7, v5, v4
	v_pk_add_f32 v[10:11], v[4:5], v[6:7] neg_lo:[0,1] neg_hi:[0,1]
	v_mov_b32_e32 v9, v4
	v_pk_add_f32 v[4:5], v[10:11], v[8:9] neg_lo:[0,1] neg_hi:[0,1]
	v_cmp_eq_f32_e64 s[36:37], 0, v3
	v_add_f32_e32 v4, v4, v5
	v_add_f32_e32 v4, v7, v4
	v_mul_f32_e32 v5, v12, v4
	v_add_f32_e32 v4, v1, v5
	v_sub_f32_e32 v1, v4, v1
	v_sub_f32_e32 v1, v5, v1
	v_mul_f32_e32 v5, v4, v4
	v_fma_f32 v7, v4, v4, -v5
	v_add_f32_e32 v6, v1, v1
	v_fmac_f32_e32 v7, v4, v6
	v_add_f32_e32 v6, v5, v7
	v_fmamk_f32 v8, v6, 0x3e76c4e1, v210
	v_fmaak_f32 v8, v6, v8, 0x3ecccdef
	v_sub_f32_e32 v5, v6, v5
	v_sub_f32_e32 v14, v7, v5
	v_mul_f32_e32 v5, v6, v8
	v_fma_f32 v7, v6, v8, -v5
	v_fmac_f32_e32 v7, v14, v8
	v_add_f32_e32 v8, v5, v7
	v_add_f32_e32 v9, 0x3f2aaaaa, v8
	v_sub_f32_e32 v5, v8, v5
	v_sub_f32_e32 v5, v7, v5
	v_add_f32_e32 v7, 0xbf2aaaaa, v9
	v_add_f32_e32 v5, 0x31739010, v5
	v_sub_f32_e32 v7, v8, v7
	v_pk_mul_f32 v[10:11], v[4:5], v[6:7]
	v_pk_add_f32 v[12:13], v[4:5], v[6:7]
	v_fma_f32 v8, v6, v4, -v10
	v_fmac_f32_e32 v8, v6, v1
	v_mov_b32_e32 v11, v13
	v_fmac_f32_e32 v8, v14, v4
	v_pk_add_f32 v[6:7], v[10:11], v[8:9]
	v_ldexp_f32 v1, v1, 1
	v_sub_f32_e32 v5, v6, v10
	v_sub_f32_e32 v5, v8, v5
	;; [unrolled: 1-line block ×3, first 2 shown]
	v_add_f32_e32 v12, v13, v8
	v_mov_b32_e32 v8, v7
	v_pk_mul_f32 v[8:9], v[6:7], v[8:9]
	v_cvt_f64_f32_e32 v[10:11], v21
	v_frexp_exp_i32_f64_e32 v9, v[10:11]
	v_subbrev_co_u32_e64 v9, s[34:35], 0, v9, s[34:35]
	v_cvt_f32_i32_e32 v9, v9
	v_fma_f32 v10, v6, v7, -v8
	v_fmac_f32_e32 v10, v6, v12
	v_fmac_f32_e32 v10, v5, v7
	v_mul_f32_e32 v6, 0x3f317218, v9
	v_fma_f32 v12, v9, s28, -v6
	v_fmac_f32_e32 v12, 0xb102e308, v9
	v_ldexp_f32 v13, v4, 1
	v_add_f32_e32 v7, v8, v10
	v_pk_add_f32 v[4:5], v[6:7], v[12:13]
	v_mov_b32_e32 v14, v7
	v_mov_b32_e32 v15, v5
	;; [unrolled: 1-line block ×3, first 2 shown]
	v_pk_add_f32 v[8:9], v[14:15], v[8:9] neg_lo:[0,1] neg_hi:[0,1]
	v_mov_b32_e32 v11, v7
	v_pk_add_f32 v[8:9], v[10:11], v[8:9] neg_lo:[0,1] neg_hi:[0,1]
	v_mov_b32_e32 v13, v4
	v_add_f32_e32 v1, v1, v8
	v_add_f32_e32 v7, v1, v9
	v_pk_add_f32 v[8:9], v[4:5], v[6:7] neg_lo:[0,1] neg_hi:[0,1]
	v_pk_add_f32 v[10:11], v[4:5], v[6:7]
	v_mov_b32_e32 v14, v8
	v_mov_b32_e32 v15, v11
	v_pk_add_f32 v[14:15], v[12:13], v[14:15]
	v_pk_add_f32 v[8:9], v[12:13], v[8:9] neg_lo:[0,1] neg_hi:[0,1]
	v_mov_b32_e32 v6, v15
	v_pk_add_f32 v[16:17], v[6:7], v[4:5] neg_lo:[0,1] neg_hi:[0,1]
	v_mov_b32_e32 v14, v11
	v_mov_b32_e32 v1, v16
	;; [unrolled: 1-line block ×4, first 2 shown]
	v_pk_add_f32 v[18:19], v[10:11], v[0:1] neg_lo:[0,1] neg_hi:[0,1]
	v_pk_add_f32 v[4:5], v[14:15], v[4:5] neg_lo:[0,1] neg_hi:[0,1]
	v_mov_b32_e32 v12, v7
	v_pk_add_f32 v[4:5], v[12:13], v[4:5] neg_lo:[0,1] neg_hi:[0,1]
	v_mov_b32_e32 v18, v8
	v_pk_add_f32 v[10:11], v[18:19], v[4:5]
	v_mov_b32_e32 v9, v15
	v_mov_b32_e32 v12, v11
	v_pk_add_f32 v[12:13], v[10:11], v[12:13]
	s_movk_i32 s28, 0x204
	v_pk_add_f32 v[6:7], v[6:7], v[12:13]
	v_mov_b32_e32 v5, v12
	v_mov_b32_e32 v11, v6
	v_pk_add_f32 v[14:15], v[10:11], v[8:9] neg_lo:[0,1] neg_hi:[0,1]
	v_cmp_gt_f32_e64 s[38:39], 0, v20
	v_sub_f32_e32 v1, v10, v14
	v_pk_add_f32 v[4:5], v[4:5], v[14:15] neg_lo:[0,1] neg_hi:[0,1]
	v_sub_f32_e32 v1, v8, v1
	v_add_f32_e32 v1, v4, v1
	v_add_f32_e32 v1, v1, v5
	v_add_f32_e32 v4, v6, v1
	v_sub_f32_e32 v5, v4, v6
	v_sub_f32_e32 v1, v1, v5
	v_mul_f32_e32 v5, v20, v4
	v_fma_f32 v4, v20, v4, -v5
	v_fmac_f32_e32 v4, v20, v1
	v_add_f32_e32 v1, v5, v4
	v_cmp_class_f32_e64 s[34:35], v5, s28
	v_sub_f32_e32 v6, v1, v5
	v_sub_f32_e32 v4, v4, v6
	v_cndmask_b32_e64 v1, v1, v5, s[34:35]
	v_cmp_eq_f32_e64 s[34:35], s73, v1
	s_nop 1
	v_cndmask_b32_e64 v5, 0, v211, s[34:35]
	v_sub_f32_e32 v6, v1, v5
	v_mul_f32_e32 v7, 0x3fb8aa3b, v6
	v_fma_f32 v8, v6, s76, -v7
	v_rndne_f32_e32 v9, v7
	v_fmac_f32_e32 v8, 0x32a5705f, v6
	v_sub_f32_e32 v7, v7, v9
	v_add_f32_e32 v7, v7, v8
	v_exp_f32_e32 v7, v7
	v_cvt_i32_f32_e32 v8, v9
	v_cmp_neq_f32_e64 s[34:35], |v1|, s29
	s_nop 1
	v_cndmask_b32_e64 v1, 0, v4, s[34:35]
	v_ldexp_f32 v4, v7, v8
	v_cmp_ngt_f32_e64 s[34:35], s77, v6
	v_add_f32_e32 v1, v5, v1
	s_nop 0
	v_cndmask_b32_e64 v4, 0, v4, s[34:35]
	v_cmp_nlt_f32_e64 s[34:35], s73, v6
	s_nop 1
	v_cndmask_b32_e64 v4, v212, v4, s[34:35]
	v_fma_f32 v1, v4, v1, v4
	v_cmp_class_f32_e64 s[34:35], v4, s28
	s_nop 1
	v_cndmask_b32_e64 v1, v1, v4, s[34:35]
	v_trunc_f32_e32 v4, v20
	v_cmp_eq_f32_e32 vcc, v4, v20
	v_mul_f32_e32 v4, 0.5, v20
	v_trunc_f32_e32 v5, v4
	v_cmp_neq_f32_e64 s[34:35], v5, v4
	s_and_b64 s[34:35], vcc, s[34:35]
	s_nop 0
	v_cndmask_b32_e64 v4, 1.0, v3, s[34:35]
	v_bfi_b32 v1, s44, v1, v4
	v_cndmask_b32_e32 v4, v213, v1, vcc
	v_cmp_gt_f32_e32 vcc, 0, v3
	v_cndmask_b32_e64 v5, 0, v3, s[34:35]
	s_nop 0
	v_cndmask_b32_e32 v1, v1, v4, vcc
	v_cmp_eq_f32_e32 vcc, s29, v21
	s_xor_b64 s[28:29], s[38:39], s[36:37]
	v_cndmask_b32_e64 v4, v212, 0, s[28:29]
	v_bfi_b32 v4, s44, v4, v5
	s_or_b64 vcc, vcc, s[36:37]
	v_cndmask_b32_e32 v1, v1, v4, vcc
	v_cmp_o_f32_e32 vcc, v3, v3
	s_nop 1
	v_cndmask_b32_e32 v66, v213, v1, vcc
.LBB14_19:                              ;   in Loop: Header=BB14_14 Depth=1
	v_readlane_b32 s28, v238, 3
	s_mul_i32 s3, s3, s28
	s_sub_i32 s2, s2, s3
	s_ashr_i32 s3, s2, 31
	v_readlane_b32 s28, v238, 23
	s_abs_i32 s2, s2
	s_xor_b32 s3, s3, s28
	s_mul_hi_u32 s28, s2, s41
	s_mul_i32 s29, s28, s33
	s_sub_i32 s2, s2, s29
	s_add_i32 s29, s28, 1
	s_sub_i32 s34, s2, s33
	s_cmp_ge_u32 s2, s33
	s_cselect_b32 s28, s29, s28
	s_cselect_b32 s2, s34, s2
	s_add_i32 s29, s28, 1
	s_cmp_ge_u32 s2, s33
	s_cselect_b32 s2, s29, s28
	v_readlane_b32 s28, v238, 29
	s_xor_b32 s2, s2, s3
	v_readlane_b32 s29, v238, 30
	s_andn2_b64 vcc, exec, s[28:29]
	s_sub_i32 s2, s2, s3
	s_cbranch_vccnz .LBB14_21
; %bb.20:                               ;   in Loop: Header=BB14_14 Depth=1
	v_readlane_b32 s3, v238, 0
	s_mul_i32 s3, s26, s3
	s_add_i32 s28, s2, s3
	s_ashr_i32 s29, s28, 31
	s_lshl_b64 s[28:29], s[28:29], 2
	s_add_u32 s28, s66, s28
	s_addc_u32 s29, s67, s29
	global_load_dword v1, v2, s[28:29]
	s_waitcnt vmcnt(0)
	v_readfirstlane_b32 s3, v1
	s_ashr_i32 s28, s3, 31
	s_lshr_b32 s28, s28, 26
	s_add_i32 s3, s3, s28
	s_ashr_i32 s3, s3, 6
	s_min_i32 s25, s25, s3
.LBB14_21:                              ;   in Loop: Header=BB14_14 Depth=1
	v_readlane_b32 s3, v238, 35
	s_mul_i32 s3, s3, s26
	s_add_i32 s3, s40, s3
	s_mul_i32 s80, s3, 48
	s_lshl_b64 s[28:29], s[80:81], 3
	s_add_u32 s28, s68, s28
	s_addc_u32 s29, s69, s29
	v_readlane_b32 s34, v238, 13
	v_writelane_b32 v237, s28, 2
	v_readlane_b32 s35, v238, 14
	s_mul_i32 s3, s26, s35
	v_writelane_b32 v237, s29, 3
	s_mul_hi_u32 s28, s26, s34
	s_add_i32 s3, s28, s3
	s_mul_i32 s28, s27, s34
	v_readlane_b32 s36, v238, 19
	s_add_i32 s28, s3, s28
	s_mul_i32 s3, s26, s34
	v_readlane_b32 s39, v238, 22
	v_writelane_b32 v237, s3, 4
	s_add_u32 s3, s60, s3
	s_mul_i32 s29, s43, s39
	v_writelane_b32 v237, s28, 5
	s_addc_u32 s28, s61, s28
	s_ashr_i32 s92, s29, 31
	s_add_u32 s91, s3, s29
	s_addc_u32 s3, s28, s92
	s_ashr_i32 s41, s40, 31
	v_writelane_b32 v237, s29, 6
	s_lshl_b64 s[28:29], s[40:41], 2
	s_add_u32 s34, s64, s28
	v_readlane_b32 s37, v238, 20
	s_addc_u32 s35, s65, s29
	v_readlane_b32 s28, v238, 27
	s_mov_b64 s[44:45], s[36:37]
	v_readlane_b32 s29, v238, 28
	v_readlane_b32 s36, v238, 8
	s_and_b64 s[28:29], s[28:29], exec
	v_readlane_b32 s37, v238, 9
	s_cselect_b32 s28, 0, s34
	s_mul_i32 s34, s26, s37
	s_cselect_b32 s29, 0, s35
	s_ashr_i32 s35, s34, 31
	s_add_u32 s34, s56, s34
	s_mul_i32 s36, s40, s36
	s_addc_u32 s35, s57, s35
	s_ashr_i32 s37, s36, 31
	s_add_u32 s94, s34, s36
	s_addc_u32 s95, s35, s37
	s_mul_i32 s34, s26, s45
	s_mul_hi_u32 s35, s26, s44
	s_add_i32 s34, s35, s34
	s_mul_i32 s27, s27, s44
	s_add_i32 s93, s34, s27
	v_readlane_b32 s34, v238, 17
	s_mul_i32 s26, s26, s44
	v_readlane_b32 s35, v238, 18
	v_writelane_b32 v237, s26, 7
	s_add_u32 s26, s58, s26
	s_mul_i32 s34, s43, s35
	s_addc_u32 s27, s59, s93
	s_ashr_i32 s90, s34, 31
	s_add_u32 s99, s26, s34
	s_addc_u32 s78, s27, s90
	s_cmp_lg_u32 s42, 0
	v_readlane_b32 s38, v238, 21
	v_writelane_b32 v237, s34, 8
	s_cbranch_scc0 .LBB14_58
; %bb.22:                               ;   in Loop: Header=BB14_14 Depth=1
	s_lshl_b32 s80, s2, 5
	v_add_u32_e32 v1, s80, v138
	v_cmp_le_i32_e32 vcc, s72, v1
	s_and_saveexec_b64 s[26:27], vcc
	s_xor_b64 s[26:27], exec, s[26:27]
	s_cbranch_execz .LBB14_24
; %bb.23:                               ;   in Loop: Header=BB14_14 Depth=1
	ds_write_b32 v152, v2
                                        ; implicit-def: $vgpr1
.LBB14_24:                              ;   in Loop: Header=BB14_14 Depth=1
	s_andn2_saveexec_b64 s[26:27], s[26:27]
	s_cbranch_execz .LBB14_26
; %bb.25:                               ;   in Loop: Header=BB14_14 Depth=1
	v_mad_u64_u32 v[4:5], s[34:35], v1, s46, v[48:49]
	v_ashrrev_i32_e32 v5, 31, v4
	v_lshl_add_u64 v[4:5], v[4:5], 3, s[94:95]
	global_load_dwordx2 v[4:5], v[4:5], off
	s_waitcnt vmcnt(0)
	v_cvt_f16_f32_e32 v1, v4
	v_cvt_f16_f32_e32 v3, v5
	v_pack_b32_f16 v1, v1, v3
	v_pk_mul_f16 v1, v31, v1
	ds_write_b32 v152, v1
.LBB14_26:                              ;   in Loop: Header=BB14_14 Depth=1
	s_or_b64 exec, exec, s[26:27]
	v_add_u32_e32 v1, s80, v206
	v_cmp_le_i32_e32 vcc, s72, v1
	s_and_saveexec_b64 s[26:27], vcc
	s_xor_b64 s[26:27], exec, s[26:27]
	s_cbranch_execz .LBB14_28
; %bb.27:                               ;   in Loop: Header=BB14_14 Depth=1
	ds_write_b32 v152, v2 offset:1664
                                        ; implicit-def: $vgpr1
.LBB14_28:                              ;   in Loop: Header=BB14_14 Depth=1
	s_andn2_saveexec_b64 s[26:27], s[26:27]
	s_cbranch_execz .LBB14_30
; %bb.29:                               ;   in Loop: Header=BB14_14 Depth=1
	v_mad_u64_u32 v[4:5], s[34:35], v1, s46, v[48:49]
	v_ashrrev_i32_e32 v5, 31, v4
	v_lshl_add_u64 v[4:5], v[4:5], 3, s[94:95]
	global_load_dwordx2 v[4:5], v[4:5], off
	s_waitcnt vmcnt(0)
	v_cvt_f16_f32_e32 v1, v4
	v_cvt_f16_f32_e32 v3, v5
	v_pack_b32_f16 v1, v1, v3
	v_pk_mul_f16 v1, v31, v1
	ds_write_b32 v152, v1 offset:1664
.LBB14_30:                              ;   in Loop: Header=BB14_14 Depth=1
	s_or_b64 exec, exec, s[26:27]
	v_add_u32_e32 v1, s80, v207
	v_cmp_le_i32_e32 vcc, s72, v1
	s_and_saveexec_b64 s[26:27], vcc
	s_xor_b64 s[26:27], exec, s[26:27]
	s_cbranch_execz .LBB14_32
; %bb.31:                               ;   in Loop: Header=BB14_14 Depth=1
	ds_write_b32 v152, v2 offset:3328
                                        ; implicit-def: $vgpr1
.LBB14_32:                              ;   in Loop: Header=BB14_14 Depth=1
	s_andn2_saveexec_b64 s[26:27], s[26:27]
	s_cbranch_execz .LBB14_34
; %bb.33:                               ;   in Loop: Header=BB14_14 Depth=1
	v_mad_u64_u32 v[4:5], s[34:35], v1, s46, v[48:49]
	v_ashrrev_i32_e32 v5, 31, v4
	v_lshl_add_u64 v[4:5], v[4:5], 3, s[94:95]
	global_load_dwordx2 v[4:5], v[4:5], off
	s_waitcnt vmcnt(0)
	v_cvt_f16_f32_e32 v1, v4
	v_cvt_f16_f32_e32 v3, v5
	v_pack_b32_f16 v1, v1, v3
	v_pk_mul_f16 v1, v31, v1
	ds_write_b32 v152, v1 offset:3328
.LBB14_34:                              ;   in Loop: Header=BB14_14 Depth=1
	;; [unrolled: 24-line block ×3, first 2 shown]
	s_or_b64 exec, exec, s[26:27]
	v_add_u32_e32 v1, s80, v139
	v_cmp_le_i32_e32 vcc, s72, v1
	s_and_saveexec_b64 s[26:27], vcc
	s_xor_b64 s[26:27], exec, s[26:27]
	s_cbranch_execz .LBB14_40
; %bb.39:                               ;   in Loop: Header=BB14_14 Depth=1
	ds_write_b32 v153, v2 offset:128
                                        ; implicit-def: $vgpr1
.LBB14_40:                              ;   in Loop: Header=BB14_14 Depth=1
	s_andn2_saveexec_b64 s[26:27], s[26:27]
	s_cbranch_execz .LBB14_42
; %bb.41:                               ;   in Loop: Header=BB14_14 Depth=1
	v_mul_lo_u32 v4, v1, s46
	v_ashrrev_i32_e32 v5, 31, v4
	v_lshl_add_u64 v[4:5], v[4:5], 0, v[28:29]
	v_lshl_add_u64 v[4:5], v[4:5], 3, s[94:95]
	global_load_dwordx2 v[4:5], v[4:5], off offset:256
	s_waitcnt vmcnt(0)
	v_cvt_f16_f32_e32 v1, v4
	v_cvt_f16_f32_e32 v3, v5
	v_pack_b32_f16 v1, v1, v3
	v_pk_mul_f16 v1, v31, v1
	ds_write_b32 v153, v1 offset:128
.LBB14_42:                              ;   in Loop: Header=BB14_14 Depth=1
	s_or_b64 exec, exec, s[26:27]
	v_add_u32_e32 v1, s80, v209
	v_cmp_le_i32_e32 vcc, s72, v1
	s_and_saveexec_b64 s[26:27], vcc
	s_xor_b64 s[26:27], exec, s[26:27]
	s_cbranch_execz .LBB14_44
; %bb.43:                               ;   in Loop: Header=BB14_14 Depth=1
	ds_write_b32 v153, v2 offset:3456
                                        ; implicit-def: $vgpr1
.LBB14_44:                              ;   in Loop: Header=BB14_14 Depth=1
	s_andn2_saveexec_b64 s[26:27], s[26:27]
	s_cbranch_execz .LBB14_46
; %bb.45:                               ;   in Loop: Header=BB14_14 Depth=1
	v_mul_lo_u32 v4, v1, s46
	v_ashrrev_i32_e32 v5, 31, v4
	v_lshl_add_u64 v[4:5], v[4:5], 0, v[28:29]
	v_lshl_add_u64 v[4:5], v[4:5], 3, s[94:95]
	global_load_dwordx2 v[4:5], v[4:5], off offset:256
	s_waitcnt vmcnt(0)
	v_cvt_f16_f32_e32 v1, v4
	v_cvt_f16_f32_e32 v3, v5
	v_pack_b32_f16 v1, v1, v3
	v_pk_mul_f16 v1, v31, v1
	ds_write_b32 v153, v1 offset:3456
.LBB14_46:                              ;   in Loop: Header=BB14_14 Depth=1
	s_or_b64 exec, exec, s[26:27]
	s_waitcnt lgkmcnt(0)
	s_barrier
	ds_read2_b64 v[14:17], v143 offset1:4
	ds_read2_b64 v[10:13], v143 offset0:8 offset1:12
	ds_read2_b64 v[6:9], v143 offset0:16 offset1:20
	s_add_i32 s40, s25, -1
	s_cmp_le_i32 s40, s42
	v_mov_b32_e32 v220, 0
	s_waitcnt lgkmcnt(0)
	s_barrier
	s_cbranch_scc1 .LBB14_59
; %bb.47:                               ;   in Loop: Header=BB14_14 Depth=1
	v_add_u32_e32 v1, s80, v101
	v_mul_hi_u32 v3, s88, v1
	v_add_u32_e32 v3, v1, v3
	v_lshrrev_b32_e32 v3, s89, v3
	v_mul_lo_u32 v3, v3, s72
	v_readlane_b32 s26, v238, 60
	v_sub_u32_e32 v1, v1, v3
	v_readlane_b32 s27, v238, 61
	s_mov_b32 s36, s26
	v_mad_i64_i32 v[72:73], s[26:27], v1, s36, 0
	v_add_u32_e32 v1, s80, v179
	v_mul_hi_u32 v3, s88, v1
	v_add_u32_e32 v3, v1, v3
	v_lshrrev_b32_e32 v3, s89, v3
	v_mul_lo_u32 v3, v3, s72
	v_sub_u32_e32 v1, v1, v3
	v_mad_i64_i32 v[74:75], s[26:27], v1, s36, 0
	v_add_u32_e32 v1, s80, v181
	v_mul_hi_u32 v3, s88, v1
	v_add_u32_e32 v3, v1, v3
	v_lshrrev_b32_e32 v3, s89, v3
	v_mul_lo_u32 v3, v3, s72
	v_sub_u32_e32 v1, v1, v3
	;; [unrolled: 7-line block ×7, first 2 shown]
	v_mad_i64_i32 v[86:87], s[26:27], v1, s36, 0
	v_and_b32_e32 v1, 64, v178
	v_add_u32_e32 v1, 64, v1
	v_xor_b32_e32 v3, 32, v178
	v_cmp_lt_i32_e32 vcc, v3, v1
	v_lshlrev_b32_e32 v4, 1, v26
	v_mov_b32_e32 v5, v2
	v_cndmask_b32_e32 v3, v178, v3, vcc
	v_lshlrev_b32_e32 v94, 2, v3
	v_xor_b32_e32 v3, 16, v178
	v_cmp_lt_i32_e32 vcc, v3, v1
	v_cmp_ne_u64_e64 s[34:35], 0, v[68:69]
	v_lshl_add_u64 v[70:71], v[68:69], 0, v[4:5]
	v_cndmask_b32_e32 v1, v178, v3, vcc
	v_mov_b32_e32 v216, 0
	v_lshlrev_b32_e32 v95, 2, v1
	v_mov_b32_e32 v88, v66
	v_mov_b32_e32 v89, v66
	s_lshl_b32 s38, s42, 6
	v_mov_b32_e32 v222, 0
	v_mov_b32_e32 v223, 0xfeffffff
	;; [unrolled: 1-line block ×13, first 2 shown]
.LBB14_48:                              ;   Parent Loop BB14_14 Depth=1
                                        ; =>  This Inner Loop Header: Depth=2
	v_cndmask_b32_e64 v1, 0, 1, s[34:35]
	v_cmp_ne_u32_e64 s[36:37], 1, v1
	s_andn2_b64 vcc, exec, s[34:35]
	s_ashr_i32 s39, s38, 31
	s_cbranch_vccnz .LBB14_54
; %bb.49:                               ;   in Loop: Header=BB14_48 Depth=2
                                        ; implicit-def: $sgpr41
	s_and_saveexec_b64 s[26:27], s[0:1]
	s_xor_b64 s[26:27], exec, s[26:27]
	s_cbranch_execz .LBB14_51
; %bb.50:                               ;   in Loop: Header=BB14_48 Depth=2
	ds_write_b16 v140, v2 offset:13312
	ds_write_b16 v180, v2 offset:13312
	;; [unrolled: 1-line block ×4, first 2 shown]
	s_mov_b32 s41, 0
.LBB14_51:                              ;   in Loop: Header=BB14_48 Depth=2
	s_or_saveexec_b64 s[26:27], s[26:27]
	v_mov_b32_e32 v1, s41
	v_mov_b32_e32 v3, s41
	;; [unrolled: 1-line block ×4, first 2 shown]
	s_xor_b64 exec, exec, s[26:27]
	s_cbranch_execz .LBB14_53
; %bb.52:                               ;   in Loop: Header=BB14_48 Depth=2
	v_lshl_add_u64 v[18:19], s[38:39], 1, v[70:71]
	v_lshl_add_u64 v[4:5], v[72:73], 1, v[18:19]
	flat_load_ushort v1, v[4:5]
	v_lshl_add_u64 v[4:5], v[74:75], 1, v[18:19]
	flat_load_ushort v3, v[4:5]
	;; [unrolled: 2-line block ×4, first 2 shown]
	s_waitcnt vmcnt(0) lgkmcnt(0)
	ds_write_b16 v140, v1 offset:13312
	ds_write_b16 v180, v3 offset:13312
	;; [unrolled: 1-line block ×4, first 2 shown]
	v_lshl_add_u64 v[4:5], v[80:81], 1, v[18:19]
	flat_load_ushort v1, v[4:5]
	v_lshl_add_u64 v[4:5], v[82:83], 1, v[18:19]
	flat_load_ushort v3, v[4:5]
	v_lshl_add_u64 v[4:5], v[84:85], 1, v[18:19]
	v_lshl_add_u64 v[18:19], v[86:87], 1, v[18:19]
	flat_load_ushort v4, v[4:5]
	s_nop 0
	flat_load_ushort v5, v[18:19]
.LBB14_53:                              ;   in Loop: Header=BB14_48 Depth=2
	s_or_b64 exec, exec, s[26:27]
	s_waitcnt vmcnt(0) lgkmcnt(0)
	ds_write_b16 v186, v1 offset:13312
	ds_write_b16 v188, v3 offset:13312
	;; [unrolled: 1-line block ×4, first 2 shown]
.LBB14_54:                              ;   in Loop: Header=BB14_48 Depth=2
	s_mul_hi_i32 s27, s38, s86
	s_mul_i32 s26, s38, s86
	s_lshl_b64 s[26:27], s[26:27], 2
	s_add_u32 s26, s99, s26
	s_addc_u32 s27, s78, s27
	v_lshl_add_u64 v[18:19], v[36:37], 2, s[26:27]
	v_lshlrev_b32_e32 v92, 2, v30
	v_mov_b32_e32 v93, v2
	v_lshl_add_u64 v[18:19], v[18:19], 0, v[92:93]
	v_mov_b32_e32 v3, v2
	v_mov_b32_e32 v4, v2
	;; [unrolled: 1-line block ×3, first 2 shown]
	v_lshl_add_u64 v[18:19], v[18:19], 0, s[84:85]
	v_mov_b32_e32 v1, s83
	v_mov_b32_e32 v22, s82
	scratch_store_dwordx4 off, v[2:5], off
	v_cndmask_b32_e64 v19, v1, v19, s[52:53]
	v_cndmask_b32_e64 v18, v22, v18, s[52:53]
	flat_load_dwordx4 v[18:21], v[18:19]
	v_lshlrev_b32_e32 v90, 2, v32
	v_mov_b32_e32 v91, v2
	s_and_b64 vcc, exec, s[36:37]
	s_waitcnt vmcnt(0) lgkmcnt(0)
	ds_write_b128 v49, v[18:21]
	v_lshl_add_u64 v[18:19], v[38:39], 2, s[26:27]
	v_lshl_add_u64 v[18:19], v[18:19], 0, v[90:91]
	v_cndmask_b32_e64 v19, v1, v19, s[4:5]
	v_cndmask_b32_e64 v18, v22, v18, s[4:5]
	flat_load_dwordx4 v[18:21], v[18:19]
	s_waitcnt vmcnt(0) lgkmcnt(0)
	ds_write_b128 v106, v[18:21]
	v_lshl_add_u64 v[18:19], v[40:41], 2, s[26:27]
	v_lshl_add_u64 v[18:19], v[18:19], 0, v[90:91]
	v_cndmask_b32_e64 v19, v1, v19, s[6:7]
	v_cndmask_b32_e64 v18, v22, v18, s[6:7]
	flat_load_dwordx4 v[18:21], v[18:19]
	v_add_u32_e32 v1, v27, v142
	s_waitcnt vmcnt(0) lgkmcnt(0)
	ds_write_b128 v194, v[18:21]
	s_waitcnt lgkmcnt(0)
	s_barrier
	ds_read2_b64 v[18:21], v1 offset1:4
	s_waitcnt lgkmcnt(0)
	v_mfma_f32_16x16x16_f16 v[22:25], v[18:19], v[14:15], 0
	v_mfma_f32_16x16x16_f16 v[18:21], v[20:21], v[16:17], v[22:25]
	s_nop 5
	ds_read2_b64 v[22:25], v1 offset0:8 offset1:12
	s_waitcnt lgkmcnt(0)
	v_mfma_f32_16x16x16_f16 v[18:21], v[22:23], v[10:11], v[18:21]
	v_mfma_f32_16x16x16_f16 v[18:21], v[24:25], v[12:13], v[18:21]
	ds_read2_b64 v[22:25], v1 offset0:16 offset1:20
	v_add_u32_e32 v1, 0x1800, v1
	s_waitcnt lgkmcnt(0)
	v_mfma_f32_16x16x16_f16 v[18:21], v[22:23], v[6:7], v[18:21]
	v_mfma_f32_16x16x16_f16 v[22:25], v[24:25], v[8:9], v[18:21]
	s_nop 5
	ds_read2_b64 v[18:21], v1 offset0:64 offset1:68
	s_waitcnt lgkmcnt(0)
	v_mfma_f32_16x16x16_f16 v[224:227], v[18:19], v[14:15], 0
	v_mfma_f32_16x16x16_f16 v[18:21], v[20:21], v[16:17], v[224:227]
	s_nop 5
	ds_read2_b64 v[224:227], v1 offset0:72 offset1:76
	s_waitcnt lgkmcnt(0)
	v_mfma_f32_16x16x16_f16 v[18:21], v[224:225], v[10:11], v[18:21]
	v_mfma_f32_16x16x16_f16 v[18:21], v[226:227], v[12:13], v[18:21]
	ds_read2_b64 v[224:227], v1 offset0:80 offset1:84
	s_waitcnt lgkmcnt(0)
	s_barrier
	v_mfma_f32_16x16x16_f16 v[18:21], v[224:225], v[6:7], v[18:21]
	v_mfma_f32_16x16x16_f16 v[18:21], v[226:227], v[8:9], v[18:21]
	s_cbranch_vccnz .LBB14_56
; %bb.55:                               ;   in Loop: Header=BB14_48 Depth=2
	v_add_u32_e32 v1, 0x3400, v144
	ds_read2_b32 v[224:225], v1 offset1:1
	ds_read_b32 v1, v146 offset:13312
	v_mov_b32_e32 v67, v66
	s_waitcnt lgkmcnt(1)
	v_cvt_f32_f16_e32 v226, v224
	v_cvt_f32_f16_sdwa v227, v224 dst_sel:DWORD dst_unused:UNUSED_PAD src0_sel:WORD_1
	v_cvt_f32_f16_e32 v224, v225
	v_cvt_f32_f16_sdwa v225, v225 dst_sel:DWORD dst_unused:UNUSED_PAD src0_sel:WORD_1
	v_pk_fma_f32 v[22:23], v[88:89], v[226:227], v[22:23]
	v_pk_fma_f32 v[24:25], v[66:67], v[224:225], v[24:25]
	s_waitcnt lgkmcnt(0)
	v_cvt_f32_f16_sdwa v225, v1 dst_sel:DWORD dst_unused:UNUSED_PAD src0_sel:WORD_1
	v_cvt_f32_f16_e32 v224, v1
	ds_read_b32 v1, v148 offset:13312
	v_pk_fma_f32 v[18:19], v[88:89], v[224:225], v[18:19]
	s_waitcnt lgkmcnt(0)
	v_cvt_f32_f16_sdwa v227, v1 dst_sel:DWORD dst_unused:UNUSED_PAD src0_sel:WORD_1
	v_cvt_f32_f16_e32 v226, v1
	v_pk_fma_f32 v[20:21], v[66:67], v[226:227], v[20:21]
.LBB14_56:                              ;   in Loop: Header=BB14_48 Depth=2
	v_add_f32_e32 v1, 0x40051340, v22
	v_max_f32_e32 v67, v223, v223
	v_max_f32_e32 v1, v67, v1
	v_cndmask_b32_e64 v1, v223, v1, s[8:9]
	v_add_f32_e32 v67, 0x40051340, v23
	v_max_f32_e32 v224, v1, v1
	v_max_f32_e32 v67, v224, v67
	v_cndmask_b32_e64 v1, v1, v67, s[10:11]
	;; [unrolled: 4-line block ×8, first 2 shown]
	ds_bpermute_b32 v67, v94, v1
	v_max_f32_e32 v1, v1, v1
	v_cndmask_b32_e64 v24, v24, v24, s[10:11]
	v_cndmask_b32_e64 v25, v25, v25, s[10:11]
	;; [unrolled: 1-line block ×3, first 2 shown]
	s_waitcnt lgkmcnt(0)
	v_max_f32_e32 v67, v67, v67
	v_max_f32_e32 v1, v1, v67
	ds_bpermute_b32 v67, v95, v1
	v_cndmask_b32_e64 v20, v20, v20, s[16:17]
	v_cndmask_b32_e64 v21, v21, v21, s[16:17]
	s_mul_hi_i32 s27, s38, s74
	s_mul_i32 s26, s38, s74
	s_waitcnt lgkmcnt(0)
	v_max_f32_e32 v67, v67, v67
	v_max_f32_e32 v1, v1, v67
	v_sub_f32_e32 v22, v22, v1
	v_mul_f32_e32 v67, 0x3fb8aa3b, v22
	v_fma_f32 v224, v22, s76, -v67
	v_rndne_f32_e32 v225, v67
	v_fmac_f32_e32 v224, 0x32a5705f, v22
	v_sub_f32_e32 v67, v67, v225
	v_add_f32_e32 v67, v67, v224
	v_exp_f32_e32 v67, v67
	v_cvt_i32_f32_e32 v224, v225
	v_cmp_ngt_f32_e32 vcc, s77, v22
	v_sub_f32_e32 v18, v18, v1
	v_sub_f32_e32 v19, v19, v1
	v_ldexp_f32 v67, v67, v224
	v_cndmask_b32_e32 v67, 0, v67, vcc
	v_cmp_nlt_f32_e32 vcc, s73, v22
	s_lshl_b64 s[26:27], s[26:27], 2
	s_add_u32 s36, s91, s26
	v_cndmask_b32_e32 v22, v212, v67, vcc
	v_cndmask_b32_e64 v224, 0, v22, s[8:9]
	v_sub_f32_e32 v22, v23, v1
	v_mul_f32_e32 v23, 0x3fb8aa3b, v22
	v_fma_f32 v67, v22, s76, -v23
	v_rndne_f32_e32 v225, v23
	v_fmac_f32_e32 v67, 0x32a5705f, v22
	v_sub_f32_e32 v23, v23, v225
	v_add_f32_e32 v23, v23, v67
	v_exp_f32_e32 v23, v23
	v_cvt_i32_f32_e32 v67, v225
	v_cmp_ngt_f32_e32 vcc, s77, v22
	s_addc_u32 s37, s3, s27
	scratch_store_dwordx4 off, v[2:5], off
	v_ldexp_f32 v23, v23, v67
	v_cndmask_b32_e32 v23, 0, v23, vcc
	v_cmp_nlt_f32_e32 vcc, s73, v22
	v_lshl_add_u64 v[4:5], v[42:43], 2, s[36:37]
	v_lshl_add_u64 v[4:5], v[4:5], 0, v[92:93]
	v_cndmask_b32_e32 v22, v212, v23, vcc
	v_mov_b32_e32 v23, s81
	v_add_f32_e32 v67, v22, v224
	v_cndmask_b32_e64 v225, v23, v22, s[10:11]
	v_sub_f32_e32 v22, v24, v1
	v_mul_f32_e32 v24, 0x3fb8aa3b, v22
	v_cndmask_b32_e64 v23, v224, v67, s[10:11]
	v_fma_f32 v67, v22, s76, -v24
	v_rndne_f32_e32 v226, v24
	v_fmac_f32_e32 v67, 0x32a5705f, v22
	v_sub_f32_e32 v24, v24, v226
	v_add_f32_e32 v24, v24, v67
	v_exp_f32_e32 v24, v24
	v_cvt_i32_f32_e32 v67, v226
	v_cmp_ngt_f32_e32 vcc, s77, v22
	v_lshl_add_u64 v[4:5], v[4:5], 0, s[84:85]
	v_mov_b32_e32 v3, s83
	v_ldexp_f32 v24, v24, v67
	v_cndmask_b32_e32 v24, 0, v24, vcc
	v_cmp_nlt_f32_e32 vcc, s73, v22
	v_mov_b32_e32 v22, s81
	v_mov_b32_e32 v92, s82
	v_cndmask_b32_e32 v24, v212, v24, vcc
	v_add_f32_e32 v67, v23, v24
	v_cndmask_b32_e64 v226, v22, v24, s[12:13]
	v_cndmask_b32_e64 v22, v23, v67, s[12:13]
	v_sub_f32_e32 v23, v25, v1
	v_mul_f32_e32 v24, 0x3fb8aa3b, v23
	v_fma_f32 v25, v23, s76, -v24
	v_rndne_f32_e32 v67, v24
	v_fmac_f32_e32 v25, 0x32a5705f, v23
	v_sub_f32_e32 v24, v24, v67
	v_add_f32_e32 v24, v24, v25
	v_exp_f32_e32 v24, v24
	v_cvt_i32_f32_e32 v25, v67
	v_cmp_ngt_f32_e32 vcc, s77, v23
	v_cndmask_b32_e64 v5, v3, v5, s[52:53]
	v_cndmask_b32_e64 v4, v92, v4, s[52:53]
	v_ldexp_f32 v24, v24, v25
	v_cndmask_b32_e32 v24, 0, v24, vcc
	v_cmp_nlt_f32_e32 vcc, s73, v23
	v_mov_b32_e32 v23, s81
	s_add_i32 s42, s42, 1
	v_cndmask_b32_e32 v24, v212, v24, vcc
	v_add_f32_e32 v25, v22, v24
	v_cndmask_b32_e64 v227, v23, v24, s[14:15]
	v_mul_f32_e32 v23, 0x3fb8aa3b, v18
	v_cndmask_b32_e64 v22, v22, v25, s[14:15]
	v_fma_f32 v24, v18, s76, -v23
	v_rndne_f32_e32 v25, v23
	v_fmac_f32_e32 v24, 0x32a5705f, v18
	v_sub_f32_e32 v23, v23, v25
	v_add_f32_e32 v23, v23, v24
	v_exp_f32_e32 v23, v23
	v_cvt_i32_f32_e32 v24, v25
	v_cmp_ngt_f32_e32 vcc, s77, v18
	s_add_i32 s38, s38, 64
	s_cmp_lt_i32 s42, s40
	v_ldexp_f32 v23, v23, v24
	v_cndmask_b32_e32 v23, 0, v23, vcc
	v_cmp_nlt_f32_e32 vcc, s73, v18
	v_mov_b32_e32 v18, s81
	s_nop 0
	v_cndmask_b32_e32 v23, v212, v23, vcc
	v_add_f32_e32 v24, v23, v22
	v_cndmask_b32_e64 v228, v18, v23, s[16:17]
	v_cndmask_b32_e64 v18, v22, v24, s[16:17]
	v_mul_f32_e32 v22, 0x3fb8aa3b, v19
	v_fma_f32 v23, v19, s76, -v22
	v_rndne_f32_e32 v24, v22
	v_fmac_f32_e32 v23, 0x32a5705f, v19
	v_sub_f32_e32 v22, v22, v24
	v_add_f32_e32 v22, v22, v23
	v_exp_f32_e32 v22, v22
	v_cvt_i32_f32_e32 v23, v24
	v_cmp_ngt_f32_e32 vcc, s77, v19
	v_ldexp_f32 v22, v22, v23
	s_nop 0
	v_cndmask_b32_e32 v22, 0, v22, vcc
	v_cmp_nlt_f32_e32 vcc, s73, v19
	v_mov_b32_e32 v19, s81
	s_nop 0
	v_cndmask_b32_e32 v22, v212, v22, vcc
	v_add_f32_e32 v23, v22, v18
	v_cndmask_b32_e64 v229, v19, v22, s[18:19]
	v_cndmask_b32_e64 v19, v18, v23, s[18:19]
	v_sub_f32_e32 v18, v20, v1
	v_mul_f32_e32 v20, 0x3fb8aa3b, v18
	v_fma_f32 v22, v18, s76, -v20
	v_rndne_f32_e32 v23, v20
	v_fmac_f32_e32 v22, 0x32a5705f, v18
	v_sub_f32_e32 v20, v20, v23
	v_add_f32_e32 v20, v20, v22
	v_exp_f32_e32 v20, v20
	v_cvt_i32_f32_e32 v22, v23
	v_cmp_ngt_f32_e32 vcc, s77, v18
	v_ldexp_f32 v20, v20, v22
	s_nop 0
	v_cndmask_b32_e32 v20, 0, v20, vcc
	v_cmp_nlt_f32_e32 vcc, s73, v18
	v_mov_b32_e32 v18, s81
	s_nop 0
	v_cndmask_b32_e32 v20, v212, v20, vcc
	v_add_f32_e32 v22, v20, v19
	v_cndmask_b32_e64 v230, v18, v20, s[20:21]
	v_cndmask_b32_e64 v18, v19, v22, s[20:21]
	v_sub_f32_e32 v19, v21, v1
	v_mul_f32_e32 v20, 0x3fb8aa3b, v19
	v_fma_f32 v21, v19, s76, -v20
	v_rndne_f32_e32 v22, v20
	v_fmac_f32_e32 v21, 0x32a5705f, v19
	v_sub_f32_e32 v20, v20, v22
	v_add_f32_e32 v20, v20, v21
	v_exp_f32_e32 v20, v20
	v_cvt_i32_f32_e32 v21, v22
	v_cmp_ngt_f32_e32 vcc, s77, v19
	v_ldexp_f32 v20, v20, v21
	s_nop 0
	v_cndmask_b32_e32 v20, 0, v20, vcc
	v_cmp_nlt_f32_e32 vcc, s73, v19
	v_mov_b32_e32 v19, s81
	s_nop 0
	v_cndmask_b32_e32 v20, v212, v20, vcc
	v_add_f32_e32 v21, v20, v18
	v_cndmask_b32_e64 v22, v18, v21, s[22:23]
	v_sub_f32_e32 v18, v223, v1
	v_cndmask_b32_e64 v19, v19, v20, s[22:23]
	v_mul_f32_e32 v20, 0x3fb8aa3b, v18
	v_fma_f32 v21, v18, s76, -v20
	v_rndne_f32_e32 v23, v20
	v_fmac_f32_e32 v21, 0x32a5705f, v18
	v_sub_f32_e32 v20, v20, v23
	v_add_f32_e32 v20, v20, v21
	v_exp_f32_e32 v20, v20
	v_cvt_i32_f32_e32 v21, v23
	v_cmp_ngt_f32_e32 vcc, s77, v18
	v_cvt_f16_f32_e32 v19, v19
	v_ldexp_f32 v20, v20, v21
	v_cndmask_b32_e32 v20, 0, v20, vcc
	v_cmp_nlt_f32_e32 vcc, s73, v18
	v_cvt_f16_f32_e32 v21, v227
	s_nop 0
	v_cndmask_b32_e32 v20, v212, v20, vcc
	v_cmp_le_f32_e32 vcc, s79, v18
	s_nop 1
	v_cndmask_b32_e32 v18, 0, v20, vcc
	v_fmac_f32_e32 v22, v222, v18
	v_cvt_f16_f32_e32 v18, v18
	v_cvt_f16_f32_e32 v20, v225
	v_pk_mul_f16 v67, v18, v219 op_sel_hi:[0,1]
	v_pk_mul_f16 v25, v18, v218 op_sel_hi:[0,1]
	;; [unrolled: 1-line block ×4, first 2 shown]
	flat_load_dwordx4 v[218:221], v[4:5]
	v_lshl_add_u64 v[4:5], v[44:45], 2, s[36:37]
	v_lshl_add_u64 v[4:5], v[4:5], 0, v[90:91]
	v_cndmask_b32_e64 v5, v3, v5, s[4:5]
	v_cndmask_b32_e64 v4, v92, v4, s[4:5]
	v_pk_mul_f16 v97, v18, v97 op_sel_hi:[0,1]
	v_pk_mul_f16 v96, v18, v96 op_sel_hi:[0,1]
	;; [unrolled: 1-line block ×8, first 2 shown]
	v_cvt_f16_f32_e32 v18, v224
	v_cvt_f16_f32_e32 v217, v229
	v_pack_b32_f16 v20, v18, v20
	v_cvt_f16_f32_e32 v18, v226
	v_pack_b32_f16 v21, v18, v21
	;; [unrolled: 2-line block ×4, first 2 shown]
	s_waitcnt vmcnt(0) lgkmcnt(0)
	ds_write_b128 v49, v[218:221]
	flat_load_dwordx4 v[218:221], v[4:5]
	v_lshl_add_u64 v[4:5], v[46:47], 2, s[36:37]
	v_lshl_add_u64 v[4:5], v[4:5], 0, v[90:91]
	v_cndmask_b32_e64 v5, v3, v5, s[6:7]
	v_cndmask_b32_e64 v4, v92, v4, s[6:7]
	s_waitcnt vmcnt(0) lgkmcnt(0)
	ds_write_b128 v106, v[218:221]
	flat_load_dwordx4 v[90:93], v[4:5]
	s_waitcnt vmcnt(0) lgkmcnt(0)
	ds_write_b128 v194, v[90:93]
	s_waitcnt lgkmcnt(0)
	s_barrier
	ds_read_u16 v3, v108 offset:208
	ds_read_u16 v4, v108 offset:416
	ds_read_u16 v5, v109
	ds_read_u16 v217, v109 offset:32
	v_cvt_f32_f16_e32 v90, v97
	v_cvt_f32_f16_sdwa v91, v97 dst_sel:DWORD dst_unused:UNUSED_PAD src0_sel:WORD_1
	v_cvt_f32_f16_e32 v92, v96
	s_waitcnt lgkmcnt(1)
	v_perm_b32 v5, v5, v4, s24
	ds_read_u16 v4, v107
	ds_read_u16 v218, v107 offset:32
	v_cvt_f32_f16_sdwa v93, v96 dst_sel:DWORD dst_unused:UNUSED_PAD src0_sel:WORD_1
	ds_read_u16 v96, v107 offset:6656
	ds_read_u16 v97, v195 offset:208
	;; [unrolled: 1-line block ×4, first 2 shown]
	s_waitcnt lgkmcnt(5)
	v_perm_b32 v4, v3, v4, s24
	s_nop 1
	v_mfma_f32_16x16x16_f16 v[90:93], v[4:5], v[20:21], v[90:93]
	s_nop 6
	v_cvt_f16_f32_e32 v4, v91
	v_cvt_f16_f32_e32 v5, v92
	;; [unrolled: 1-line block ×4, first 2 shown]
	v_cvt_f32_f16_e32 v91, v4
	v_cvt_f32_f16_e32 v92, v5
	s_waitcnt lgkmcnt(0)
	v_perm_b32 v5, v220, v219, s24
	v_perm_b32 v4, v97, v96, s24
	v_cvt_f32_f16_e32 v90, v3
	v_cvt_f32_f16_e32 v93, v93
	s_nop 1
	v_mfma_f32_16x16x16_f16 v[90:93], v[4:5], v[18:19], v[90:93]
	s_nop 6
	v_cvt_f16_f32_e32 v3, v90
	v_cvt_f16_f32_e32 v4, v91
	v_cvt_f16_f32_e32 v5, v92
	v_cvt_f16_f32_e32 v90, v93
	v_cvt_f32_f16_sdwa v91, v99 dst_sel:DWORD dst_unused:UNUSED_PAD src0_sel:WORD_1
	v_pack_b32_f16 v97, v3, v4
	ds_read_u16 v3, v196 offset:208
	ds_read_u16 v4, v196 offset:416
	v_pack_b32_f16 v96, v5, v90
	v_cvt_f32_f16_e32 v90, v99
	v_cvt_f32_f16_e32 v92, v98
	v_cvt_f32_f16_sdwa v93, v98 dst_sel:DWORD dst_unused:UNUSED_PAD src0_sel:WORD_1
	s_waitcnt lgkmcnt(0)
	v_perm_b32 v5, v217, v4, s24
	v_perm_b32 v4, v3, v218, s24
	ds_read_u16 v98, v110 offset:6656
	ds_read_u16 v99, v111 offset:208
	ds_read_u16 v217, v111 offset:416
	ds_read_u16 v218, v112 offset:6656
	v_mfma_f32_16x16x16_f16 v[90:93], v[4:5], v[20:21], v[90:93]
	s_nop 6
	v_cvt_f16_f32_e32 v4, v91
	v_cvt_f16_f32_e32 v5, v92
	v_cvt_f16_f32_e32 v3, v90
	v_cvt_f16_f32_e32 v93, v93
	v_cvt_f32_f16_e32 v91, v4
	v_cvt_f32_f16_e32 v92, v5
	s_waitcnt lgkmcnt(0)
	v_perm_b32 v5, v218, v217, s24
	v_perm_b32 v4, v99, v98, s24
	v_cvt_f32_f16_e32 v90, v3
	v_cvt_f32_f16_e32 v93, v93
	s_nop 1
	v_mfma_f32_16x16x16_f16 v[90:93], v[4:5], v[18:19], v[90:93]
	s_nop 6
	v_cvt_f16_f32_e32 v3, v90
	v_cvt_f16_f32_e32 v4, v91
	v_cvt_f16_f32_e32 v5, v92
	v_cvt_f16_f32_e32 v90, v93
	v_cvt_f32_f16_sdwa v91, v215 dst_sel:DWORD dst_unused:UNUSED_PAD src0_sel:WORD_1
	v_pack_b32_f16 v99, v3, v4
	v_cvt_f32_f16_e32 v92, v214
	v_pack_b32_f16 v98, v5, v90
	ds_read_u16 v3, v107 offset:64
	ds_read_u16 v4, v197 offset:208
	ds_read_u16 v5, v197 offset:416
	ds_read_u16 v217, v109 offset:64
	v_cvt_f32_f16_e32 v90, v215
	v_cvt_f32_f16_sdwa v93, v214 dst_sel:DWORD dst_unused:UNUSED_PAD src0_sel:WORD_1
	s_waitcnt lgkmcnt(2)
	v_perm_b32 v4, v4, v3, s24
	s_waitcnt lgkmcnt(0)
	v_perm_b32 v5, v217, v5, s24
	ds_read_u16 v214, v113 offset:6656
	ds_read_u16 v215, v114 offset:208
	ds_read_u16 v217, v114 offset:416
	ds_read_u16 v218, v115 offset:6656
	v_mfma_f32_16x16x16_f16 v[90:93], v[4:5], v[20:21], v[90:93]
	s_nop 6
	v_cvt_f16_f32_e32 v4, v91
	v_cvt_f16_f32_e32 v5, v92
	v_cvt_f16_f32_e32 v3, v90
	v_cvt_f16_f32_e32 v93, v93
	v_cvt_f32_f16_e32 v91, v4
	v_cvt_f32_f16_e32 v92, v5
	s_waitcnt lgkmcnt(0)
	v_perm_b32 v5, v218, v217, s24
	v_perm_b32 v4, v215, v214, s24
	v_cvt_f32_f16_e32 v90, v3
	v_cvt_f32_f16_e32 v93, v93
	s_nop 1
	v_mfma_f32_16x16x16_f16 v[90:93], v[4:5], v[18:19], v[90:93]
	s_nop 6
	v_cvt_f16_f32_e32 v3, v90
	v_cvt_f16_f32_e32 v4, v91
	v_cvt_f16_f32_e32 v5, v92
	v_cvt_f16_f32_e32 v90, v93
	v_cvt_f32_f16_sdwa v91, v222 dst_sel:DWORD dst_unused:UNUSED_PAD src0_sel:WORD_1
	v_pack_b32_f16 v215, v3, v4
	v_cvt_f32_f16_e32 v92, v216
	v_pack_b32_f16 v214, v5, v90
	ds_read_u16 v3, v107 offset:96
	ds_read_u16 v4, v198 offset:208
	ds_read_u16 v5, v198 offset:416
	ds_read_u16 v217, v109 offset:96
	v_cvt_f32_f16_e32 v90, v222
	v_cvt_f32_f16_sdwa v93, v216 dst_sel:DWORD dst_unused:UNUSED_PAD src0_sel:WORD_1
	s_waitcnt lgkmcnt(2)
	v_perm_b32 v4, v4, v3, s24
	s_waitcnt lgkmcnt(0)
	;; [unrolled: 38-line block ×3, first 2 shown]
	v_perm_b32 v5, v218, v5, s24
	ds_read_u16 v67, v119 offset:6656
	ds_read_u16 v218, v120 offset:208
	;; [unrolled: 1-line block ×4, first 2 shown]
	v_mfma_f32_16x16x16_f16 v[90:93], v[4:5], v[20:21], v[90:93]
	s_nop 6
	v_cvt_f16_f32_e32 v4, v91
	v_cvt_f16_f32_e32 v5, v92
	;; [unrolled: 1-line block ×4, first 2 shown]
	v_cvt_f32_f16_e32 v91, v4
	v_cvt_f32_f16_e32 v92, v5
	s_waitcnt lgkmcnt(0)
	v_perm_b32 v5, v220, v219, s24
	v_perm_b32 v4, v218, v67, s24
	v_cvt_f32_f16_e32 v90, v3
	v_cvt_f32_f16_e32 v93, v25
	s_nop 1
	v_mfma_f32_16x16x16_f16 v[90:93], v[4:5], v[18:19], v[90:93]
	s_nop 6
	v_cvt_f16_f32_e32 v3, v90
	v_cvt_f16_f32_e32 v4, v91
	;; [unrolled: 1-line block ×4, first 2 shown]
	v_cvt_f32_f16_e32 v90, v24
	v_pack_b32_f16 v219, v3, v4
	v_cvt_f32_f16_sdwa v91, v24 dst_sel:DWORD dst_unused:UNUSED_PAD src0_sel:WORD_1
	v_pack_b32_f16 v218, v5, v25
	ds_read_u16 v3, v107 offset:160
	ds_read_u16 v4, v200 offset:208
	;; [unrolled: 1-line block ×4, first 2 shown]
	v_cvt_f32_f16_e32 v92, v23
	v_cvt_f32_f16_sdwa v93, v23 dst_sel:DWORD dst_unused:UNUSED_PAD src0_sel:WORD_1
	s_waitcnt lgkmcnt(2)
	v_perm_b32 v4, v4, v3, s24
	s_waitcnt lgkmcnt(0)
	v_perm_b32 v5, v25, v5, s24
	s_nop 1
	v_mfma_f32_16x16x16_f16 v[90:93], v[4:5], v[20:21], v[90:93]
	ds_read_u16 v21, v122 offset:6656
	ds_read_u16 v23, v123 offset:208
	;; [unrolled: 1-line block ×4, first 2 shown]
	s_waitcnt lgkmcnt(0)
	s_barrier
	s_nop 0
	v_cvt_f16_f32_e32 v4, v91
	v_cvt_f16_f32_e32 v5, v92
	v_cvt_f16_f32_e32 v3, v90
	v_cvt_f16_f32_e32 v20, v93
	v_cvt_f32_f16_e32 v91, v4
	v_cvt_f32_f16_e32 v92, v5
	v_perm_b32 v5, v25, v24, s24
	v_perm_b32 v4, v23, v21, s24
	v_cvt_f32_f16_e32 v90, v3
	v_cvt_f32_f16_e32 v93, v20
	s_nop 1
	v_mfma_f32_16x16x16_f16 v[18:21], v[4:5], v[18:19], v[90:93]
	s_nop 6
	v_cvt_f16_f32_e32 v3, v18
	v_cvt_f16_f32_e32 v4, v19
	;; [unrolled: 1-line block ×4, first 2 shown]
	v_pack_b32_f16 v221, v3, v4
	v_pack_b32_f16 v220, v5, v18
	s_cbranch_scc0 .LBB14_60
; %bb.57:                               ;   in Loop: Header=BB14_48 Depth=2
	v_mov_b32_e32 v222, v22
	v_mov_b32_e32 v223, v1
	s_branch .LBB14_48
.LBB14_58:                              ;   in Loop: Header=BB14_14 Depth=1
	s_cbranch_execz .LBB14_13
	s_branch .LBB14_140
.LBB14_59:                              ;   in Loop: Header=BB14_14 Depth=1
	v_mov_b32_e32 v22, 0
	v_mov_b32_e32 v1, 0xfeffffff
	;; [unrolled: 1-line block ×13, first 2 shown]
.LBB14_60:                              ;   in Loop: Header=BB14_14 Depth=1
	s_lshl_b32 s42, s42, 6
	v_readlane_b32 s26, v238, 4
	v_cmp_eq_u64_e32 vcc, 0, v[68:69]
	s_sub_i32 s54, s26, s42
	v_cmp_ne_u64_e64 s[40:41], 0, v[68:69]
	s_ashr_i32 s43, s42, 31
	v_readlane_b32 s27, v238, 5
	s_cbranch_vccnz .LBB14_70
; %bb.61:                               ;   in Loop: Header=BB14_14 Depth=1
	v_cmp_le_i32_e32 vcc, s54, v26
                                        ; implicit-def: $sgpr34
	s_and_saveexec_b64 s[26:27], vcc
	s_xor_b64 s[26:27], exec, s[26:27]
	s_cbranch_execz .LBB14_63
; %bb.62:                               ;   in Loop: Header=BB14_14 Depth=1
	ds_write_b16 v140, v2 offset:13312
	ds_write_b16 v180, v2 offset:13312
	s_mov_b32 s34, 0
.LBB14_63:                              ;   in Loop: Header=BB14_14 Depth=1
	s_or_saveexec_b64 s[26:27], s[26:27]
	s_lshl_b64 s[36:37], s[42:43], 1
	v_lshl_add_u64 v[4:5], v[68:69], 0, s[36:37]
	v_lshlrev_b32_e32 v18, 1, v26
	v_mov_b32_e32 v19, v2
	v_lshl_add_u64 v[4:5], v[4:5], 0, v[18:19]
	v_mov_b32_e32 v3, s34
	v_mov_b32_e32 v18, s34
	s_xor_b64 exec, exec, s[26:27]
	s_cbranch_execz .LBB14_65
; %bb.64:                               ;   in Loop: Header=BB14_14 Depth=1
	v_add_u32_e32 v3, s80, v101
	v_mul_hi_u32 v18, s88, v3
	v_add_u32_e32 v18, v3, v18
	v_lshrrev_b32_e32 v18, s89, v18
	v_mul_lo_u32 v18, v18, s72
	v_readlane_b32 s34, v238, 60
	v_sub_u32_e32 v3, v3, v18
	v_readlane_b32 s35, v238, 61
	s_mov_b32 s36, s34
	v_mad_i64_i32 v[18:19], s[34:35], v3, s36, 0
	v_lshl_add_u64 v[18:19], v[18:19], 1, v[4:5]
	flat_load_ushort v3, v[18:19]
	v_add_u32_e32 v18, s80, v179
	v_mul_hi_u32 v19, s88, v18
	v_add_u32_e32 v19, v18, v19
	v_lshrrev_b32_e32 v19, s89, v19
	v_mul_lo_u32 v19, v19, s72
	v_sub_u32_e32 v18, v18, v19
	v_mad_i64_i32 v[18:19], s[34:35], v18, s36, 0
	v_lshl_add_u64 v[18:19], v[18:19], 1, v[4:5]
	flat_load_ushort v18, v[18:19]
	s_waitcnt vmcnt(0) lgkmcnt(0)
	ds_write_b16 v140, v3 offset:13312
	ds_write_b16 v180, v18 offset:13312
	v_add_u32_e32 v3, s80, v181
	v_mul_hi_u32 v18, s88, v3
	v_add_u32_e32 v18, v3, v18
	v_lshrrev_b32_e32 v18, s89, v18
	v_mul_lo_u32 v18, v18, s72
	v_sub_u32_e32 v3, v3, v18
	v_mad_i64_i32 v[18:19], s[34:35], v3, s36, 0
	v_lshl_add_u64 v[18:19], v[18:19], 1, v[4:5]
	flat_load_ushort v3, v[18:19]
	v_add_u32_e32 v18, s80, v183
	v_mul_hi_u32 v19, s88, v18
	v_add_u32_e32 v19, v18, v19
	v_lshrrev_b32_e32 v19, s89, v19
	v_mul_lo_u32 v19, v19, s72
	v_sub_u32_e32 v18, v18, v19
	v_mad_i64_i32 v[18:19], s[34:35], v18, s36, 0
	v_lshl_add_u64 v[18:19], v[18:19], 1, v[4:5]
	flat_load_ushort v18, v[18:19]
.LBB14_65:                              ;   in Loop: Header=BB14_14 Depth=1
	s_or_b64 exec, exec, s[26:27]
	s_waitcnt vmcnt(0) lgkmcnt(0)
	ds_write_b16 v182, v3 offset:13312
	ds_write_b16 v184, v18 offset:13312
                                        ; implicit-def: $sgpr34
	s_and_saveexec_b64 s[26:27], vcc
	s_xor_b64 s[26:27], exec, s[26:27]
	s_cbranch_execz .LBB14_67
; %bb.66:                               ;   in Loop: Header=BB14_14 Depth=1
	ds_write_b16 v186, v2 offset:13312
	ds_write_b16 v188, v2 offset:13312
	s_mov_b32 s34, 0
                                        ; implicit-def: $vgpr4_vgpr5
.LBB14_67:                              ;   in Loop: Header=BB14_14 Depth=1
	s_or_saveexec_b64 s[26:27], s[26:27]
	v_mov_b32_e32 v3, s34
	v_mov_b32_e32 v18, s34
	s_xor_b64 exec, exec, s[26:27]
	s_cbranch_execz .LBB14_69
; %bb.68:                               ;   in Loop: Header=BB14_14 Depth=1
	v_add_u32_e32 v3, s80, v185
	v_mul_hi_u32 v18, s88, v3
	v_add_u32_e32 v18, v3, v18
	v_lshrrev_b32_e32 v18, s89, v18
	v_mul_lo_u32 v18, v18, s72
	v_readlane_b32 s34, v238, 60
	v_sub_u32_e32 v3, v3, v18
	v_readlane_b32 s35, v238, 61
	s_mov_b32 s36, s34
	v_mad_i64_i32 v[18:19], s[34:35], v3, s36, 0
	v_lshl_add_u64 v[18:19], v[18:19], 1, v[4:5]
	flat_load_ushort v3, v[18:19]
	v_add_u32_e32 v18, s80, v187
	v_mul_hi_u32 v19, s88, v18
	v_add_u32_e32 v19, v18, v19
	v_lshrrev_b32_e32 v19, s89, v19
	v_mul_lo_u32 v19, v19, s72
	v_sub_u32_e32 v18, v18, v19
	v_mad_i64_i32 v[18:19], s[34:35], v18, s36, 0
	v_lshl_add_u64 v[18:19], v[18:19], 1, v[4:5]
	flat_load_ushort v18, v[18:19]
	s_waitcnt vmcnt(0) lgkmcnt(0)
	ds_write_b16 v186, v3 offset:13312
	ds_write_b16 v188, v18 offset:13312
	v_add_u32_e32 v3, s80, v189
	v_mul_hi_u32 v18, s88, v3
	v_add_u32_e32 v18, v3, v18
	v_lshrrev_b32_e32 v18, s89, v18
	v_mul_lo_u32 v18, v18, s72
	v_sub_u32_e32 v3, v3, v18
	v_mad_i64_i32 v[18:19], s[34:35], v3, s36, 0
	v_lshl_add_u64 v[18:19], v[18:19], 1, v[4:5]
	flat_load_ushort v3, v[18:19]
	v_add_u32_e32 v18, s80, v191
	v_mul_hi_u32 v19, s88, v18
	v_add_u32_e32 v19, v18, v19
	v_lshrrev_b32_e32 v19, s89, v19
	v_mul_lo_u32 v19, v19, s72
	v_sub_u32_e32 v18, v18, v19
	v_mad_i64_i32 v[18:19], s[34:35], v18, s36, 0
	v_lshl_add_u64 v[4:5], v[18:19], 1, v[4:5]
	flat_load_ushort v18, v[4:5]
.LBB14_69:                              ;   in Loop: Header=BB14_14 Depth=1
	s_or_b64 exec, exec, s[26:27]
	s_waitcnt vmcnt(0) lgkmcnt(0)
	ds_write_b16 v190, v3 offset:13312
	ds_write_b16 v192, v18 offset:13312
.LBB14_70:                              ;   in Loop: Header=BB14_14 Depth=1
	s_mul_hi_i32 s27, s42, s86
	s_mul_i32 s26, s42, s86
	s_lshl_b64 s[26:27], s[26:27], 2
	s_add_u32 s26, s99, s26
	s_addc_u32 s27, s78, s27
	v_lshl_add_u64 v[18:19], v[36:37], 2, s[26:27]
	v_lshlrev_b32_e32 v20, 2, v30
	v_mov_b32_e32 v21, v2
	v_lshl_add_u64 v[18:19], v[18:19], 0, v[20:21]
	v_mov_b32_e32 v3, v2
	v_mov_b32_e32 v4, v2
	;; [unrolled: 1-line block ×3, first 2 shown]
	v_lshl_add_u64 v[18:19], v[18:19], 0, s[84:85]
	v_mov_b32_e32 v23, s83
	v_cmp_gt_i32_e64 s[38:39], s54, v33
	v_mov_b32_e32 v67, s82
	scratch_store_dwordx4 off, v[2:5], off
	v_cndmask_b32_e64 v19, v23, v19, s[38:39]
	v_cndmask_b32_e64 v18, v67, v18, s[38:39]
	flat_load_dwordx4 v[70:73], v[18:19]
	v_lshlrev_b32_e32 v18, 2, v32
	v_mov_b32_e32 v19, v2
	v_lshl_add_u64 v[24:25], v[38:39], 2, s[26:27]
	v_lshl_add_u64 v[24:25], v[24:25], 0, v[18:19]
	v_cmp_gt_i32_e64 s[36:37], s54, v105
	v_cmp_gt_i32_e64 s[34:35], s54, v193
	s_andn2_b64 vcc, exec, s[40:41]
	v_cndmask_b32_e64 v25, v23, v25, s[36:37]
	v_cndmask_b32_e64 v24, v67, v24, s[36:37]
	s_waitcnt vmcnt(0) lgkmcnt(0)
	ds_write_b128 v49, v[70:73]
	flat_load_dwordx4 v[70:73], v[24:25]
	v_lshl_add_u64 v[24:25], v[40:41], 2, s[26:27]
	v_lshl_add_u64 v[24:25], v[24:25], 0, v[18:19]
	v_cndmask_b32_e64 v25, v23, v25, s[34:35]
	v_cndmask_b32_e64 v24, v67, v24, s[34:35]
	v_add_u32_e32 v23, v27, v142
	s_waitcnt vmcnt(0) lgkmcnt(0)
	ds_write_b128 v106, v[70:73]
	flat_load_dwordx4 v[70:73], v[24:25]
	v_add_u32_e32 v24, 0x1800, v23
	s_waitcnt vmcnt(0) lgkmcnt(0)
	ds_write_b128 v194, v[70:73]
	s_waitcnt lgkmcnt(0)
	s_barrier
	ds_read2_b64 v[70:73], v23 offset1:4
	ds_read2_b64 v[78:81], v24 offset0:64 offset1:68
	s_waitcnt lgkmcnt(1)
	v_mfma_f32_16x16x16_f16 v[74:77], v[70:71], v[14:15], 0
	s_waitcnt lgkmcnt(0)
	v_mfma_f32_16x16x16_f16 v[82:85], v[78:79], v[14:15], 0
	v_mfma_f32_16x16x16_f16 v[70:73], v[72:73], v[16:17], v[74:77]
	;; [unrolled: 1-line block ×3, first 2 shown]
	s_nop 2
	ds_read2_b64 v[74:77], v23 offset0:8 offset1:12
	ds_read2_b64 v[78:81], v24 offset0:72 offset1:76
	s_waitcnt lgkmcnt(1)
	v_mfma_f32_16x16x16_f16 v[70:73], v[74:75], v[10:11], v[70:73]
	s_waitcnt lgkmcnt(0)
	v_mfma_f32_16x16x16_f16 v[14:17], v[78:79], v[10:11], v[14:17]
	v_mfma_f32_16x16x16_f16 v[70:73], v[76:77], v[12:13], v[70:73]
	ds_read2_b64 v[74:77], v24 offset0:80 offset1:84
	v_mfma_f32_16x16x16_f16 v[10:13], v[80:81], v[12:13], v[14:17]
	s_nop 3
	ds_read2_b64 v[14:17], v23 offset0:16 offset1:20
	s_waitcnt lgkmcnt(0)
	v_mfma_f32_16x16x16_f16 v[70:73], v[14:15], v[6:7], v[70:73]
	s_barrier
	v_mfma_f32_16x16x16_f16 v[78:81], v[74:75], v[6:7], v[10:13]
	v_mfma_f32_16x16x16_f16 v[10:13], v[16:17], v[8:9], v[70:73]
	v_mfma_f32_16x16x16_f16 v[6:9], v[76:77], v[8:9], v[78:81]
	s_cbranch_vccnz .LBB14_72
; %bb.71:                               ;   in Loop: Header=BB14_14 Depth=1
	v_add_u32_e32 v14, 0x3400, v144
	ds_read2_b32 v[14:15], v14 offset1:1
	s_waitcnt lgkmcnt(0)
	v_cvt_f32_f16_e32 v16, v14
	v_cvt_f32_f16_sdwa v17, v14 dst_sel:DWORD dst_unused:UNUSED_PAD src0_sel:WORD_1
	v_cvt_f32_f16_e32 v14, v15
	v_cvt_f32_f16_sdwa v15, v15 dst_sel:DWORD dst_unused:UNUSED_PAD src0_sel:WORD_1
	v_pk_fma_f32 v[10:11], v[66:67], v[16:17], v[10:11] op_sel_hi:[0,1,1]
	ds_read_b32 v16, v148 offset:13312
	v_pk_fma_f32 v[12:13], v[66:67], v[14:15], v[12:13] op_sel_hi:[0,1,1]
	ds_read_b32 v14, v146 offset:13312
	s_waitcnt lgkmcnt(1)
	v_cvt_f32_f16_sdwa v17, v16 dst_sel:DWORD dst_unused:UNUSED_PAD src0_sel:WORD_1
	v_cvt_f32_f16_e32 v16, v16
	s_waitcnt lgkmcnt(0)
	v_cvt_f32_f16_sdwa v15, v14 dst_sel:DWORD dst_unused:UNUSED_PAD src0_sel:WORD_1
	v_cvt_f32_f16_e32 v14, v14
	v_pk_fma_f32 v[8:9], v[66:67], v[16:17], v[8:9] op_sel_hi:[0,1,1]
	v_pk_fma_f32 v[6:7], v[66:67], v[14:15], v[6:7] op_sel_hi:[0,1,1]
.LBB14_72:                              ;   in Loop: Header=BB14_14 Depth=1
	s_nop 4
	v_add_f32_e32 v14, 0x40051340, v10
	v_max_f32_e32 v15, v1, v1
	v_max_f32_e32 v14, v15, v14
	v_cmp_gt_u32_e64 s[40:41], s54, v141
	s_mul_hi_i32 s27, s42, s74
	s_mul_i32 s26, s42, s74
	v_cndmask_b32_e64 v14, v1, v14, s[40:41]
	s_lshl_b64 s[26:27], s[26:27], 2
	v_add_f32_e32 v15, 0x40051340, v11
	v_max_f32_e32 v16, v14, v14
	s_add_u32 s26, s91, s26
	v_max_f32_e32 v15, v16, v15
	v_cmp_gt_u32_e32 vcc, s54, v201
	s_addc_u32 s27, s3, s27
	scratch_store_dwordx4 off, v[2:5], off
	v_cndmask_b32_e32 v14, v14, v15, vcc
	v_add_f32_e32 v15, 0x40051340, v12
	v_lshl_add_u64 v[4:5], v[42:43], 2, s[26:27]
	v_max_f32_e32 v16, v14, v14
	v_lshl_add_u64 v[4:5], v[4:5], 0, v[20:21]
	v_max_f32_e32 v15, v16, v15
	v_lshl_add_u64 v[4:5], v[4:5], 0, s[84:85]
	v_mov_b32_e32 v16, s83
	v_mov_b32_e32 v20, s82
	v_cndmask_b32_e64 v5, v16, v5, s[38:39]
	v_cndmask_b32_e64 v4, v20, v4, s[38:39]
	flat_load_dwordx4 v[70:73], v[4:5]
	v_cmp_gt_u32_e64 s[50:51], s54, v202
	v_add_f32_e32 v4, 0x40051340, v13
	v_cmp_gt_u32_e64 s[48:49], s54, v203
	v_cndmask_b32_e64 v3, v14, v15, s[50:51]
	v_max_f32_e32 v5, v3, v3
	v_max_f32_e32 v4, v5, v4
	v_cndmask_b32_e64 v3, v3, v4, s[48:49]
	v_add_f32_e32 v4, 0x40051340, v6
	v_max_f32_e32 v5, v3, v3
	v_max_f32_e32 v4, v5, v4
	v_cmp_gt_u32_e64 s[46:47], s54, v145
	v_cmp_gt_u32_e64 s[44:45], s54, v204
	;; [unrolled: 1-line block ×3, first 2 shown]
	v_cndmask_b32_e64 v3, v3, v4, s[46:47]
	v_add_f32_e32 v4, 0x40051340, v7
	v_max_f32_e32 v5, v3, v3
	v_max_f32_e32 v4, v5, v4
	v_cndmask_b32_e64 v3, v3, v4, s[44:45]
	v_add_f32_e32 v4, 0x40051340, v8
	v_max_f32_e32 v5, v3, v3
	v_max_f32_e32 v4, v5, v4
	;; [unrolled: 4-line block ×3, first 2 shown]
	v_cmp_gt_u32_e64 s[38:39], s54, v205
	v_xor_b32_e32 v5, 32, v178
	v_cndmask_b32_e32 v12, v12, v12, vcc
	v_cndmask_b32_e64 v3, v3, v4, s[38:39]
	v_and_b32_e32 v4, 64, v178
	v_add_u32_e32 v4, 64, v4
	v_cmp_lt_i32_e64 s[54:55], v5, v4
	v_cndmask_b32_e32 v13, v13, v13, vcc
	v_cndmask_b32_e64 v7, v7, v7, s[46:47]
	v_cndmask_b32_e64 v5, v178, v5, s[54:55]
	v_lshlrev_b32_e32 v5, 2, v5
	ds_bpermute_b32 v14, v5, v3
	v_max_f32_e32 v3, v3, v3
	s_cmp_eq_u64 s[28:29], 0
	s_waitcnt lgkmcnt(0)
	v_max_f32_e32 v14, v14, v14
	v_max_f32_e32 v3, v3, v14
	v_xor_b32_e32 v14, 16, v178
	v_cmp_lt_i32_e64 s[54:55], v14, v4
	s_waitcnt vmcnt(0)
	ds_write_b128 v49, v[70:73]
	v_cndmask_b32_e64 v4, v178, v14, s[54:55]
	v_lshlrev_b32_e32 v17, 2, v4
	ds_bpermute_b32 v4, v17, v3
	s_waitcnt lgkmcnt(0)
	v_max_f32_e32 v4, v4, v4
	v_max_f32_e32 v4, v3, v4
	v_sub_f32_e32 v3, v10, v4
	v_mul_f32_e32 v10, 0x3fb8aa3b, v3
	v_fma_f32 v14, v3, s76, -v10
	v_rndne_f32_e32 v15, v10
	v_fmac_f32_e32 v14, 0x32a5705f, v3
	v_sub_f32_e32 v10, v10, v15
	v_add_f32_e32 v10, v10, v14
	v_exp_f32_e32 v10, v10
	v_cvt_i32_f32_e32 v14, v15
	v_sub_f32_e32 v11, v11, v4
	v_cmp_ngt_f32_e64 s[54:55], s77, v3
	v_sub_f32_e32 v12, v12, v4
	v_ldexp_f32 v10, v10, v14
	v_mul_f32_e32 v14, 0x3fb8aa3b, v11
	v_fma_f32 v15, v11, s76, -v14
	v_rndne_f32_e32 v21, v14
	v_fmac_f32_e32 v15, 0x32a5705f, v11
	v_sub_f32_e32 v14, v14, v21
	v_add_f32_e32 v14, v14, v15
	v_exp_f32_e32 v14, v14
	v_cvt_i32_f32_e32 v15, v21
	v_cndmask_b32_e64 v10, 0, v10, s[54:55]
	v_cmp_nlt_f32_e64 s[54:55], s73, v3
	v_sub_f32_e32 v13, v13, v4
	v_sub_f32_e32 v6, v6, v4
	v_cndmask_b32_e64 v3, v212, v10, s[54:55]
	v_cndmask_b32_e64 v10, 0, v3, s[40:41]
	v_ldexp_f32 v3, v14, v15
	v_lshl_add_u64 v[14:15], v[44:45], 2, s[26:27]
	v_lshl_add_u64 v[14:15], v[14:15], 0, v[18:19]
	v_cndmask_b32_e64 v15, v16, v15, s[36:37]
	v_cndmask_b32_e64 v14, v20, v14, s[36:37]
	flat_load_dwordx4 v[70:73], v[14:15]
	v_mul_f32_e32 v15, 0x3fb8aa3b, v12
	v_fma_f32 v21, v12, s76, -v15
	v_rndne_f32_e32 v23, v15
	v_fmac_f32_e32 v21, 0x32a5705f, v12
	v_sub_f32_e32 v15, v15, v23
	v_add_f32_e32 v15, v15, v21
	v_cmp_ngt_f32_e64 s[36:37], s77, v11
	v_exp_f32_e32 v15, v15
	v_cvt_i32_f32_e32 v21, v23
	v_cndmask_b32_e64 v3, 0, v3, s[36:37]
	v_cmp_nlt_f32_e64 s[36:37], s73, v11
	v_sub_f32_e32 v1, v1, v4
	s_waitcnt vmcnt(0) lgkmcnt(0)
	ds_write_b128 v106, v[70:73]
	v_cndmask_b32_e64 v11, v212, v3, s[36:37]
	v_add_f32_e32 v14, v11, v10
	v_mov_b32_e32 v3, s81
	v_cndmask_b32_e32 v11, v3, v11, vcc
	v_cndmask_b32_e32 v3, v10, v14, vcc
	v_ldexp_f32 v14, v15, v21
	v_cmp_ngt_f32_e32 vcc, s77, v12
	v_cvt_f16_f32_e32 v10, v10
	v_cvt_f16_f32_e32 v11, v11
	v_cndmask_b32_e32 v14, 0, v14, vcc
	v_cmp_nlt_f32_e32 vcc, s73, v12
	v_mul_f32_e32 v12, 0x3fb8aa3b, v13
	v_fma_f32 v21, v13, s76, -v12
	v_rndne_f32_e32 v23, v12
	v_fmac_f32_e32 v21, 0x32a5705f, v13
	v_sub_f32_e32 v12, v12, v23
	v_add_f32_e32 v12, v12, v21
	v_exp_f32_e32 v21, v12
	v_cvt_i32_f32_e32 v23, v23
	v_cndmask_b32_e32 v14, v212, v14, vcc
	v_add_f32_e32 v15, v3, v14
	v_mov_b32_e32 v12, s81
	v_cndmask_b32_e64 v14, v12, v14, s[50:51]
	v_cndmask_b32_e64 v12, v3, v15, s[50:51]
	v_ldexp_f32 v3, v21, v23
	v_cmp_ngt_f32_e32 vcc, s77, v13
	s_nop 1
	v_cndmask_b32_e32 v3, 0, v3, vcc
	v_cmp_nlt_f32_e32 vcc, s73, v13
	s_nop 1
	v_cndmask_b32_e32 v13, v212, v3, vcc
	v_mul_f32_e32 v3, 0x3fb8aa3b, v6
	v_fma_f32 v21, v6, s76, -v3
	v_rndne_f32_e32 v23, v3
	v_fmac_f32_e32 v21, 0x32a5705f, v6
	v_sub_f32_e32 v3, v3, v23
	v_add_f32_e32 v3, v3, v21
	v_exp_f32_e32 v21, v3
	v_cvt_i32_f32_e32 v23, v23
	v_add_f32_e32 v15, v12, v13
	v_mov_b32_e32 v3, s81
	v_cndmask_b32_e64 v13, v3, v13, s[48:49]
	v_cndmask_b32_e64 v3, v12, v15, s[48:49]
	v_ldexp_f32 v12, v21, v23
	v_sub_f32_e32 v23, v7, v4
	v_mul_f32_e32 v7, 0x3fb8aa3b, v23
	v_cndmask_b32_e64 v21, v9, v9, s[46:47]
	v_fma_f32 v9, v23, s76, -v7
	v_rndne_f32_e32 v24, v7
	v_fmac_f32_e32 v9, 0x32a5705f, v23
	v_sub_f32_e32 v7, v7, v24
	v_add_f32_e32 v7, v7, v9
	v_cmp_ngt_f32_e32 vcc, s77, v6
	v_exp_f32_e32 v7, v7
	v_cvt_i32_f32_e32 v9, v24
	v_cndmask_b32_e32 v12, 0, v12, vcc
	v_cmp_nlt_f32_e32 vcc, s73, v6
	v_mov_b32_e32 v6, s81
	v_cndmask_b32_e64 v24, v8, v8, s[46:47]
	v_cndmask_b32_e32 v12, v212, v12, vcc
	v_add_f32_e32 v15, v12, v3
	v_cndmask_b32_e64 v25, v6, v12, s[46:47]
	v_cndmask_b32_e64 v12, v3, v15, s[46:47]
	v_ldexp_f32 v3, v7, v9
	v_lshl_add_u64 v[6:7], v[46:47], 2, s[26:27]
	v_lshl_add_u64 v[6:7], v[6:7], 0, v[18:19]
	v_cndmask_b32_e64 v7, v16, v7, s[34:35]
	v_cndmask_b32_e64 v6, v20, v6, s[34:35]
	flat_load_dwordx4 v[6:9], v[6:7]
	v_cmp_ngt_f32_e32 vcc, s77, v23
	v_sub_f32_e32 v18, v24, v4
	v_cvt_f16_f32_e32 v13, v13
	v_cndmask_b32_e32 v3, 0, v3, vcc
	v_cmp_nlt_f32_e32 vcc, s73, v23
	s_cselect_b64 s[26:27], -1, 0
	s_waitcnt vmcnt(0) lgkmcnt(0)
	ds_write_b128 v194, v[6:9]
	v_cndmask_b32_e32 v15, v212, v3, vcc
	v_mul_f32_e32 v3, 0x3fb8aa3b, v18
	v_fma_f32 v19, v18, s76, -v3
	v_rndne_f32_e32 v20, v3
	v_fmac_f32_e32 v19, 0x32a5705f, v18
	v_sub_f32_e32 v3, v3, v20
	v_add_f32_e32 v3, v3, v19
	v_exp_f32_e32 v19, v3
	v_cvt_i32_f32_e32 v20, v20
	v_add_f32_e32 v16, v15, v12
	v_mov_b32_e32 v3, s81
	v_cndmask_b32_e64 v23, v3, v15, s[44:45]
	v_cndmask_b32_e64 v3, v12, v16, s[44:45]
	v_ldexp_f32 v12, v19, v20
	v_cmp_ngt_f32_e32 vcc, s77, v18
	s_waitcnt lgkmcnt(0)
	s_barrier
	v_cndmask_b32_e32 v12, 0, v12, vcc
	v_cmp_nlt_f32_e32 vcc, s73, v18
	v_sub_f32_e32 v18, v21, v4
	s_nop 0
	v_cndmask_b32_e32 v15, v212, v12, vcc
	v_mul_f32_e32 v12, 0x3fb8aa3b, v18
	v_fma_f32 v19, v18, s76, -v12
	v_rndne_f32_e32 v20, v12
	v_fmac_f32_e32 v19, 0x32a5705f, v18
	v_sub_f32_e32 v12, v12, v20
	v_add_f32_e32 v12, v12, v19
	v_exp_f32_e32 v19, v12
	v_cvt_i32_f32_e32 v20, v20
	v_add_f32_e32 v16, v15, v3
	v_mov_b32_e32 v12, s81
	v_cndmask_b32_e64 v12, v12, v15, s[42:43]
	v_cndmask_b32_e64 v15, v3, v16, s[42:43]
	v_mul_f32_e32 v16, 0x3fb8aa3b, v1
	v_ldexp_f32 v3, v19, v20
	v_fma_f32 v19, v1, s76, -v16
	v_rndne_f32_e32 v20, v16
	v_fmac_f32_e32 v19, 0x32a5705f, v1
	v_sub_f32_e32 v16, v16, v20
	v_add_f32_e32 v16, v16, v19
	v_exp_f32_e32 v16, v16
	v_cvt_i32_f32_e32 v19, v20
	v_cmp_ngt_f32_e32 vcc, s77, v18
	ds_read_u16 v9, v108 offset:208
	v_cvt_f16_f32_e32 v12, v12
	v_cndmask_b32_e32 v3, 0, v3, vcc
	v_cmp_nlt_f32_e32 vcc, s73, v18
	v_ldexp_f32 v16, v16, v19
	s_nop 0
	v_cndmask_b32_e32 v18, v212, v3, vcc
	v_cmp_ngt_f32_e32 vcc, s77, v1
	v_add_f32_e32 v20, v18, v15
	v_cndmask_b32_e64 v67, v15, v20, s[38:39]
	v_cndmask_b32_e32 v16, 0, v16, vcc
	v_cmp_nlt_f32_e32 vcc, s73, v1
	v_cvt_f16_f32_e32 v15, v14
	v_mov_b32_e32 v3, s81
	v_cndmask_b32_e32 v16, v212, v16, vcc
	v_cmp_le_f32_e32 vcc, s79, v1
	v_pack_b32_f16 v14, v10, v11
	v_pack_b32_f16 v15, v15, v13
	v_cndmask_b32_e32 v1, 0, v16, vcc
	v_cvt_f16_f32_e32 v16, v1
	v_fmac_f32_e32 v67, v22, v1
	v_cvt_f16_f32_e32 v13, v25
	v_cndmask_b32_e64 v3, v3, v18, s[38:39]
	v_pk_mul_f16 v1, v16, v97 op_sel_hi:[0,1]
	v_cvt_f32_f16_e32 v6, v1
	v_cvt_f32_f16_sdwa v7, v1 dst_sel:DWORD dst_unused:UNUSED_PAD src0_sel:WORD_1
	ds_read_u16 v1, v108 offset:416
	ds_read_u16 v10, v109
	ds_read_u16 v25, v109 offset:32
	ds_read_u16 v75, v109 offset:64
	;; [unrolled: 1-line block ×6, first 2 shown]
	v_pk_mul_f16 v18, v16, v96 op_sel_hi:[0,1]
	s_waitcnt lgkmcnt(6)
	v_perm_b32 v11, v10, v1, s24
	ds_read_u16 v1, v107
	ds_read_u16 v79, v107 offset:32
	ds_read_u16 v80, v107 offset:64
	;; [unrolled: 1-line block ×6, first 2 shown]
	s_waitcnt lgkmcnt(6)
	v_perm_b32 v10, v9, v1, s24
	v_cvt_f32_f16_e32 v8, v18
	v_cvt_f32_f16_sdwa v9, v18 dst_sel:DWORD dst_unused:UNUSED_PAD src0_sel:WORD_1
	v_cvt_f16_f32_e32 v1, v23
	v_cvt_f16_f32_e32 v3, v3
	v_mfma_f32_16x16x16_f16 v[6:9], v[10:11], v[14:15], v[6:9]
	ds_read_u16 v10, v195 offset:208
	ds_read_u16 v11, v195 offset:416
	;; [unrolled: 1-line block ×8, first 2 shown]
	s_waitcnt lgkmcnt(6)
	v_perm_b32 v11, v70, v11, s24
	v_perm_b32 v10, v10, v71, s24
	v_cvt_f16_f32_e32 v6, v6
	v_cvt_f16_f32_e32 v7, v7
	;; [unrolled: 1-line block ×4, first 2 shown]
	v_cvt_f32_f16_e32 v6, v6
	v_cvt_f32_f16_e32 v7, v7
	;; [unrolled: 1-line block ×4, first 2 shown]
	v_pk_mul_f16 v19, v16, v99 op_sel_hi:[0,1]
	v_pack_b32_f16 v70, v13, v1
	v_pack_b32_f16 v71, v12, v3
	v_pk_mul_f16 v20, v16, v98 op_sel_hi:[0,1]
	s_waitcnt lgkmcnt(5)
	v_perm_b32 v18, v18, v79, s24
	v_mfma_f32_16x16x16_f16 v[6:9], v[10:11], v[70:71], v[6:9]
	v_cvt_f32_f16_e32 v10, v19
	v_cvt_f32_f16_sdwa v11, v19 dst_sel:DWORD dst_unused:UNUSED_PAD src0_sel:WORD_1
	s_waitcnt lgkmcnt(4)
	v_perm_b32 v19, v25, v23, s24
	v_cvt_f32_f16_e32 v12, v20
	v_cvt_f32_f16_sdwa v13, v20 dst_sel:DWORD dst_unused:UNUSED_PAD src0_sel:WORD_1
	s_nop 0
	v_cvt_f16_f32_e32 v1, v6
	v_cvt_f16_f32_e32 v3, v7
	v_mfma_f32_16x16x16_f16 v[10:13], v[18:19], v[14:15], v[10:13]
	s_waitcnt lgkmcnt(0)
	v_perm_b32 v19, v87, v86, s24
	v_perm_b32 v18, v85, v84, s24
	v_pk_mul_f16 v21, v16, v215 op_sel_hi:[0,1]
	v_pk_mul_f16 v22, v16, v214 op_sel_hi:[0,1]
	s_nop 1
	v_cvt_f16_f32_e32 v6, v10
	v_cvt_f16_f32_e32 v7, v11
	;; [unrolled: 1-line block ×4, first 2 shown]
	v_cvt_f32_f16_e32 v10, v6
	v_cvt_f32_f16_e32 v11, v7
	;; [unrolled: 1-line block ×4, first 2 shown]
	v_cvt_f16_f32_e32 v7, v8
	v_cvt_f16_f32_e32 v23, v9
	v_pack_b32_f16 v6, v1, v3
	v_mfma_f32_16x16x16_f16 v[8:11], v[18:19], v[70:71], v[10:13]
	ds_read_u16 v1, v197 offset:208
	ds_read_u16 v3, v197 offset:416
	;; [unrolled: 1-line block ×8, first 2 shown]
	s_waitcnt lgkmcnt(6)
	v_perm_b32 v13, v75, v3, s24
	v_perm_b32 v12, v1, v80, s24
	v_cvt_f32_f16_e32 v18, v21
	v_cvt_f32_f16_sdwa v19, v21 dst_sel:DWORD dst_unused:UNUSED_PAD src0_sel:WORD_1
	v_cvt_f32_f16_e32 v20, v22
	v_cvt_f32_f16_sdwa v21, v22 dst_sel:DWORD dst_unused:UNUSED_PAD src0_sel:WORD_1
	v_pack_b32_f16 v1, v7, v23
	v_cvt_f16_f32_e32 v3, v8
	v_mfma_f32_16x16x16_f16 v[18:21], v[12:13], v[14:15], v[18:21]
	v_cvt_f16_f32_e32 v7, v9
	s_waitcnt lgkmcnt(2)
	v_perm_b32 v13, v85, v84, s24
	v_pk_mul_f16 v24, v16, v216 op_sel_hi:[0,1]
	v_pk_mul_f16 v72, v16, v217 op_sel_hi:[0,1]
	s_nop 1
	v_cvt_f16_f32_e32 v12, v20
	v_cvt_f16_f32_e32 v8, v18
	;; [unrolled: 1-line block ×4, first 2 shown]
	v_cvt_f32_f16_e32 v20, v12
	v_perm_b32 v12, v79, v25, s24
	v_cvt_f32_f16_e32 v18, v8
	v_cvt_f32_f16_e32 v19, v9
	;; [unrolled: 1-line block ×3, first 2 shown]
	s_waitcnt lgkmcnt(0)
	v_perm_b32 v23, v76, v87, s24
	v_perm_b32 v22, v86, v81, s24
	v_cvt_f16_f32_e32 v9, v10
	v_cvt_f16_f32_e32 v25, v11
	v_mfma_f32_16x16x16_f16 v[10:13], v[12:13], v[70:71], v[18:21]
	v_pack_b32_f16 v8, v3, v7
	v_pk_mul_f16 v73, v16, v219 op_sel_hi:[0,1]
	v_pack_b32_f16 v3, v9, v25
	v_cvt_f32_f16_e32 v18, v24
	v_cvt_f32_f16_sdwa v19, v24 dst_sel:DWORD dst_unused:UNUSED_PAD src0_sel:WORD_1
	v_cvt_f32_f16_e32 v20, v72
	v_cvt_f32_f16_sdwa v21, v72 dst_sel:DWORD dst_unused:UNUSED_PAD src0_sel:WORD_1
	v_cvt_f16_f32_e32 v7, v10
	v_cvt_f16_f32_e32 v9, v11
	v_mfma_f32_16x16x16_f16 v[18:21], v[22:23], v[14:15], v[18:21]
	v_pk_mul_f16 v74, v16, v218 op_sel_hi:[0,1]
	v_cvt_f16_f32_e32 v79, v13
	v_cvt_f32_f16_e32 v24, v74
	v_pk_mul_f16 v88, v16, v221 op_sel_hi:[0,1]
	s_nop 2
	v_cvt_f16_f32_e32 v10, v18
	v_cvt_f16_f32_e32 v11, v19
	;; [unrolled: 1-line block ×4, first 2 shown]
	v_cvt_f32_f16_e32 v18, v10
	v_cvt_f32_f16_e32 v19, v11
	ds_read_u16 v10, v116 offset:6656
	ds_read_u16 v11, v117 offset:208
	;; [unrolled: 1-line block ×8, first 2 shown]
	s_waitcnt lgkmcnt(4)
	v_perm_b32 v23, v23, v22, s24
	v_perm_b32 v22, v11, v10, s24
	v_cvt_f32_f16_e32 v20, v20
	v_cvt_f32_f16_e32 v21, v21
	v_cvt_f16_f32_e32 v11, v12
	s_waitcnt lgkmcnt(2)
	v_perm_b32 v13, v77, v72, s24
	v_perm_b32 v12, v25, v82, s24
	v_mfma_f32_16x16x16_f16 v[18:21], v[22:23], v[70:71], v[18:21]
	v_cvt_f32_f16_e32 v22, v73
	v_cvt_f32_f16_sdwa v23, v73 dst_sel:DWORD dst_unused:UNUSED_PAD src0_sel:WORD_1
	v_cvt_f32_f16_sdwa v25, v74 dst_sel:DWORD dst_unused:UNUSED_PAD src0_sel:WORD_1
	v_pack_b32_f16 v10, v7, v9
	v_pack_b32_f16 v7, v11, v79
	v_mfma_f32_16x16x16_f16 v[22:25], v[12:13], v[14:15], v[22:25]
	s_nop 0
	v_cvt_f16_f32_e32 v9, v18
	v_cvt_f16_f32_e32 v11, v19
	v_pk_mul_f16 v16, v16, v220 op_sel_hi:[0,1]
	ds_bpermute_b32 v5, v5, v67
	s_nop 1
	v_cvt_f16_f32_e32 v12, v22
	v_cvt_f16_f32_e32 v13, v23
	;; [unrolled: 1-line block ×4, first 2 shown]
	v_cvt_f32_f16_e32 v22, v12
	v_cvt_f32_f16_e32 v23, v13
	;; [unrolled: 1-line block ×3, first 2 shown]
	ds_read_u16 v12, v120 offset:416
	ds_read_u16 v13, v121 offset:6656
	;; [unrolled: 1-line block ×8, first 2 shown]
	s_waitcnt lgkmcnt(6)
	v_perm_b32 v19, v13, v12, s24
	v_perm_b32 v18, v76, v75, s24
	v_cvt_f32_f16_e32 v25, v25
	s_waitcnt lgkmcnt(4)
	v_perm_b32 v73, v78, v73, s24
	v_perm_b32 v72, v72, v83, s24
	v_cvt_f16_f32_e32 v13, v20
	v_cvt_f16_f32_e32 v75, v21
	v_mfma_f32_16x16x16_f16 v[18:21], v[18:19], v[70:71], v[22:25]
	v_pack_b32_f16 v12, v9, v11
	v_add_f32_e32 v5, v67, v5
	v_pack_b32_f16 v9, v13, v75
	v_cvt_f32_f16_e32 v22, v88
	v_cvt_f32_f16_sdwa v23, v88 dst_sel:DWORD dst_unused:UNUSED_PAD src0_sel:WORD_1
	v_cvt_f32_f16_e32 v24, v16
	v_cvt_f32_f16_sdwa v25, v16 dst_sel:DWORD dst_unused:UNUSED_PAD src0_sel:WORD_1
	v_cvt_f16_f32_e32 v11, v18
	v_cvt_f16_f32_e32 v13, v19
	v_mfma_f32_16x16x16_f16 v[22:25], v[72:73], v[14:15], v[22:25]
	s_waitcnt lgkmcnt(0)
	v_perm_b32 v19, v80, v79, s24
	v_perm_b32 v18, v77, v74, s24
	v_readlane_b32 s38, v238, 52
	v_readlane_b32 s39, v238, 53
	s_nop 1
	v_cvt_f16_f32_e32 v14, v22
	v_cvt_f16_f32_e32 v15, v23
	;; [unrolled: 1-line block ×4, first 2 shown]
	v_cvt_f32_f16_e32 v22, v14
	v_cvt_f32_f16_e32 v23, v15
	;; [unrolled: 1-line block ×4, first 2 shown]
	v_cvt_f16_f32_e32 v15, v20
	v_cvt_f16_f32_e32 v16, v21
	v_mfma_f32_16x16x16_f16 v[18:21], v[18:19], v[70:71], v[22:25]
	v_pack_b32_f16 v14, v11, v13
	v_pack_b32_f16 v11, v15, v16
	s_xor_b64 s[34:35], s[38:39], -1
	s_or_b64 s[26:27], s[34:35], s[26:27]
	s_nop 2
	v_cvt_f16_f32_e32 v13, v18
	v_cvt_f16_f32_e32 v18, v19
	;; [unrolled: 1-line block ×4, first 2 shown]
	v_pack_b32_f16 v16, v13, v18
	ds_bpermute_b32 v18, v17, v5
	v_pack_b32_f16 v13, v15, v19
	s_barrier
	s_waitcnt lgkmcnt(0)
	v_add_f32_e32 v5, v5, v18
	s_and_saveexec_b64 s[34:35], s[26:27]
	s_xor_b64 s[26:27], exec, s[34:35]
	s_andn2_saveexec_b64 s[34:35], s[26:27]
	s_cbranch_execz .LBB14_74
; %bb.73:                               ;   in Loop: Header=BB14_14 Depth=1
	global_load_dword v15, v2, s[28:29]
	v_max_f32_e32 v19, v4, v4
	s_waitcnt vmcnt(0)
	v_max_f32_e32 v18, v15, v15
	v_max_f32_e32 v18, v19, v18
	v_sub_f32_e32 v4, v4, v18
	v_mul_f32_e32 v19, 0x3fb8aa3b, v4
	v_fma_f32 v20, v4, s76, -v19
	v_rndne_f32_e32 v21, v19
	v_fmac_f32_e32 v20, 0x32a5705f, v4
	v_sub_f32_e32 v19, v19, v21
	v_add_f32_e32 v19, v19, v20
	v_exp_f32_e32 v19, v19
	v_cvt_i32_f32_e32 v20, v21
	v_cmp_ngt_f32_e32 vcc, s77, v4
	v_sub_f32_e32 v15, v15, v18
	v_ldexp_f32 v19, v19, v20
	v_cndmask_b32_e32 v19, 0, v19, vcc
	v_cmp_nlt_f32_e32 vcc, s73, v4
	s_nop 1
	v_cndmask_b32_e32 v19, v212, v19, vcc
	v_cmp_le_f32_e32 vcc, s79, v4
	s_nop 1
	v_cndmask_b32_e32 v4, 0, v19, vcc
	v_cvt_f16_f32_e32 v19, v4
	v_cmp_ngt_f32_e32 vcc, s77, v15
	v_pk_mul_f16 v6, v19, v6 op_sel_hi:[0,1]
	v_pk_mul_f16 v1, v19, v1 op_sel_hi:[0,1]
	;; [unrolled: 1-line block ×12, first 2 shown]
	v_mul_f32_e32 v19, 0x3fb8aa3b, v15
	v_fma_f32 v20, v15, s76, -v19
	v_rndne_f32_e32 v21, v19
	v_fmac_f32_e32 v20, 0x32a5705f, v15
	v_sub_f32_e32 v19, v19, v21
	v_add_f32_e32 v19, v19, v20
	v_exp_f32_e32 v19, v19
	v_cvt_i32_f32_e32 v20, v21
	v_ldexp_f32 v19, v19, v20
	v_cndmask_b32_e32 v19, 0, v19, vcc
	v_cmp_nlt_f32_e32 vcc, s73, v15
	s_nop 1
	v_cndmask_b32_e32 v19, v212, v19, vcc
	v_fmac_f32_e32 v19, v5, v4
	v_mov_b64_e32 v[4:5], v[18:19]
.LBB14_74:                              ;   in Loop: Header=BB14_14 Depth=1
	s_or_b64 exec, exec, s[34:35]
	s_mov_b64 s[26:27], exec
	v_readlane_b32 s34, v238, 56
	v_readlane_b32 s35, v238, 57
	s_and_b64 s[34:35], s[26:27], s[34:35]
	v_readlane_b32 s46, v237, 0
	s_mov_b64 exec, s[34:35]
	s_cbranch_execz .LBB14_76
; %bb.75:                               ;   in Loop: Header=BB14_14 Depth=1
	v_add_u32_e32 v15, 0, v149
	ds_write2_b32 v15, v4, v5 offset0:48 offset1:49
.LBB14_76:                              ;   in Loop: Header=BB14_14 Depth=1
	s_or_b64 exec, exec, s[26:27]
	s_waitcnt lgkmcnt(0)
	s_barrier
	s_mov_b64 s[26:27], exec
	v_readlane_b32 s34, v238, 54
	v_readlane_b32 s35, v238, 55
	s_and_b64 s[34:35], s[26:27], s[34:35]
	s_xor_b64 s[26:27], s[34:35], s[26:27]
	s_mov_b64 exec, s[34:35]
	s_cbranch_execz .LBB14_78
; %bb.77:                               ;   in Loop: Header=BB14_14 Depth=1
	s_barrier
	s_waitcnt lgkmcnt(0)
                                        ; implicit-def: $vgpr17
.LBB14_78:                              ;   in Loop: Header=BB14_14 Depth=1
	s_andn2_saveexec_b64 s[26:27], s[26:27]
	s_cbranch_execz .LBB14_84
; %bb.79:                               ;   in Loop: Header=BB14_14 Depth=1
	v_add_u32_e32 v5, 0, v150
	ds_read_b64 v[20:21], v5 offset:192
	s_waitcnt lgkmcnt(0)
	s_barrier
	ds_bpermute_b32 v4, v17, v20
	v_max_f32_e32 v15, v20, v20
	s_waitcnt lgkmcnt(0)
	v_max_f32_e32 v4, v4, v4
	v_max_f32_e32 v4, v15, v4
	v_sub_f32_e32 v15, v20, v4
	v_mul_f32_e32 v18, 0x3fb8aa3b, v15
	v_fma_f32 v19, v15, s76, -v18
	v_rndne_f32_e32 v20, v18
	v_fmac_f32_e32 v19, 0x32a5705f, v15
	v_sub_f32_e32 v18, v18, v20
	v_add_f32_e32 v18, v18, v19
	v_cvt_i32_f32_e32 v20, v20
	v_exp_f32_e32 v18, v18
	v_cmp_ngt_f32_e32 vcc, s77, v15
	v_ldexp_f32 v18, v18, v20
	s_nop 0
	v_cndmask_b32_e32 v18, 0, v18, vcc
	v_cmp_nlt_f32_e32 vcc, s73, v15
	s_nop 1
	v_cndmask_b32_e32 v18, v212, v18, vcc
	v_mul_f32_e32 v15, v21, v18
	ds_bpermute_b32 v19, v17, v15
	s_waitcnt lgkmcnt(0)
	v_fmac_f32_e32 v19, v21, v18
	s_mov_b64 s[34:35], exec
	v_readlane_b32 s36, v238, 58
	v_readlane_b32 s37, v238, 59
	s_and_b64 s[36:37], s[34:35], s[36:37]
	s_mov_b64 exec, s[36:37]
	s_cbranch_execz .LBB14_81
; %bb.80:                               ;   in Loop: Header=BB14_14 Depth=1
	ds_write_b64 v5, v[18:19] offset:192
.LBB14_81:                              ;   in Loop: Header=BB14_14 Depth=1
	s_or_b64 exec, exec, s[34:35]
	s_mov_b64 s[34:35], exec
	v_readlane_b32 s36, v238, 56
	v_readlane_b32 s37, v238, 57
	s_and_b64 s[36:37], s[34:35], s[36:37]
	s_mov_b64 exec, s[36:37]
	s_cbranch_execz .LBB14_83
; %bb.82:                               ;   in Loop: Header=BB14_14 Depth=1
	v_mov_b32_e32 v5, v19
	global_store_dwordx2 v[50:51], v[4:5], off
.LBB14_83:                              ;   in Loop: Header=BB14_14 Depth=1
	s_or_b64 exec, exec, s[34:35]
.LBB14_84:                              ;   in Loop: Header=BB14_14 Depth=1
	s_or_b64 exec, exec, s[26:27]
	ds_write2_b32 v151, v6, v1 offset1:1
	ds_write2_b32 v151, v8, v3 offset0:8 offset1:9
	ds_write2_b32 v151, v10, v7 offset0:16 offset1:17
	;; [unrolled: 1-line block ×5, first 2 shown]
	s_waitcnt lgkmcnt(0)
	s_barrier
	s_and_saveexec_b64 s[34:35], s[38:39]
	s_cbranch_execz .LBB14_139
; %bb.85:                               ;   in Loop: Header=BB14_14 Depth=1
	v_add_u32_e32 v1, s80, v125
	v_cmp_gt_i32_e32 vcc, s72, v1
	v_mov_b32_e32 v3, 0x47
	s_and_saveexec_b64 s[26:27], vcc
	s_cbranch_execz .LBB14_87
; %bb.86:                               ;   in Loop: Header=BB14_14 Depth=1
	v_add_u32_e32 v3, 0, v154
	v_add_u32_e32 v3, 0xc0, v3
	ds_read2st64_b32 v[4:5], v3 offset1:13
	ds_read2st64_b32 v[6:7], v155 offset1:13
	v_readlane_b32 s36, v238, 42
	v_mov_b32_e32 v3, 0
	s_waitcnt lgkmcnt(0)
	v_cvt_f32_f16_sdwa v11, v6 dst_sel:DWORD dst_unused:UNUSED_PAD src0_sel:WORD_1
	v_cvt_f32_f16_e32 v10, v6
	v_cvt_f32_f16_sdwa v13, v7 dst_sel:DWORD dst_unused:UNUSED_PAD src0_sel:WORD_1
	v_cvt_f32_f16_e32 v12, v7
	v_mad_u64_u32 v[8:9], s[36:37], v1, s36, v[48:49]
	v_readlane_b32 s36, v237, 2
	v_ashrrev_i32_e32 v9, 31, v8
	v_readlane_b32 s37, v237, 3
	v_pk_fma_f32 v[10:11], v[4:5], v[10:11], 0 op_sel_hi:[0,1,0]
	v_mov_b32_e32 v4, v5
	v_lshl_add_u64 v[8:9], v[8:9], 3, s[36:37]
	v_pk_fma_f32 v[4:5], v[4:5], v[12:13], v[10:11] op_sel_hi:[0,1,1]
	global_store_dwordx2 v[8:9], v[4:5], off
.LBB14_87:                              ;   in Loop: Header=BB14_14 Depth=1
	s_or_b64 exec, exec, s[26:27]
	s_movk_i32 s26, 0x47
	v_cmp_gt_i32_e32 vcc, s26, v3
	s_mov_b64 s[26:27], -1
	s_and_saveexec_b64 s[36:37], vcc
; %bb.88:                               ;   in Loop: Header=BB14_14 Depth=1
	v_cmp_eq_u32_e32 vcc, 0, v3
	s_orn2_b64 s[26:27], vcc, exec
; %bb.89:                               ;   in Loop: Header=BB14_14 Depth=1
	s_or_b64 exec, exec, s[36:37]
	s_and_saveexec_b64 s[36:37], s[26:27]
	s_cbranch_execz .LBB14_122
; %bb.90:                               ;   in Loop: Header=BB14_14 Depth=1
	v_add_u32_e32 v1, s80, v127
	v_cmp_gt_i32_e32 vcc, s72, v1
	v_mov_b32_e32 v3, 0x47
	s_and_saveexec_b64 s[26:27], vcc
	s_cbranch_execz .LBB14_92
; %bb.91:                               ;   in Loop: Header=BB14_14 Depth=1
	v_add_u32_e32 v3, 0, v156
	v_add_u32_e32 v3, 0xc0, v3
	ds_read2st64_b32 v[4:5], v3 offset1:13
	ds_read2st64_b32 v[6:7], v157 offset1:13
	v_readlane_b32 s38, v238, 42
	v_mov_b32_e32 v3, 0
	s_waitcnt lgkmcnt(0)
	v_cvt_f32_f16_sdwa v11, v6 dst_sel:DWORD dst_unused:UNUSED_PAD src0_sel:WORD_1
	v_cvt_f32_f16_e32 v10, v6
	v_cvt_f32_f16_sdwa v13, v7 dst_sel:DWORD dst_unused:UNUSED_PAD src0_sel:WORD_1
	v_cvt_f32_f16_e32 v12, v7
	v_mad_u64_u32 v[8:9], s[38:39], v1, s38, v[48:49]
	v_readlane_b32 s38, v237, 2
	v_ashrrev_i32_e32 v9, 31, v8
	v_readlane_b32 s39, v237, 3
	v_pk_fma_f32 v[10:11], v[4:5], v[10:11], 0 op_sel_hi:[0,1,0]
	v_mov_b32_e32 v4, v5
	v_lshl_add_u64 v[8:9], v[8:9], 3, s[38:39]
	v_pk_fma_f32 v[4:5], v[4:5], v[12:13], v[10:11] op_sel_hi:[0,1,1]
	global_store_dwordx2 v[8:9], v[4:5], off
.LBB14_92:                              ;   in Loop: Header=BB14_14 Depth=1
	s_or_b64 exec, exec, s[26:27]
	s_movk_i32 s26, 0x47
	v_cmp_gt_i32_e32 vcc, s26, v3
	s_mov_b64 s[26:27], -1
	s_and_saveexec_b64 s[38:39], vcc
; %bb.93:                               ;   in Loop: Header=BB14_14 Depth=1
	v_cmp_eq_u32_e32 vcc, 0, v3
	s_orn2_b64 s[26:27], vcc, exec
; %bb.94:                               ;   in Loop: Header=BB14_14 Depth=1
	s_or_b64 exec, exec, s[38:39]
	s_and_b64 exec, exec, s[26:27]
	s_cbranch_execz .LBB14_122
; %bb.95:                               ;   in Loop: Header=BB14_14 Depth=1
	v_add_u32_e32 v1, s80, v128
	v_cmp_gt_i32_e32 vcc, s72, v1
	v_mov_b32_e32 v3, 0x47
	s_and_saveexec_b64 s[26:27], vcc
	s_cbranch_execz .LBB14_97
; %bb.96:                               ;   in Loop: Header=BB14_14 Depth=1
	v_add_u32_e32 v3, 0, v158
	v_add_u32_e32 v3, 0xc0, v3
	ds_read2st64_b32 v[4:5], v3 offset1:13
	ds_read2st64_b32 v[6:7], v159 offset1:13
	v_readlane_b32 s38, v238, 42
	v_mov_b32_e32 v3, 0
	s_waitcnt lgkmcnt(0)
	v_cvt_f32_f16_sdwa v11, v6 dst_sel:DWORD dst_unused:UNUSED_PAD src0_sel:WORD_1
	v_cvt_f32_f16_e32 v10, v6
	v_cvt_f32_f16_sdwa v13, v7 dst_sel:DWORD dst_unused:UNUSED_PAD src0_sel:WORD_1
	v_cvt_f32_f16_e32 v12, v7
	v_mad_u64_u32 v[8:9], s[38:39], v1, s38, v[48:49]
	v_readlane_b32 s38, v237, 2
	v_ashrrev_i32_e32 v9, 31, v8
	v_readlane_b32 s39, v237, 3
	v_pk_fma_f32 v[10:11], v[4:5], v[10:11], 0 op_sel_hi:[0,1,0]
	v_mov_b32_e32 v4, v5
	v_lshl_add_u64 v[8:9], v[8:9], 3, s[38:39]
	v_pk_fma_f32 v[4:5], v[4:5], v[12:13], v[10:11] op_sel_hi:[0,1,1]
	global_store_dwordx2 v[8:9], v[4:5], off
.LBB14_97:                              ;   in Loop: Header=BB14_14 Depth=1
	s_or_b64 exec, exec, s[26:27]
	s_movk_i32 s26, 0x47
	v_cmp_gt_i32_e32 vcc, s26, v3
	s_mov_b64 s[26:27], -1
	s_and_saveexec_b64 s[38:39], vcc
; %bb.98:                               ;   in Loop: Header=BB14_14 Depth=1
	v_cmp_eq_u32_e32 vcc, 0, v3
	s_orn2_b64 s[26:27], vcc, exec
; %bb.99:                               ;   in Loop: Header=BB14_14 Depth=1
	s_or_b64 exec, exec, s[38:39]
	s_and_b64 exec, exec, s[26:27]
	s_cbranch_execz .LBB14_122
; %bb.100:                              ;   in Loop: Header=BB14_14 Depth=1
	v_add_u32_e32 v1, s80, v129
	v_cmp_gt_i32_e32 vcc, s72, v1
	v_mov_b32_e32 v3, 0x47
	s_and_saveexec_b64 s[26:27], vcc
	s_cbranch_execz .LBB14_102
; %bb.101:                              ;   in Loop: Header=BB14_14 Depth=1
	v_add_u32_e32 v3, 0, v160
	v_add_u32_e32 v3, 0xc0, v3
	ds_read2st64_b32 v[4:5], v3 offset1:13
	ds_read2st64_b32 v[6:7], v161 offset1:13
	v_readlane_b32 s38, v238, 42
	v_mov_b32_e32 v3, 0
	s_waitcnt lgkmcnt(0)
	v_cvt_f32_f16_sdwa v11, v6 dst_sel:DWORD dst_unused:UNUSED_PAD src0_sel:WORD_1
	v_cvt_f32_f16_e32 v10, v6
	v_cvt_f32_f16_sdwa v13, v7 dst_sel:DWORD dst_unused:UNUSED_PAD src0_sel:WORD_1
	v_cvt_f32_f16_e32 v12, v7
	v_mad_u64_u32 v[8:9], s[38:39], v1, s38, v[48:49]
	v_readlane_b32 s38, v237, 2
	v_ashrrev_i32_e32 v9, 31, v8
	v_readlane_b32 s39, v237, 3
	v_pk_fma_f32 v[10:11], v[4:5], v[10:11], 0 op_sel_hi:[0,1,0]
	v_mov_b32_e32 v4, v5
	v_lshl_add_u64 v[8:9], v[8:9], 3, s[38:39]
	v_pk_fma_f32 v[4:5], v[4:5], v[12:13], v[10:11] op_sel_hi:[0,1,1]
	global_store_dwordx2 v[8:9], v[4:5], off
.LBB14_102:                             ;   in Loop: Header=BB14_14 Depth=1
	s_or_b64 exec, exec, s[26:27]
	s_movk_i32 s26, 0x47
	v_cmp_gt_i32_e32 vcc, s26, v3
	s_mov_b64 s[26:27], -1
	s_and_saveexec_b64 s[38:39], vcc
; %bb.103:                              ;   in Loop: Header=BB14_14 Depth=1
	v_cmp_eq_u32_e32 vcc, 0, v3
	s_orn2_b64 s[26:27], vcc, exec
; %bb.104:                              ;   in Loop: Header=BB14_14 Depth=1
	s_or_b64 exec, exec, s[38:39]
	s_and_b64 exec, exec, s[26:27]
	s_cbranch_execz .LBB14_122
; %bb.105:                              ;   in Loop: Header=BB14_14 Depth=1
	v_add_u32_e32 v1, s80, v130
	v_cmp_gt_i32_e32 vcc, s72, v1
	v_mov_b32_e32 v3, 0x47
	s_and_saveexec_b64 s[26:27], vcc
	s_cbranch_execz .LBB14_107
; %bb.106:                              ;   in Loop: Header=BB14_14 Depth=1
	v_add_u32_e32 v3, 0, v162
	v_add_u32_e32 v3, 0xc0, v3
	ds_read2st64_b32 v[4:5], v3 offset1:13
	ds_read2st64_b32 v[6:7], v163 offset1:13
	v_readlane_b32 s38, v238, 42
	v_mov_b32_e32 v3, 0
	s_waitcnt lgkmcnt(0)
	v_cvt_f32_f16_sdwa v11, v6 dst_sel:DWORD dst_unused:UNUSED_PAD src0_sel:WORD_1
	v_cvt_f32_f16_e32 v10, v6
	v_cvt_f32_f16_sdwa v13, v7 dst_sel:DWORD dst_unused:UNUSED_PAD src0_sel:WORD_1
	v_cvt_f32_f16_e32 v12, v7
	v_mad_u64_u32 v[8:9], s[38:39], v1, s38, v[48:49]
	v_readlane_b32 s38, v237, 2
	v_ashrrev_i32_e32 v9, 31, v8
	v_readlane_b32 s39, v237, 3
	v_pk_fma_f32 v[10:11], v[4:5], v[10:11], 0 op_sel_hi:[0,1,0]
	v_mov_b32_e32 v4, v5
	v_lshl_add_u64 v[8:9], v[8:9], 3, s[38:39]
	v_pk_fma_f32 v[4:5], v[4:5], v[12:13], v[10:11] op_sel_hi:[0,1,1]
	global_store_dwordx2 v[8:9], v[4:5], off
.LBB14_107:                             ;   in Loop: Header=BB14_14 Depth=1
	s_or_b64 exec, exec, s[26:27]
	s_movk_i32 s26, 0x47
	v_cmp_gt_i32_e32 vcc, s26, v3
	s_mov_b64 s[26:27], -1
	s_and_saveexec_b64 s[38:39], vcc
; %bb.108:                              ;   in Loop: Header=BB14_14 Depth=1
	v_cmp_eq_u32_e32 vcc, 0, v3
	s_orn2_b64 s[26:27], vcc, exec
; %bb.109:                              ;   in Loop: Header=BB14_14 Depth=1
	;; [unrolled: 40-line block ×4, first 2 shown]
	s_or_b64 exec, exec, s[38:39]
	s_and_b64 exec, exec, s[26:27]
	s_cbranch_execz .LBB14_122
; %bb.120:                              ;   in Loop: Header=BB14_14 Depth=1
	v_add_u32_e32 v1, s80, v133
	v_cmp_gt_i32_e32 vcc, s72, v1
	s_and_b64 exec, exec, vcc
	s_cbranch_execz .LBB14_122
; %bb.121:                              ;   in Loop: Header=BB14_14 Depth=1
	v_add_u32_e32 v3, 0, v168
	v_add_u32_e32 v3, 0xc0, v3
	ds_read2st64_b32 v[4:5], v3 offset1:13
	ds_read2st64_b32 v[6:7], v169 offset1:13
	v_readlane_b32 s26, v238, 42
	s_waitcnt lgkmcnt(0)
	v_cvt_f32_f16_sdwa v11, v6 dst_sel:DWORD dst_unused:UNUSED_PAD src0_sel:WORD_1
	v_cvt_f32_f16_e32 v10, v6
	v_cvt_f32_f16_sdwa v13, v7 dst_sel:DWORD dst_unused:UNUSED_PAD src0_sel:WORD_1
	v_cvt_f32_f16_e32 v12, v7
	v_mad_u64_u32 v[8:9], s[26:27], v1, s26, v[48:49]
	v_readlane_b32 s26, v237, 2
	v_ashrrev_i32_e32 v9, 31, v8
	v_readlane_b32 s27, v237, 3
	v_pk_fma_f32 v[10:11], v[4:5], v[10:11], 0 op_sel_hi:[0,1,0]
	v_mov_b32_e32 v4, v5
	v_lshl_add_u64 v[8:9], v[8:9], 3, s[26:27]
	v_pk_fma_f32 v[4:5], v[4:5], v[12:13], v[10:11] op_sel_hi:[0,1,1]
	global_store_dwordx2 v[8:9], v[4:5], off
.LBB14_122:                             ;   in Loop: Header=BB14_14 Depth=1
	s_or_b64 exec, exec, s[36:37]
	v_add_u32_e32 v3, s80, v126
	v_cmp_gt_i32_e32 vcc, s72, v3
	v_mov_b32_e32 v1, 0x47
	s_and_saveexec_b64 s[26:27], vcc
	s_cbranch_execz .LBB14_124
; %bb.123:                              ;   in Loop: Header=BB14_14 Depth=1
	v_add_u32_e32 v1, 0, v170
	v_add_u32_e32 v1, 0xc0, v1
	ds_read2st64_b32 v[6:7], v1 offset1:13
	v_add_u32_e32 v1, 0x80, v171
	ds_read2st64_b32 v[8:9], v1 offset1:13
	v_readlane_b32 s36, v238, 42
	v_mov_b32_e32 v1, 0
	s_waitcnt lgkmcnt(0)
	v_cvt_f32_f16_sdwa v11, v8 dst_sel:DWORD dst_unused:UNUSED_PAD src0_sel:WORD_1
	v_cvt_f32_f16_e32 v10, v8
	v_cvt_f32_f16_sdwa v13, v9 dst_sel:DWORD dst_unused:UNUSED_PAD src0_sel:WORD_1
	v_cvt_f32_f16_e32 v12, v9
	v_mul_lo_u32 v4, v3, s36
	v_ashrrev_i32_e32 v5, 31, v4
	v_readlane_b32 s36, v237, 2
	v_lshl_add_u64 v[4:5], v[4:5], 0, v[28:29]
	v_readlane_b32 s37, v237, 3
	v_pk_fma_f32 v[10:11], v[6:7], v[10:11], 0 op_sel_hi:[0,1,0]
	v_mov_b32_e32 v6, v7
	v_lshl_add_u64 v[4:5], v[4:5], 3, s[36:37]
	v_pk_fma_f32 v[6:7], v[6:7], v[12:13], v[10:11] op_sel_hi:[0,1,1]
	global_store_dwordx2 v[4:5], v[6:7], off offset:256
.LBB14_124:                             ;   in Loop: Header=BB14_14 Depth=1
	s_or_b64 exec, exec, s[26:27]
	s_movk_i32 s26, 0x47
	v_cmp_gt_i32_e32 vcc, s26, v1
	s_mov_b64 s[26:27], -1
	s_and_saveexec_b64 s[36:37], vcc
; %bb.125:                              ;   in Loop: Header=BB14_14 Depth=1
	v_cmp_eq_u32_e32 vcc, 0, v1
	s_orn2_b64 s[26:27], vcc, exec
; %bb.126:                              ;   in Loop: Header=BB14_14 Depth=1
	s_or_b64 exec, exec, s[36:37]
	s_and_b64 exec, exec, s[26:27]
	s_cbranch_execz .LBB14_139
; %bb.127:                              ;   in Loop: Header=BB14_14 Depth=1
	v_add_u32_e32 v3, s80, v134
	v_cmp_gt_i32_e32 vcc, s72, v3
	v_mov_b32_e32 v1, 0x47
	s_and_saveexec_b64 s[26:27], vcc
	s_cbranch_execz .LBB14_129
; %bb.128:                              ;   in Loop: Header=BB14_14 Depth=1
	v_add_u32_e32 v1, 0, v172
	v_add_u32_e32 v1, 0xc0, v1
	ds_read2st64_b32 v[6:7], v1 offset1:13
	v_add_u32_e32 v1, 0x80, v173
	ds_read2st64_b32 v[8:9], v1 offset1:13
	v_readlane_b32 s36, v238, 42
	v_mov_b32_e32 v1, 0
	s_waitcnt lgkmcnt(0)
	v_cvt_f32_f16_sdwa v11, v8 dst_sel:DWORD dst_unused:UNUSED_PAD src0_sel:WORD_1
	v_cvt_f32_f16_e32 v10, v8
	v_cvt_f32_f16_sdwa v13, v9 dst_sel:DWORD dst_unused:UNUSED_PAD src0_sel:WORD_1
	v_cvt_f32_f16_e32 v12, v9
	v_mul_lo_u32 v4, v3, s36
	v_ashrrev_i32_e32 v5, 31, v4
	v_readlane_b32 s36, v237, 2
	v_lshl_add_u64 v[4:5], v[4:5], 0, v[28:29]
	v_readlane_b32 s37, v237, 3
	v_pk_fma_f32 v[10:11], v[6:7], v[10:11], 0 op_sel_hi:[0,1,0]
	v_mov_b32_e32 v6, v7
	v_lshl_add_u64 v[4:5], v[4:5], 3, s[36:37]
	v_pk_fma_f32 v[6:7], v[6:7], v[12:13], v[10:11] op_sel_hi:[0,1,1]
	global_store_dwordx2 v[4:5], v[6:7], off offset:256
.LBB14_129:                             ;   in Loop: Header=BB14_14 Depth=1
	s_or_b64 exec, exec, s[26:27]
	s_movk_i32 s26, 0x47
	v_cmp_gt_i32_e32 vcc, s26, v1
	s_mov_b64 s[26:27], -1
	s_and_saveexec_b64 s[36:37], vcc
; %bb.130:                              ;   in Loop: Header=BB14_14 Depth=1
	v_cmp_eq_u32_e32 vcc, 0, v1
	s_orn2_b64 s[26:27], vcc, exec
; %bb.131:                              ;   in Loop: Header=BB14_14 Depth=1
	s_or_b64 exec, exec, s[36:37]
	s_and_b64 exec, exec, s[26:27]
	s_cbranch_execz .LBB14_139
; %bb.132:                              ;   in Loop: Header=BB14_14 Depth=1
	;; [unrolled: 42-line block ×3, first 2 shown]
	v_add_u32_e32 v1, s80, v136
	v_cmp_gt_i32_e32 vcc, s72, v1
	s_and_b64 exec, exec, vcc
	s_cbranch_execz .LBB14_139
; %bb.138:                              ;   in Loop: Header=BB14_14 Depth=1
	v_readlane_b32 s26, v238, 42
	s_nop 1
	v_mul_lo_u32 v4, v1, s26
	v_add_u32_e32 v1, 0, v176
	v_add_u32_e32 v1, 0xc0, v1
	ds_read2st64_b32 v[6:7], v1 offset1:13
	v_add_u32_e32 v1, 0x80, v177
	ds_read2st64_b32 v[8:9], v1 offset1:13
	v_ashrrev_i32_e32 v5, 31, v4
	v_readlane_b32 s26, v237, 2
	v_lshl_add_u64 v[4:5], v[4:5], 0, v[28:29]
	v_readlane_b32 s27, v237, 3
	s_waitcnt lgkmcnt(0)
	v_cvt_f32_f16_sdwa v11, v8 dst_sel:DWORD dst_unused:UNUSED_PAD src0_sel:WORD_1
	v_cvt_f32_f16_e32 v10, v8
	v_cvt_f32_f16_sdwa v13, v9 dst_sel:DWORD dst_unused:UNUSED_PAD src0_sel:WORD_1
	v_cvt_f32_f16_e32 v12, v9
	v_lshl_add_u64 v[4:5], v[4:5], 3, s[26:27]
	v_pk_fma_f32 v[10:11], v[6:7], v[10:11], 0 op_sel_hi:[0,1,0]
	v_mov_b32_e32 v6, v7
	v_pk_fma_f32 v[6:7], v[6:7], v[12:13], v[10:11] op_sel_hi:[0,1,1]
	global_store_dwordx2 v[4:5], v[6:7], off offset:256
.LBB14_139:                             ;   in Loop: Header=BB14_14 Depth=1
	s_or_b64 exec, exec, s[34:35]
	s_barrier
	s_branch .LBB14_13
.LBB14_140:                             ;   in Loop: Header=BB14_14 Depth=1
	s_lshl_b32 s2, s2, 5
	v_add_u32_e32 v1, s2, v138
	v_cmp_le_i32_e32 vcc, s72, v1
	s_and_saveexec_b64 s[26:27], vcc
	s_xor_b64 s[26:27], exec, s[26:27]
	s_cbranch_execz .LBB14_142
; %bb.141:                              ;   in Loop: Header=BB14_14 Depth=1
	ds_write_b32 v152, v2
                                        ; implicit-def: $vgpr1
.LBB14_142:                             ;   in Loop: Header=BB14_14 Depth=1
	s_andn2_saveexec_b64 s[26:27], s[26:27]
	s_cbranch_execz .LBB14_144
; %bb.143:                              ;   in Loop: Header=BB14_14 Depth=1
	v_mad_u64_u32 v[4:5], s[34:35], v1, s46, v[48:49]
	v_ashrrev_i32_e32 v5, 31, v4
	v_lshl_add_u64 v[4:5], v[4:5], 3, s[94:95]
	global_load_dwordx2 v[4:5], v[4:5], off
	s_waitcnt vmcnt(0)
	v_cvt_f16_f32_e32 v1, v4
	v_cvt_f16_f32_e32 v3, v5
	v_pack_b32_f16 v1, v1, v3
	v_pk_mul_f16 v1, v31, v1
	ds_write_b32 v152, v1
.LBB14_144:                             ;   in Loop: Header=BB14_14 Depth=1
	s_or_b64 exec, exec, s[26:27]
	v_add_u32_e32 v1, s2, v206
	v_cmp_le_i32_e32 vcc, s72, v1
	s_and_saveexec_b64 s[26:27], vcc
	s_xor_b64 s[26:27], exec, s[26:27]
	s_cbranch_execz .LBB14_146
; %bb.145:                              ;   in Loop: Header=BB14_14 Depth=1
	ds_write_b32 v152, v2 offset:1664
                                        ; implicit-def: $vgpr1
.LBB14_146:                             ;   in Loop: Header=BB14_14 Depth=1
	s_andn2_saveexec_b64 s[26:27], s[26:27]
	s_cbranch_execz .LBB14_148
; %bb.147:                              ;   in Loop: Header=BB14_14 Depth=1
	v_mad_u64_u32 v[4:5], s[34:35], v1, s46, v[48:49]
	v_ashrrev_i32_e32 v5, 31, v4
	v_lshl_add_u64 v[4:5], v[4:5], 3, s[94:95]
	global_load_dwordx2 v[4:5], v[4:5], off
	s_waitcnt vmcnt(0)
	v_cvt_f16_f32_e32 v1, v4
	v_cvt_f16_f32_e32 v3, v5
	v_pack_b32_f16 v1, v1, v3
	v_pk_mul_f16 v1, v31, v1
	ds_write_b32 v152, v1 offset:1664
.LBB14_148:                             ;   in Loop: Header=BB14_14 Depth=1
	s_or_b64 exec, exec, s[26:27]
	v_add_u32_e32 v1, s2, v207
	v_cmp_le_i32_e32 vcc, s72, v1
	s_and_saveexec_b64 s[26:27], vcc
	s_xor_b64 s[26:27], exec, s[26:27]
	s_cbranch_execz .LBB14_150
; %bb.149:                              ;   in Loop: Header=BB14_14 Depth=1
	ds_write_b32 v152, v2 offset:3328
                                        ; implicit-def: $vgpr1
.LBB14_150:                             ;   in Loop: Header=BB14_14 Depth=1
	s_andn2_saveexec_b64 s[26:27], s[26:27]
	s_cbranch_execz .LBB14_152
; %bb.151:                              ;   in Loop: Header=BB14_14 Depth=1
	v_mad_u64_u32 v[4:5], s[34:35], v1, s46, v[48:49]
	v_ashrrev_i32_e32 v5, 31, v4
	v_lshl_add_u64 v[4:5], v[4:5], 3, s[94:95]
	global_load_dwordx2 v[4:5], v[4:5], off
	s_waitcnt vmcnt(0)
	v_cvt_f16_f32_e32 v1, v4
	v_cvt_f16_f32_e32 v3, v5
	v_pack_b32_f16 v1, v1, v3
	v_pk_mul_f16 v1, v31, v1
	ds_write_b32 v152, v1 offset:3328
.LBB14_152:                             ;   in Loop: Header=BB14_14 Depth=1
	;; [unrolled: 24-line block ×3, first 2 shown]
	s_or_b64 exec, exec, s[26:27]
	v_add_u32_e32 v1, s2, v139
	v_cmp_le_i32_e32 vcc, s72, v1
	s_and_saveexec_b64 s[26:27], vcc
	s_xor_b64 s[26:27], exec, s[26:27]
	s_cbranch_execz .LBB14_158
; %bb.157:                              ;   in Loop: Header=BB14_14 Depth=1
	ds_write_b32 v153, v2 offset:128
                                        ; implicit-def: $vgpr1
.LBB14_158:                             ;   in Loop: Header=BB14_14 Depth=1
	s_andn2_saveexec_b64 s[26:27], s[26:27]
	s_cbranch_execz .LBB14_160
; %bb.159:                              ;   in Loop: Header=BB14_14 Depth=1
	v_mul_lo_u32 v4, v1, s46
	v_ashrrev_i32_e32 v5, 31, v4
	v_lshl_add_u64 v[4:5], v[4:5], 0, v[28:29]
	v_lshl_add_u64 v[4:5], v[4:5], 3, s[94:95]
	global_load_dwordx2 v[4:5], v[4:5], off offset:256
	s_waitcnt vmcnt(0)
	v_cvt_f16_f32_e32 v1, v4
	v_cvt_f16_f32_e32 v3, v5
	v_pack_b32_f16 v1, v1, v3
	v_pk_mul_f16 v1, v31, v1
	ds_write_b32 v153, v1 offset:128
.LBB14_160:                             ;   in Loop: Header=BB14_14 Depth=1
	s_or_b64 exec, exec, s[26:27]
	v_add_u32_e32 v1, s2, v209
	v_cmp_le_i32_e32 vcc, s72, v1
	s_and_saveexec_b64 s[26:27], vcc
	s_xor_b64 s[26:27], exec, s[26:27]
	s_cbranch_execz .LBB14_162
; %bb.161:                              ;   in Loop: Header=BB14_14 Depth=1
	ds_write_b32 v153, v2 offset:3456
                                        ; implicit-def: $vgpr1
.LBB14_162:                             ;   in Loop: Header=BB14_14 Depth=1
	s_andn2_saveexec_b64 s[26:27], s[26:27]
	s_cbranch_execz .LBB14_164
; %bb.163:                              ;   in Loop: Header=BB14_14 Depth=1
	v_mul_lo_u32 v4, v1, s46
	v_ashrrev_i32_e32 v5, 31, v4
	v_lshl_add_u64 v[4:5], v[4:5], 0, v[28:29]
	v_lshl_add_u64 v[4:5], v[4:5], 3, s[94:95]
	global_load_dwordx2 v[4:5], v[4:5], off offset:256
	s_waitcnt vmcnt(0)
	v_cvt_f16_f32_e32 v1, v4
	v_cvt_f16_f32_e32 v3, v5
	v_pack_b32_f16 v1, v1, v3
	v_pk_mul_f16 v1, v31, v1
	ds_write_b32 v153, v1 offset:3456
.LBB14_164:                             ;   in Loop: Header=BB14_14 Depth=1
	s_or_b64 exec, exec, s[26:27]
	s_waitcnt lgkmcnt(0)
	s_barrier
	ds_read2_b64 v[14:17], v143 offset1:4
	ds_read2_b64 v[10:13], v143 offset0:8 offset1:12
	ds_read2_b64 v[6:9], v143 offset0:16 offset1:20
	s_mov_b32 s38, 0
	s_cmp_lt_i32 s25, 2
	v_mov_b32_e32 v226, 0
	v_cmp_ne_u64_e64 s[34:35], 0, v[68:69]
	s_waitcnt lgkmcnt(0)
	s_barrier
	s_cbranch_scc1 .LBB14_175
; %bb.165:                              ;   in Loop: Header=BB14_14 Depth=1
	v_add_u32_e32 v1, s2, v101
	v_mul_hi_u32 v3, s88, v1
	v_add_u32_e32 v3, v1, v3
	v_lshrrev_b32_e32 v3, s89, v3
	v_mul_lo_u32 v3, v3, s72
	v_sub_u32_e32 v1, v1, v3
	v_add_u32_e32 v3, s2, v179
	v_mul_hi_u32 v4, s88, v3
	v_add_u32_e32 v4, v3, v4
	v_lshrrev_b32_e32 v4, s89, v4
	v_mul_lo_u32 v4, v4, s72
	v_sub_u32_e32 v3, v3, v4
	;; [unrolled: 6-line block ×7, first 2 shown]
	v_add_u32_e32 v21, s2, v191
	v_mul_hi_u32 v22, s88, v21
	v_add_u32_e32 v22, v21, v22
	v_lshrrev_b32_e32 v22, s89, v22
	s_add_i32 s38, s25, -1
	v_mul_lo_u32 v22, v22, s72
	v_readlane_b32 s25, v237, 4
	v_readlane_b32 s26, v237, 6
	v_sub_u32_e32 v21, v21, v22
	v_and_b32_e32 v22, 64, v178
	s_add_u32 s26, s25, s26
	v_readlane_b32 s25, v237, 5
	v_add_u32_e32 v22, 64, v22
	v_xor_b32_e32 v23, 32, v178
	s_addc_u32 s27, s25, s92
	v_cmp_lt_i32_e32 vcc, v23, v22
	v_lshl_add_u64 v[72:73], v[52:53], 0, s[26:27]
	v_lshl_add_u64 v[74:75], v[58:59], 0, s[26:27]
	;; [unrolled: 1-line block ×3, first 2 shown]
	v_readlane_b32 s25, v237, 7
	v_readlane_b32 s26, v237, 8
	v_cndmask_b32_e32 v23, v178, v23, vcc
	s_add_u32 s26, s25, s26
	v_lshlrev_b32_e32 v214, 2, v23
	v_xor_b32_e32 v23, 16, v178
	s_addc_u32 s27, s93, s90
	v_cmp_lt_i32_e32 vcc, v23, v22
	v_lshl_add_u64 v[78:79], v[56:57], 0, s[26:27]
	v_lshl_add_u64 v[80:81], v[62:63], 0, s[26:27]
	;; [unrolled: 1-line block ×3, first 2 shown]
	v_readlane_b32 s26, v238, 62
	v_cndmask_b32_e32 v22, v178, v23, vcc
	v_readlane_b32 s27, v238, 63
	s_mov_b32 s36, s26
	v_mov_b32_e32 v222, 0
	v_lshlrev_b32_e32 v215, 2, v22
	v_mov_b32_e32 v70, v66
	v_mov_b32_e32 v71, v66
	v_mad_i64_i32 v[84:85], s[26:27], s36, v5, v[68:69]
	v_mad_i64_i32 v[86:87], s[26:27], s36, v4, v[68:69]
	;; [unrolled: 1-line block ×8, first 2 shown]
	v_mov_b32_e32 v228, 0
	v_mov_b32_e32 v229, 0xfeffffff
	s_mov_b32 s25, s38
	v_mov_b32_e32 v223, 0
	v_mov_b32_e32 v221, 0
	v_mov_b32_e32 v220, 0
	v_mov_b32_e32 v219, 0
	v_mov_b32_e32 v218, 0
	v_mov_b32_e32 v217, 0
	v_mov_b32_e32 v216, 0
	v_mov_b32_e32 v225, 0
	v_mov_b32_e32 v224, 0
	v_mov_b32_e32 v227, 0
	v_mov_b32_e32 v226, 0
	v_cndmask_b32_e64 v1, 0, 1, s[34:35]
	v_cmp_ne_u32_e64 s[36:37], 1, v1
	s_andn2_b64 vcc, exec, s[34:35]
	s_cbranch_vccnz .LBB14_171
.LBB14_166:                             ;   in Loop: Header=BB14_14 Depth=1
                                        ; implicit-def: $sgpr39
	s_and_saveexec_b64 s[26:27], s[0:1]
	s_xor_b64 s[26:27], exec, s[26:27]
	s_cbranch_execz .LBB14_168
; %bb.167:                              ;   in Loop: Header=BB14_14 Depth=1
	ds_write_b16 v140, v2 offset:13312
	ds_write_b16 v180, v2 offset:13312
	;; [unrolled: 1-line block ×4, first 2 shown]
	s_mov_b32 s39, 0
.LBB14_168:                             ;   in Loop: Header=BB14_14 Depth=1
	s_or_saveexec_b64 s[26:27], s[26:27]
	v_mov_b32_e32 v1, s39
	v_mov_b32_e32 v3, s39
	;; [unrolled: 1-line block ×4, first 2 shown]
	s_xor_b64 exec, exec, s[26:27]
	s_cbranch_execz .LBB14_170
; %bb.169:                              ;   in Loop: Header=BB14_14 Depth=1
	v_lshl_add_u64 v[4:5], v[90:91], 0, v[34:35]
	flat_load_ushort v1, v[4:5]
	v_lshl_add_u64 v[4:5], v[88:89], 0, v[34:35]
	flat_load_ushort v3, v[4:5]
	;; [unrolled: 2-line block ×4, first 2 shown]
	s_waitcnt vmcnt(0) lgkmcnt(0)
	ds_write_b16 v140, v1 offset:13312
	ds_write_b16 v180, v3 offset:13312
	;; [unrolled: 1-line block ×4, first 2 shown]
	v_lshl_add_u64 v[4:5], v[98:99], 0, v[34:35]
	flat_load_ushort v1, v[4:5]
	v_lshl_add_u64 v[4:5], v[96:97], 0, v[34:35]
	flat_load_ushort v3, v[4:5]
	v_lshl_add_u64 v[4:5], v[94:95], 0, v[34:35]
	v_lshl_add_u64 v[18:19], v[92:93], 0, v[34:35]
	flat_load_ushort v4, v[4:5]
	s_nop 0
	flat_load_ushort v5, v[18:19]
.LBB14_170:                             ;   in Loop: Header=BB14_14 Depth=1
	s_or_b64 exec, exec, s[26:27]
	s_waitcnt vmcnt(0) lgkmcnt(0)
	ds_write_b16 v186, v1 offset:13312
	ds_write_b16 v188, v3 offset:13312
	;; [unrolled: 1-line block ×4, first 2 shown]
.LBB14_171:                             ;   Parent Loop BB14_14 Depth=1
                                        ; =>  This Inner Loop Header: Depth=2
	v_mov_b32_e32 v3, v2
	v_mov_b32_e32 v4, v2
	;; [unrolled: 1-line block ×5, first 2 shown]
	scratch_store_dwordx4 off, v[2:5], off
	v_cndmask_b32_e64 v19, v1, v79, s[52:53]
	v_cndmask_b32_e64 v18, v22, v78, s[52:53]
	flat_load_dwordx4 v[18:21], v[18:19]
	s_and_b64 vcc, exec, s[36:37]
	s_waitcnt vmcnt(0) lgkmcnt(0)
	ds_write_b128 v49, v[18:21]
	v_lshl_add_u64 v[18:19], v[80:81], 0, v[54:55]
	v_cndmask_b32_e64 v19, v1, v19, s[4:5]
	v_cndmask_b32_e64 v18, v22, v18, s[4:5]
	flat_load_dwordx4 v[18:21], v[18:19]
	s_waitcnt vmcnt(0) lgkmcnt(0)
	ds_write_b128 v106, v[18:21]
	v_lshl_add_u64 v[18:19], v[82:83], 0, v[54:55]
	v_cndmask_b32_e64 v19, v1, v19, s[6:7]
	v_cndmask_b32_e64 v18, v22, v18, s[6:7]
	flat_load_dwordx4 v[18:21], v[18:19]
	v_add_u32_e32 v1, v27, v142
	s_waitcnt vmcnt(0) lgkmcnt(0)
	ds_write_b128 v194, v[18:21]
	s_waitcnt lgkmcnt(0)
	s_barrier
	ds_read2_b64 v[18:21], v1 offset1:4
	s_waitcnt lgkmcnt(0)
	v_mfma_f32_16x16x16_f16 v[22:25], v[18:19], v[14:15], 0
	v_mfma_f32_16x16x16_f16 v[18:21], v[20:21], v[16:17], v[22:25]
	s_nop 5
	ds_read2_b64 v[22:25], v1 offset0:8 offset1:12
	s_waitcnt lgkmcnt(0)
	v_mfma_f32_16x16x16_f16 v[18:21], v[22:23], v[10:11], v[18:21]
	v_mfma_f32_16x16x16_f16 v[18:21], v[24:25], v[12:13], v[18:21]
	ds_read2_b64 v[22:25], v1 offset0:16 offset1:20
	v_add_u32_e32 v1, 0x1800, v1
	s_waitcnt lgkmcnt(0)
	v_mfma_f32_16x16x16_f16 v[18:21], v[22:23], v[6:7], v[18:21]
	v_mfma_f32_16x16x16_f16 v[22:25], v[24:25], v[8:9], v[18:21]
	s_nop 5
	ds_read2_b64 v[18:21], v1 offset0:64 offset1:68
	s_waitcnt lgkmcnt(0)
	v_mfma_f32_16x16x16_f16 v[230:233], v[18:19], v[14:15], 0
	v_mfma_f32_16x16x16_f16 v[18:21], v[20:21], v[16:17], v[230:233]
	s_nop 5
	ds_read2_b64 v[230:233], v1 offset0:72 offset1:76
	s_waitcnt lgkmcnt(0)
	v_mfma_f32_16x16x16_f16 v[18:21], v[230:231], v[10:11], v[18:21]
	v_mfma_f32_16x16x16_f16 v[18:21], v[232:233], v[12:13], v[18:21]
	ds_read2_b64 v[230:233], v1 offset0:80 offset1:84
	s_waitcnt lgkmcnt(0)
	s_barrier
	v_mfma_f32_16x16x16_f16 v[18:21], v[230:231], v[6:7], v[18:21]
	v_mfma_f32_16x16x16_f16 v[18:21], v[232:233], v[8:9], v[18:21]
	s_cbranch_vccnz .LBB14_173
; %bb.172:                              ;   in Loop: Header=BB14_171 Depth=2
	v_add_u32_e32 v1, 0x3400, v144
	ds_read2_b32 v[230:231], v1 offset1:1
	ds_read_b32 v1, v146 offset:13312
	v_mov_b32_e32 v67, v66
	s_waitcnt lgkmcnt(1)
	v_cvt_f32_f16_e32 v232, v230
	v_cvt_f32_f16_sdwa v233, v230 dst_sel:DWORD dst_unused:UNUSED_PAD src0_sel:WORD_1
	v_cvt_f32_f16_e32 v230, v231
	v_cvt_f32_f16_sdwa v231, v231 dst_sel:DWORD dst_unused:UNUSED_PAD src0_sel:WORD_1
	v_pk_fma_f32 v[22:23], v[70:71], v[232:233], v[22:23]
	v_pk_fma_f32 v[24:25], v[66:67], v[230:231], v[24:25]
	s_waitcnt lgkmcnt(0)
	v_cvt_f32_f16_sdwa v231, v1 dst_sel:DWORD dst_unused:UNUSED_PAD src0_sel:WORD_1
	v_cvt_f32_f16_e32 v230, v1
	ds_read_b32 v1, v148 offset:13312
	v_pk_fma_f32 v[18:19], v[70:71], v[230:231], v[18:19]
	s_waitcnt lgkmcnt(0)
	v_cvt_f32_f16_sdwa v233, v1 dst_sel:DWORD dst_unused:UNUSED_PAD src0_sel:WORD_1
	v_cvt_f32_f16_e32 v232, v1
	v_pk_fma_f32 v[20:21], v[66:67], v[232:233], v[20:21]
.LBB14_173:                             ;   in Loop: Header=BB14_171 Depth=2
	v_add_f32_e32 v1, 0x40051340, v22
	v_max_f32_e32 v67, v229, v229
	v_max_f32_e32 v1, v67, v1
	v_cndmask_b32_e64 v1, v229, v1, s[8:9]
	v_add_f32_e32 v67, 0x40051340, v23
	v_max_f32_e32 v230, v1, v1
	v_max_f32_e32 v67, v230, v67
	v_cndmask_b32_e64 v1, v1, v67, s[10:11]
	;; [unrolled: 4-line block ×8, first 2 shown]
	ds_bpermute_b32 v67, v214, v1
	v_max_f32_e32 v1, v1, v1
	v_cndmask_b32_e64 v24, v24, v24, s[10:11]
	v_cndmask_b32_e64 v25, v25, v25, s[10:11]
	;; [unrolled: 1-line block ×3, first 2 shown]
	s_waitcnt lgkmcnt(0)
	v_max_f32_e32 v67, v67, v67
	v_max_f32_e32 v1, v1, v67
	ds_bpermute_b32 v67, v215, v1
	v_cndmask_b32_e64 v20, v20, v20, s[16:17]
	v_cndmask_b32_e64 v21, v21, v21, s[16:17]
	scratch_store_dwordx4 off, v[2:5], off
	s_add_i32 s25, s25, -1
	s_waitcnt lgkmcnt(0)
	v_max_f32_e32 v67, v67, v67
	v_max_f32_e32 v1, v1, v67
	v_sub_f32_e32 v22, v22, v1
	v_mul_f32_e32 v67, 0x3fb8aa3b, v22
	v_fma_f32 v230, v22, s76, -v67
	v_rndne_f32_e32 v231, v67
	v_fmac_f32_e32 v230, 0x32a5705f, v22
	v_sub_f32_e32 v67, v67, v231
	v_add_f32_e32 v67, v67, v230
	v_exp_f32_e32 v67, v67
	v_cvt_i32_f32_e32 v230, v231
	v_cmp_ngt_f32_e32 vcc, s77, v22
	v_sub_f32_e32 v18, v18, v1
	v_sub_f32_e32 v19, v19, v1
	v_ldexp_f32 v67, v67, v230
	v_cndmask_b32_e32 v67, 0, v67, vcc
	v_cmp_nlt_f32_e32 vcc, s73, v22
	v_mov_b32_e32 v3, s83
	v_cndmask_b32_e64 v5, v3, v73, s[52:53]
	v_cndmask_b32_e32 v22, v212, v67, vcc
	v_cndmask_b32_e64 v230, 0, v22, s[8:9]
	v_sub_f32_e32 v22, v23, v1
	v_mul_f32_e32 v23, 0x3fb8aa3b, v22
	v_fma_f32 v67, v22, s76, -v23
	v_rndne_f32_e32 v231, v23
	v_fmac_f32_e32 v67, 0x32a5705f, v22
	v_sub_f32_e32 v23, v23, v231
	v_add_f32_e32 v23, v23, v67
	v_exp_f32_e32 v23, v23
	v_cvt_i32_f32_e32 v67, v231
	v_cmp_ngt_f32_e32 vcc, s77, v22
	v_lshl_add_u64 v[78:79], v[78:79], 0, s[96:97]
	v_lshl_add_u64 v[80:81], v[80:81], 0, s[96:97]
	v_ldexp_f32 v23, v23, v67
	v_cndmask_b32_e32 v23, 0, v23, vcc
	v_cmp_nlt_f32_e32 vcc, s73, v22
	v_lshl_add_u64 v[82:83], v[82:83], 0, s[96:97]
	v_lshl_add_u64 v[84:85], v[84:85], 0, s[84:85]
	v_cndmask_b32_e32 v22, v212, v23, vcc
	v_mov_b32_e32 v23, s81
	v_add_f32_e32 v67, v22, v230
	v_cndmask_b32_e64 v231, v23, v22, s[10:11]
	v_sub_f32_e32 v22, v24, v1
	v_mul_f32_e32 v24, 0x3fb8aa3b, v22
	v_cndmask_b32_e64 v23, v230, v67, s[10:11]
	v_fma_f32 v67, v22, s76, -v24
	v_rndne_f32_e32 v232, v24
	v_fmac_f32_e32 v67, 0x32a5705f, v22
	v_sub_f32_e32 v24, v24, v232
	v_add_f32_e32 v24, v24, v67
	v_exp_f32_e32 v24, v24
	v_cvt_i32_f32_e32 v67, v232
	v_cmp_ngt_f32_e32 vcc, s77, v22
	v_lshl_add_u64 v[86:87], v[86:87], 0, s[84:85]
	v_lshl_add_u64 v[88:89], v[88:89], 0, s[84:85]
	v_ldexp_f32 v24, v24, v67
	v_cndmask_b32_e32 v24, 0, v24, vcc
	v_cmp_nlt_f32_e32 vcc, s73, v22
	v_mov_b32_e32 v22, s81
	v_lshl_add_u64 v[90:91], v[90:91], 0, s[84:85]
	v_cndmask_b32_e32 v24, v212, v24, vcc
	v_add_f32_e32 v67, v23, v24
	v_cndmask_b32_e64 v232, v22, v24, s[12:13]
	v_cndmask_b32_e64 v22, v23, v67, s[12:13]
	v_sub_f32_e32 v23, v25, v1
	v_mul_f32_e32 v24, 0x3fb8aa3b, v23
	v_fma_f32 v25, v23, s76, -v24
	v_rndne_f32_e32 v67, v24
	v_fmac_f32_e32 v25, 0x32a5705f, v23
	v_sub_f32_e32 v24, v24, v67
	v_add_f32_e32 v24, v24, v25
	v_exp_f32_e32 v24, v24
	v_cvt_i32_f32_e32 v25, v67
	v_cmp_ngt_f32_e32 vcc, s77, v23
	v_lshl_add_u64 v[92:93], v[92:93], 0, s[84:85]
	v_lshl_add_u64 v[94:95], v[94:95], 0, s[84:85]
	v_ldexp_f32 v24, v24, v25
	v_cndmask_b32_e32 v24, 0, v24, vcc
	v_cmp_nlt_f32_e32 vcc, s73, v23
	v_mov_b32_e32 v23, s81
	v_lshl_add_u64 v[96:97], v[96:97], 0, s[84:85]
	v_cndmask_b32_e32 v24, v212, v24, vcc
	v_add_f32_e32 v25, v22, v24
	v_cndmask_b32_e64 v233, v23, v24, s[14:15]
	v_mul_f32_e32 v23, 0x3fb8aa3b, v18
	v_cndmask_b32_e64 v22, v22, v25, s[14:15]
	v_fma_f32 v24, v18, s76, -v23
	v_rndne_f32_e32 v25, v23
	v_fmac_f32_e32 v24, 0x32a5705f, v18
	v_sub_f32_e32 v23, v23, v25
	v_add_f32_e32 v23, v23, v24
	v_exp_f32_e32 v23, v23
	v_cvt_i32_f32_e32 v24, v25
	v_cmp_ngt_f32_e32 vcc, s77, v18
	v_lshl_add_u64 v[98:99], v[98:99], 0, s[84:85]
	s_cmp_lg_u32 s25, 0
	v_ldexp_f32 v23, v23, v24
	v_cndmask_b32_e32 v23, 0, v23, vcc
	v_cmp_nlt_f32_e32 vcc, s73, v18
	v_mov_b32_e32 v18, s81
	s_nop 0
	v_cndmask_b32_e32 v23, v212, v23, vcc
	v_add_f32_e32 v24, v23, v22
	v_cndmask_b32_e64 v234, v18, v23, s[16:17]
	v_cndmask_b32_e64 v18, v22, v24, s[16:17]
	v_mul_f32_e32 v22, 0x3fb8aa3b, v19
	v_fma_f32 v23, v19, s76, -v22
	v_rndne_f32_e32 v24, v22
	v_fmac_f32_e32 v23, 0x32a5705f, v19
	v_sub_f32_e32 v22, v22, v24
	v_add_f32_e32 v22, v22, v23
	v_exp_f32_e32 v22, v22
	v_cvt_i32_f32_e32 v23, v24
	v_cmp_ngt_f32_e32 vcc, s77, v19
	v_ldexp_f32 v22, v22, v23
	s_nop 0
	v_cndmask_b32_e32 v22, 0, v22, vcc
	v_cmp_nlt_f32_e32 vcc, s73, v19
	v_mov_b32_e32 v19, s81
	s_nop 0
	v_cndmask_b32_e32 v22, v212, v22, vcc
	v_add_f32_e32 v23, v22, v18
	v_cndmask_b32_e64 v235, v19, v22, s[18:19]
	v_cndmask_b32_e64 v19, v18, v23, s[18:19]
	v_sub_f32_e32 v18, v20, v1
	v_mul_f32_e32 v20, 0x3fb8aa3b, v18
	v_fma_f32 v22, v18, s76, -v20
	v_rndne_f32_e32 v23, v20
	v_fmac_f32_e32 v22, 0x32a5705f, v18
	v_sub_f32_e32 v20, v20, v23
	v_add_f32_e32 v20, v20, v22
	v_exp_f32_e32 v20, v20
	v_cvt_i32_f32_e32 v22, v23
	v_cmp_ngt_f32_e32 vcc, s77, v18
	v_ldexp_f32 v20, v20, v22
	s_nop 0
	v_cndmask_b32_e32 v20, 0, v20, vcc
	v_cmp_nlt_f32_e32 vcc, s73, v18
	v_mov_b32_e32 v18, s81
	s_nop 0
	v_cndmask_b32_e32 v20, v212, v20, vcc
	v_add_f32_e32 v22, v20, v19
	v_cndmask_b32_e64 v236, v18, v20, s[20:21]
	v_cndmask_b32_e64 v18, v19, v22, s[20:21]
	v_sub_f32_e32 v19, v21, v1
	v_mul_f32_e32 v20, 0x3fb8aa3b, v19
	v_fma_f32 v21, v19, s76, -v20
	v_rndne_f32_e32 v22, v20
	v_fmac_f32_e32 v21, 0x32a5705f, v19
	v_sub_f32_e32 v20, v20, v22
	v_add_f32_e32 v20, v20, v21
	v_exp_f32_e32 v20, v20
	v_cvt_i32_f32_e32 v21, v22
	v_cmp_ngt_f32_e32 vcc, s77, v19
	v_ldexp_f32 v20, v20, v21
	s_nop 0
	v_cndmask_b32_e32 v20, 0, v20, vcc
	v_cmp_nlt_f32_e32 vcc, s73, v19
	v_mov_b32_e32 v19, s81
	s_nop 0
	v_cndmask_b32_e32 v20, v212, v20, vcc
	v_add_f32_e32 v21, v20, v18
	v_cndmask_b32_e64 v22, v18, v21, s[22:23]
	v_sub_f32_e32 v18, v229, v1
	v_cndmask_b32_e64 v19, v19, v20, s[22:23]
	v_mul_f32_e32 v20, 0x3fb8aa3b, v18
	v_fma_f32 v21, v18, s76, -v20
	v_rndne_f32_e32 v23, v20
	v_fmac_f32_e32 v21, 0x32a5705f, v18
	v_sub_f32_e32 v20, v20, v23
	v_add_f32_e32 v20, v20, v21
	v_exp_f32_e32 v20, v20
	v_cvt_i32_f32_e32 v21, v23
	v_cmp_ngt_f32_e32 vcc, s77, v18
	v_cvt_f16_f32_e32 v19, v19
	v_ldexp_f32 v20, v20, v21
	v_cndmask_b32_e32 v20, 0, v20, vcc
	v_cmp_nlt_f32_e32 vcc, s73, v18
	v_cvt_f16_f32_e32 v21, v233
	s_nop 0
	v_cndmask_b32_e32 v20, v212, v20, vcc
	v_cmp_le_f32_e32 vcc, s79, v18
	s_nop 1
	v_cndmask_b32_e32 v18, 0, v20, vcc
	v_fmac_f32_e32 v22, v228, v18
	v_cvt_f16_f32_e32 v18, v18
	v_cvt_f16_f32_e32 v20, v231
	v_pk_mul_f16 v217, v18, v217 op_sel_hi:[0,1]
	v_pk_mul_f16 v216, v18, v216 op_sel_hi:[0,1]
	;; [unrolled: 1-line block ×12, first 2 shown]
	v_cvt_f16_f32_e32 v18, v230
	v_cvt_f16_f32_e32 v223, v235
	v_pack_b32_f16 v20, v18, v20
	v_cvt_f16_f32_e32 v18, v232
	v_pack_b32_f16 v21, v18, v21
	;; [unrolled: 2-line block ×4, first 2 shown]
	v_mov_b32_e32 v223, s82
	v_cndmask_b32_e64 v4, v223, v72, s[52:53]
	flat_load_dwordx4 v[224:227], v[4:5]
	v_lshl_add_u64 v[4:5], v[74:75], 0, v[54:55]
	v_cndmask_b32_e64 v5, v3, v5, s[4:5]
	v_cndmask_b32_e64 v4, v223, v4, s[4:5]
	v_lshl_add_u64 v[72:73], v[72:73], 0, s[30:31]
	v_lshl_add_u64 v[74:75], v[74:75], 0, s[30:31]
	s_waitcnt vmcnt(0) lgkmcnt(0)
	ds_write_b128 v49, v[224:227]
	flat_load_dwordx4 v[224:227], v[4:5]
	v_lshl_add_u64 v[4:5], v[76:77], 0, v[54:55]
	v_cndmask_b32_e64 v5, v3, v5, s[6:7]
	v_cndmask_b32_e64 v4, v223, v4, s[6:7]
	v_lshl_add_u64 v[76:77], v[76:77], 0, s[30:31]
	s_waitcnt vmcnt(0) lgkmcnt(0)
	ds_write_b128 v106, v[224:227]
	flat_load_dwordx4 v[224:227], v[4:5]
	s_waitcnt vmcnt(0) lgkmcnt(0)
	ds_write_b128 v194, v[224:227]
	s_waitcnt lgkmcnt(0)
	s_barrier
	ds_read_u16 v3, v108 offset:208
	ds_read_u16 v4, v108 offset:416
	ds_read_u16 v5, v109
	ds_read_u16 v223, v109 offset:32
	v_cvt_f32_f16_e32 v224, v217
	v_cvt_f32_f16_sdwa v225, v217 dst_sel:DWORD dst_unused:UNUSED_PAD src0_sel:WORD_1
	v_cvt_f32_f16_e32 v226, v216
	s_waitcnt lgkmcnt(1)
	v_perm_b32 v5, v5, v4, s24
	ds_read_u16 v4, v107
	ds_read_u16 v229, v107 offset:32
	v_cvt_f32_f16_sdwa v227, v216 dst_sel:DWORD dst_unused:UNUSED_PAD src0_sel:WORD_1
	ds_read_u16 v217, v107 offset:6656
	ds_read_u16 v230, v195 offset:208
	;; [unrolled: 1-line block ×4, first 2 shown]
	s_waitcnt lgkmcnt(5)
	v_perm_b32 v4, v3, v4, s24
	s_nop 1
	v_mfma_f32_16x16x16_f16 v[224:227], v[4:5], v[20:21], v[224:227]
	s_nop 6
	v_cvt_f16_f32_e32 v4, v225
	v_cvt_f16_f32_e32 v5, v226
	;; [unrolled: 1-line block ×4, first 2 shown]
	v_cvt_f32_f16_e32 v225, v4
	v_cvt_f32_f16_e32 v226, v5
	s_waitcnt lgkmcnt(0)
	v_perm_b32 v5, v232, v231, s24
	v_perm_b32 v4, v230, v217, s24
	v_cvt_f32_f16_e32 v224, v3
	v_cvt_f32_f16_e32 v227, v216
	s_nop 1
	v_mfma_f32_16x16x16_f16 v[224:227], v[4:5], v[18:19], v[224:227]
	s_nop 6
	v_cvt_f16_f32_e32 v3, v224
	v_cvt_f16_f32_e32 v4, v225
	;; [unrolled: 1-line block ×4, first 2 shown]
	v_cvt_f32_f16_e32 v224, v219
	v_pack_b32_f16 v217, v3, v4
	ds_read_u16 v3, v196 offset:208
	ds_read_u16 v4, v196 offset:416
	v_pack_b32_f16 v216, v5, v216
	v_cvt_f32_f16_sdwa v225, v219 dst_sel:DWORD dst_unused:UNUSED_PAD src0_sel:WORD_1
	v_cvt_f32_f16_e32 v226, v218
	v_cvt_f32_f16_sdwa v227, v218 dst_sel:DWORD dst_unused:UNUSED_PAD src0_sel:WORD_1
	s_waitcnt lgkmcnt(0)
	v_perm_b32 v5, v223, v4, s24
	v_perm_b32 v4, v3, v229, s24
	ds_read_u16 v219, v110 offset:6656
	ds_read_u16 v223, v111 offset:208
	;; [unrolled: 1-line block ×4, first 2 shown]
	v_mfma_f32_16x16x16_f16 v[224:227], v[4:5], v[20:21], v[224:227]
	s_nop 6
	v_cvt_f16_f32_e32 v4, v225
	v_cvt_f16_f32_e32 v5, v226
	;; [unrolled: 1-line block ×4, first 2 shown]
	v_cvt_f32_f16_e32 v225, v4
	v_cvt_f32_f16_e32 v226, v5
	s_waitcnt lgkmcnt(0)
	v_perm_b32 v5, v230, v229, s24
	v_perm_b32 v4, v223, v219, s24
	v_cvt_f32_f16_e32 v224, v3
	v_cvt_f32_f16_e32 v227, v218
	s_nop 1
	v_mfma_f32_16x16x16_f16 v[224:227], v[4:5], v[18:19], v[224:227]
	s_nop 6
	v_cvt_f16_f32_e32 v3, v224
	v_cvt_f16_f32_e32 v4, v225
	v_cvt_f16_f32_e32 v5, v226
	v_cvt_f16_f32_e32 v218, v227
	v_cvt_f32_f16_e32 v224, v221
	v_pack_b32_f16 v219, v3, v4
	v_cvt_f32_f16_sdwa v225, v221 dst_sel:DWORD dst_unused:UNUSED_PAD src0_sel:WORD_1
	v_pack_b32_f16 v218, v5, v218
	ds_read_u16 v3, v107 offset:64
	ds_read_u16 v4, v197 offset:208
	;; [unrolled: 1-line block ×4, first 2 shown]
	v_cvt_f32_f16_e32 v226, v220
	v_cvt_f32_f16_sdwa v227, v220 dst_sel:DWORD dst_unused:UNUSED_PAD src0_sel:WORD_1
	s_waitcnt lgkmcnt(2)
	v_perm_b32 v4, v4, v3, s24
	s_waitcnt lgkmcnt(0)
	v_perm_b32 v5, v223, v5, s24
	ds_read_u16 v221, v113 offset:6656
	ds_read_u16 v223, v114 offset:208
	;; [unrolled: 1-line block ×4, first 2 shown]
	v_mfma_f32_16x16x16_f16 v[224:227], v[4:5], v[20:21], v[224:227]
	s_nop 6
	v_cvt_f16_f32_e32 v4, v225
	v_cvt_f16_f32_e32 v5, v226
	;; [unrolled: 1-line block ×4, first 2 shown]
	v_cvt_f32_f16_e32 v225, v4
	v_cvt_f32_f16_e32 v226, v5
	s_waitcnt lgkmcnt(0)
	v_perm_b32 v5, v230, v229, s24
	v_perm_b32 v4, v223, v221, s24
	v_cvt_f32_f16_e32 v224, v3
	v_cvt_f32_f16_e32 v227, v220
	s_nop 1
	v_mfma_f32_16x16x16_f16 v[224:227], v[4:5], v[18:19], v[224:227]
	s_nop 6
	v_cvt_f16_f32_e32 v3, v224
	v_cvt_f16_f32_e32 v4, v225
	;; [unrolled: 1-line block ×4, first 2 shown]
	v_cvt_f32_f16_e32 v224, v228
	v_pack_b32_f16 v221, v3, v4
	v_cvt_f32_f16_sdwa v225, v228 dst_sel:DWORD dst_unused:UNUSED_PAD src0_sel:WORD_1
	v_pack_b32_f16 v220, v5, v220
	ds_read_u16 v3, v107 offset:96
	ds_read_u16 v4, v198 offset:208
	;; [unrolled: 1-line block ×4, first 2 shown]
	v_cvt_f32_f16_e32 v226, v222
	v_cvt_f32_f16_sdwa v227, v222 dst_sel:DWORD dst_unused:UNUSED_PAD src0_sel:WORD_1
	s_waitcnt lgkmcnt(2)
	v_perm_b32 v4, v4, v3, s24
	s_waitcnt lgkmcnt(0)
	v_perm_b32 v5, v223, v5, s24
	s_nop 1
	v_mfma_f32_16x16x16_f16 v[222:225], v[4:5], v[20:21], v[224:227]
	s_nop 2
	ds_read_u16 v226, v116 offset:6656
	ds_read_u16 v227, v117 offset:208
	;; [unrolled: 1-line block ×4, first 2 shown]
	v_cvt_f16_f32_e32 v4, v223
	v_cvt_f16_f32_e32 v5, v224
	;; [unrolled: 1-line block ×4, first 2 shown]
	v_cvt_f32_f16_e32 v223, v4
	v_cvt_f32_f16_e32 v224, v5
	s_waitcnt lgkmcnt(0)
	v_perm_b32 v5, v229, v228, s24
	v_perm_b32 v4, v227, v226, s24
	v_cvt_f32_f16_e32 v222, v3
	v_cvt_f32_f16_e32 v225, v225
	;; [unrolled: 1-line block ×3, first 2 shown]
	v_cvt_f32_f16_sdwa v227, v25 dst_sel:DWORD dst_unused:UNUSED_PAD src0_sel:WORD_1
	v_mfma_f32_16x16x16_f16 v[222:225], v[4:5], v[18:19], v[222:225]
	s_nop 6
	v_cvt_f16_f32_e32 v3, v222
	v_cvt_f16_f32_e32 v4, v223
	;; [unrolled: 1-line block ×4, first 2 shown]
	v_cvt_f32_f16_e32 v224, v67
	v_pack_b32_f16 v222, v3, v4
	v_cvt_f32_f16_sdwa v225, v67 dst_sel:DWORD dst_unused:UNUSED_PAD src0_sel:WORD_1
	v_pack_b32_f16 v223, v5, v223
	ds_read_u16 v3, v107 offset:128
	ds_read_u16 v4, v199 offset:208
	;; [unrolled: 1-line block ×4, first 2 shown]
	s_waitcnt lgkmcnt(2)
	v_perm_b32 v4, v4, v3, s24
	s_waitcnt lgkmcnt(0)
	v_perm_b32 v5, v228, v5, s24
	ds_read_u16 v67, v119 offset:6656
	ds_read_u16 v228, v120 offset:208
	;; [unrolled: 1-line block ×4, first 2 shown]
	v_mfma_f32_16x16x16_f16 v[224:227], v[4:5], v[20:21], v[224:227]
	s_nop 6
	v_cvt_f16_f32_e32 v4, v225
	v_cvt_f16_f32_e32 v5, v226
	;; [unrolled: 1-line block ×4, first 2 shown]
	v_cvt_f32_f16_e32 v225, v4
	v_cvt_f32_f16_e32 v226, v5
	s_waitcnt lgkmcnt(0)
	v_perm_b32 v5, v230, v229, s24
	v_perm_b32 v4, v228, v67, s24
	v_cvt_f32_f16_e32 v224, v3
	v_cvt_f32_f16_e32 v227, v25
	;; [unrolled: 1-line block ×3, first 2 shown]
	v_cvt_f32_f16_sdwa v229, v23 dst_sel:DWORD dst_unused:UNUSED_PAD src0_sel:WORD_1
	v_mfma_f32_16x16x16_f16 v[224:227], v[4:5], v[18:19], v[224:227]
	s_nop 6
	v_cvt_f16_f32_e32 v3, v224
	v_cvt_f16_f32_e32 v4, v225
	;; [unrolled: 1-line block ×4, first 2 shown]
	v_cvt_f32_f16_e32 v226, v24
	v_pack_b32_f16 v225, v3, v4
	v_cvt_f32_f16_sdwa v227, v24 dst_sel:DWORD dst_unused:UNUSED_PAD src0_sel:WORD_1
	v_pack_b32_f16 v224, v5, v25
	ds_read_u16 v3, v107 offset:160
	ds_read_u16 v4, v200 offset:208
	ds_read_u16 v5, v200 offset:416
	ds_read_u16 v25, v109 offset:160
	s_waitcnt lgkmcnt(2)
	v_perm_b32 v4, v4, v3, s24
	s_waitcnt lgkmcnt(0)
	v_perm_b32 v5, v25, v5, s24
	s_nop 1
	v_mfma_f32_16x16x16_f16 v[226:229], v[4:5], v[20:21], v[226:229]
	ds_read_u16 v21, v122 offset:6656
	ds_read_u16 v23, v123 offset:208
	;; [unrolled: 1-line block ×4, first 2 shown]
	s_waitcnt lgkmcnt(0)
	s_barrier
	s_nop 0
	v_cvt_f16_f32_e32 v4, v227
	v_cvt_f16_f32_e32 v5, v228
	;; [unrolled: 1-line block ×4, first 2 shown]
	v_cvt_f32_f16_e32 v227, v4
	v_cvt_f32_f16_e32 v228, v5
	v_perm_b32 v5, v25, v24, s24
	v_perm_b32 v4, v23, v21, s24
	v_cvt_f32_f16_e32 v226, v3
	v_cvt_f32_f16_e32 v229, v20
	s_nop 1
	v_mfma_f32_16x16x16_f16 v[18:21], v[4:5], v[18:19], v[226:229]
	s_nop 6
	v_cvt_f16_f32_e32 v3, v18
	v_cvt_f16_f32_e32 v4, v19
	;; [unrolled: 1-line block ×4, first 2 shown]
	v_pack_b32_f16 v227, v3, v4
	v_pack_b32_f16 v226, v5, v18
	s_cbranch_scc0 .LBB14_176
; %bb.174:                              ;   in Loop: Header=BB14_171 Depth=2
	v_mov_b32_e32 v228, v22
	v_mov_b32_e32 v229, v1
	v_cndmask_b32_e64 v1, 0, 1, s[34:35]
	v_cmp_ne_u32_e64 s[36:37], 1, v1
	s_andn2_b64 vcc, exec, s[34:35]
	s_cbranch_vccz .LBB14_166
	s_branch .LBB14_171
.LBB14_175:                             ;   in Loop: Header=BB14_14 Depth=1
	v_mov_b32_e32 v22, 0
	v_mov_b32_e32 v1, 0xfeffffff
	;; [unrolled: 1-line block ×13, first 2 shown]
.LBB14_176:                             ;   in Loop: Header=BB14_14 Depth=1
	s_lshl_b32 s80, s38, 6
	v_readlane_b32 s26, v238, 4
	v_cmp_eq_u64_e32 vcc, 0, v[68:69]
	s_sub_i32 s25, s26, s80
	v_cmp_ne_u64_e64 s[40:41], 0, v[68:69]
	v_readlane_b32 s27, v238, 5
	s_cbranch_vccnz .LBB14_186
; %bb.177:                              ;   in Loop: Header=BB14_14 Depth=1
	v_cmp_le_i32_e32 vcc, s25, v26
                                        ; implicit-def: $sgpr34
	s_and_saveexec_b64 s[26:27], vcc
	s_xor_b64 s[26:27], exec, s[26:27]
	s_cbranch_execz .LBB14_179
; %bb.178:                              ;   in Loop: Header=BB14_14 Depth=1
	ds_write_b16 v140, v2 offset:13312
	ds_write_b16 v180, v2 offset:13312
	s_mov_b32 s34, 0
.LBB14_179:                             ;   in Loop: Header=BB14_14 Depth=1
	s_or_saveexec_b64 s[26:27], s[26:27]
	s_lshl_b64 s[36:37], s[80:81], 1
	v_lshl_add_u64 v[4:5], v[68:69], 0, s[36:37]
	v_lshlrev_b32_e32 v18, 1, v26
	v_mov_b32_e32 v19, v2
	v_lshl_add_u64 v[4:5], v[4:5], 0, v[18:19]
	v_mov_b32_e32 v3, s34
	v_mov_b32_e32 v18, s34
	s_xor_b64 exec, exec, s[26:27]
	s_cbranch_execz .LBB14_181
; %bb.180:                              ;   in Loop: Header=BB14_14 Depth=1
	v_add_u32_e32 v3, s2, v101
	v_mul_hi_u32 v18, s88, v3
	v_add_u32_e32 v18, v3, v18
	v_lshrrev_b32_e32 v18, s89, v18
	v_mul_lo_u32 v18, v18, s72
	v_readlane_b32 s34, v238, 60
	v_sub_u32_e32 v3, v3, v18
	v_readlane_b32 s35, v238, 61
	s_mov_b32 s36, s34
	v_mad_i64_i32 v[18:19], s[34:35], v3, s36, 0
	v_lshl_add_u64 v[18:19], v[18:19], 1, v[4:5]
	flat_load_ushort v3, v[18:19]
	v_add_u32_e32 v18, s2, v179
	v_mul_hi_u32 v19, s88, v18
	v_add_u32_e32 v19, v18, v19
	v_lshrrev_b32_e32 v19, s89, v19
	v_mul_lo_u32 v19, v19, s72
	v_sub_u32_e32 v18, v18, v19
	v_mad_i64_i32 v[18:19], s[34:35], v18, s36, 0
	v_lshl_add_u64 v[18:19], v[18:19], 1, v[4:5]
	flat_load_ushort v18, v[18:19]
	s_waitcnt vmcnt(0) lgkmcnt(0)
	ds_write_b16 v140, v3 offset:13312
	ds_write_b16 v180, v18 offset:13312
	v_add_u32_e32 v3, s2, v181
	v_mul_hi_u32 v18, s88, v3
	v_add_u32_e32 v18, v3, v18
	v_lshrrev_b32_e32 v18, s89, v18
	v_mul_lo_u32 v18, v18, s72
	v_sub_u32_e32 v3, v3, v18
	v_mad_i64_i32 v[18:19], s[34:35], v3, s36, 0
	v_lshl_add_u64 v[18:19], v[18:19], 1, v[4:5]
	flat_load_ushort v3, v[18:19]
	v_add_u32_e32 v18, s2, v183
	v_mul_hi_u32 v19, s88, v18
	v_add_u32_e32 v19, v18, v19
	v_lshrrev_b32_e32 v19, s89, v19
	v_mul_lo_u32 v19, v19, s72
	v_sub_u32_e32 v18, v18, v19
	v_mad_i64_i32 v[18:19], s[34:35], v18, s36, 0
	v_lshl_add_u64 v[18:19], v[18:19], 1, v[4:5]
	flat_load_ushort v18, v[18:19]
.LBB14_181:                             ;   in Loop: Header=BB14_14 Depth=1
	s_or_b64 exec, exec, s[26:27]
	s_waitcnt vmcnt(0) lgkmcnt(0)
	ds_write_b16 v182, v3 offset:13312
	ds_write_b16 v184, v18 offset:13312
                                        ; implicit-def: $sgpr34
	s_and_saveexec_b64 s[26:27], vcc
	s_xor_b64 s[26:27], exec, s[26:27]
	s_cbranch_execz .LBB14_183
; %bb.182:                              ;   in Loop: Header=BB14_14 Depth=1
	ds_write_b16 v186, v2 offset:13312
	ds_write_b16 v188, v2 offset:13312
	s_mov_b32 s34, 0
                                        ; implicit-def: $vgpr4_vgpr5
.LBB14_183:                             ;   in Loop: Header=BB14_14 Depth=1
	s_or_saveexec_b64 s[26:27], s[26:27]
	v_mov_b32_e32 v3, s34
	v_mov_b32_e32 v18, s34
	s_xor_b64 exec, exec, s[26:27]
	s_cbranch_execz .LBB14_185
; %bb.184:                              ;   in Loop: Header=BB14_14 Depth=1
	v_add_u32_e32 v3, s2, v185
	v_mul_hi_u32 v18, s88, v3
	v_add_u32_e32 v18, v3, v18
	v_lshrrev_b32_e32 v18, s89, v18
	v_mul_lo_u32 v18, v18, s72
	v_readlane_b32 s34, v238, 60
	v_sub_u32_e32 v3, v3, v18
	v_readlane_b32 s35, v238, 61
	s_mov_b32 s36, s34
	v_mad_i64_i32 v[18:19], s[34:35], v3, s36, 0
	v_lshl_add_u64 v[18:19], v[18:19], 1, v[4:5]
	flat_load_ushort v3, v[18:19]
	v_add_u32_e32 v18, s2, v187
	v_mul_hi_u32 v19, s88, v18
	v_add_u32_e32 v19, v18, v19
	v_lshrrev_b32_e32 v19, s89, v19
	v_mul_lo_u32 v19, v19, s72
	v_sub_u32_e32 v18, v18, v19
	v_mad_i64_i32 v[18:19], s[34:35], v18, s36, 0
	v_lshl_add_u64 v[18:19], v[18:19], 1, v[4:5]
	flat_load_ushort v18, v[18:19]
	s_waitcnt vmcnt(0) lgkmcnt(0)
	ds_write_b16 v186, v3 offset:13312
	ds_write_b16 v188, v18 offset:13312
	v_add_u32_e32 v3, s2, v189
	v_mul_hi_u32 v18, s88, v3
	v_add_u32_e32 v18, v3, v18
	v_lshrrev_b32_e32 v18, s89, v18
	v_mul_lo_u32 v18, v18, s72
	v_sub_u32_e32 v3, v3, v18
	v_mad_i64_i32 v[18:19], s[34:35], v3, s36, 0
	v_lshl_add_u64 v[18:19], v[18:19], 1, v[4:5]
	flat_load_ushort v3, v[18:19]
	v_add_u32_e32 v18, s2, v191
	v_mul_hi_u32 v19, s88, v18
	v_add_u32_e32 v19, v18, v19
	v_lshrrev_b32_e32 v19, s89, v19
	v_mul_lo_u32 v19, v19, s72
	v_sub_u32_e32 v18, v18, v19
	v_mad_i64_i32 v[18:19], s[34:35], v18, s36, 0
	v_lshl_add_u64 v[4:5], v[18:19], 1, v[4:5]
	flat_load_ushort v18, v[4:5]
.LBB14_185:                             ;   in Loop: Header=BB14_14 Depth=1
	s_or_b64 exec, exec, s[26:27]
	s_waitcnt vmcnt(0) lgkmcnt(0)
	ds_write_b16 v190, v3 offset:13312
	ds_write_b16 v192, v18 offset:13312
.LBB14_186:                             ;   in Loop: Header=BB14_14 Depth=1
	s_mul_i32 s26, s80, s87
	s_mul_hi_u32 s27, s80, s86
	s_add_i32 s27, s27, s26
	s_mul_i32 s26, s80, s86
	s_lshl_b64 s[26:27], s[26:27], 2
	s_add_u32 s26, s99, s26
	s_addc_u32 s27, s78, s27
	v_lshl_add_u64 v[18:19], v[36:37], 2, s[26:27]
	v_lshlrev_b32_e32 v20, 2, v30
	v_mov_b32_e32 v21, v2
	v_lshl_add_u64 v[18:19], v[18:19], 0, v[20:21]
	v_mov_b32_e32 v3, v2
	v_mov_b32_e32 v4, v2
	;; [unrolled: 1-line block ×3, first 2 shown]
	v_lshl_add_u64 v[18:19], v[18:19], 0, s[84:85]
	v_mov_b32_e32 v23, s83
	v_cmp_gt_i32_e64 s[38:39], s25, v33
	v_mov_b32_e32 v67, s82
	scratch_store_dwordx4 off, v[2:5], off
	v_cndmask_b32_e64 v19, v23, v19, s[38:39]
	v_cndmask_b32_e64 v18, v67, v18, s[38:39]
	flat_load_dwordx4 v[68:71], v[18:19]
	v_lshlrev_b32_e32 v18, 2, v32
	v_mov_b32_e32 v19, v2
	v_lshl_add_u64 v[24:25], v[38:39], 2, s[26:27]
	v_lshl_add_u64 v[24:25], v[24:25], 0, v[18:19]
	v_cmp_gt_i32_e64 s[36:37], s25, v105
	v_cmp_gt_i32_e64 s[34:35], s25, v193
	s_andn2_b64 vcc, exec, s[40:41]
	v_cndmask_b32_e64 v25, v23, v25, s[36:37]
	v_cndmask_b32_e64 v24, v67, v24, s[36:37]
	s_waitcnt vmcnt(0) lgkmcnt(0)
	ds_write_b128 v49, v[68:71]
	flat_load_dwordx4 v[68:71], v[24:25]
	v_lshl_add_u64 v[24:25], v[40:41], 2, s[26:27]
	v_lshl_add_u64 v[24:25], v[24:25], 0, v[18:19]
	v_cndmask_b32_e64 v25, v23, v25, s[34:35]
	v_cndmask_b32_e64 v24, v67, v24, s[34:35]
	v_add_u32_e32 v23, v27, v142
	s_waitcnt vmcnt(0) lgkmcnt(0)
	ds_write_b128 v106, v[68:71]
	flat_load_dwordx4 v[68:71], v[24:25]
	v_add_u32_e32 v24, 0x1800, v23
	s_waitcnt vmcnt(0) lgkmcnt(0)
	ds_write_b128 v194, v[68:71]
	s_waitcnt lgkmcnt(0)
	s_barrier
	ds_read2_b64 v[68:71], v23 offset1:4
	ds_read2_b64 v[76:79], v24 offset0:64 offset1:68
	s_waitcnt lgkmcnt(1)
	v_mfma_f32_16x16x16_f16 v[72:75], v[68:69], v[14:15], 0
	s_waitcnt lgkmcnt(0)
	v_mfma_f32_16x16x16_f16 v[80:83], v[76:77], v[14:15], 0
	v_mfma_f32_16x16x16_f16 v[68:71], v[70:71], v[16:17], v[72:75]
	;; [unrolled: 1-line block ×3, first 2 shown]
	s_nop 2
	ds_read2_b64 v[72:75], v23 offset0:8 offset1:12
	ds_read2_b64 v[76:79], v24 offset0:72 offset1:76
	s_waitcnt lgkmcnt(1)
	v_mfma_f32_16x16x16_f16 v[68:71], v[72:73], v[10:11], v[68:71]
	s_waitcnt lgkmcnt(0)
	v_mfma_f32_16x16x16_f16 v[14:17], v[76:77], v[10:11], v[14:17]
	v_mfma_f32_16x16x16_f16 v[68:71], v[74:75], v[12:13], v[68:71]
	ds_read2_b64 v[72:75], v24 offset0:80 offset1:84
	v_mfma_f32_16x16x16_f16 v[10:13], v[78:79], v[12:13], v[14:17]
	s_nop 3
	ds_read2_b64 v[14:17], v23 offset0:16 offset1:20
	s_waitcnt lgkmcnt(0)
	v_mfma_f32_16x16x16_f16 v[68:71], v[14:15], v[6:7], v[68:71]
	s_barrier
	v_mfma_f32_16x16x16_f16 v[76:79], v[72:73], v[6:7], v[10:13]
	v_mfma_f32_16x16x16_f16 v[10:13], v[16:17], v[8:9], v[68:71]
	;; [unrolled: 1-line block ×3, first 2 shown]
	s_cbranch_vccnz .LBB14_188
; %bb.187:                              ;   in Loop: Header=BB14_14 Depth=1
	v_add_u32_e32 v14, 0x3400, v144
	ds_read2_b32 v[14:15], v14 offset1:1
	s_waitcnt lgkmcnt(0)
	v_cvt_f32_f16_e32 v16, v14
	v_cvt_f32_f16_sdwa v17, v14 dst_sel:DWORD dst_unused:UNUSED_PAD src0_sel:WORD_1
	v_cvt_f32_f16_e32 v14, v15
	v_cvt_f32_f16_sdwa v15, v15 dst_sel:DWORD dst_unused:UNUSED_PAD src0_sel:WORD_1
	v_pk_fma_f32 v[10:11], v[66:67], v[16:17], v[10:11] op_sel_hi:[0,1,1]
	ds_read_b32 v16, v148 offset:13312
	v_pk_fma_f32 v[12:13], v[66:67], v[14:15], v[12:13] op_sel_hi:[0,1,1]
	ds_read_b32 v14, v146 offset:13312
	s_waitcnt lgkmcnt(1)
	v_cvt_f32_f16_sdwa v17, v16 dst_sel:DWORD dst_unused:UNUSED_PAD src0_sel:WORD_1
	v_cvt_f32_f16_e32 v16, v16
	s_waitcnt lgkmcnt(0)
	v_cvt_f32_f16_sdwa v15, v14 dst_sel:DWORD dst_unused:UNUSED_PAD src0_sel:WORD_1
	v_cvt_f32_f16_e32 v14, v14
	v_pk_fma_f32 v[8:9], v[66:67], v[16:17], v[8:9] op_sel_hi:[0,1,1]
	v_pk_fma_f32 v[6:7], v[66:67], v[14:15], v[6:7] op_sel_hi:[0,1,1]
.LBB14_188:                             ;   in Loop: Header=BB14_14 Depth=1
	s_nop 4
	v_add_f32_e32 v14, 0x40051340, v10
	v_max_f32_e32 v15, v1, v1
	s_mul_i32 s26, s80, s75
	s_mul_hi_u32 s27, s80, s74
	v_max_f32_e32 v14, v15, v14
	v_cmp_gt_u32_e64 s[40:41], s25, v141
	s_add_i32 s27, s27, s26
	s_mul_i32 s26, s80, s74
	v_cndmask_b32_e64 v14, v1, v14, s[40:41]
	s_lshl_b64 s[26:27], s[26:27], 2
	v_add_f32_e32 v15, 0x40051340, v11
	v_max_f32_e32 v16, v14, v14
	s_add_u32 s26, s91, s26
	v_max_f32_e32 v15, v16, v15
	v_cmp_gt_u32_e32 vcc, s25, v201
	s_addc_u32 s27, s3, s27
	scratch_store_dwordx4 off, v[2:5], off
	v_cndmask_b32_e32 v14, v14, v15, vcc
	v_add_f32_e32 v15, 0x40051340, v12
	v_lshl_add_u64 v[4:5], v[42:43], 2, s[26:27]
	v_max_f32_e32 v16, v14, v14
	v_lshl_add_u64 v[4:5], v[4:5], 0, v[20:21]
	v_max_f32_e32 v15, v16, v15
	v_lshl_add_u64 v[4:5], v[4:5], 0, s[84:85]
	v_mov_b32_e32 v16, s83
	v_mov_b32_e32 v20, s82
	v_cndmask_b32_e64 v5, v16, v5, s[38:39]
	v_cndmask_b32_e64 v4, v20, v4, s[38:39]
	flat_load_dwordx4 v[66:69], v[4:5]
	v_cmp_gt_u32_e64 s[50:51], s25, v202
	v_add_f32_e32 v4, 0x40051340, v13
	v_cmp_gt_u32_e64 s[48:49], s25, v203
	v_cndmask_b32_e64 v3, v14, v15, s[50:51]
	v_max_f32_e32 v5, v3, v3
	v_max_f32_e32 v4, v5, v4
	v_cndmask_b32_e64 v3, v3, v4, s[48:49]
	v_add_f32_e32 v4, 0x40051340, v6
	v_max_f32_e32 v5, v3, v3
	v_max_f32_e32 v4, v5, v4
	v_cmp_gt_u32_e64 s[46:47], s25, v145
	v_cmp_gt_u32_e64 s[44:45], s25, v204
	;; [unrolled: 1-line block ×3, first 2 shown]
	v_cndmask_b32_e64 v3, v3, v4, s[46:47]
	v_add_f32_e32 v4, 0x40051340, v7
	v_max_f32_e32 v5, v3, v3
	v_max_f32_e32 v4, v5, v4
	v_cndmask_b32_e64 v3, v3, v4, s[44:45]
	v_add_f32_e32 v4, 0x40051340, v8
	v_max_f32_e32 v5, v3, v3
	v_max_f32_e32 v4, v5, v4
	v_cndmask_b32_e64 v3, v3, v4, s[42:43]
	v_add_f32_e32 v4, 0x40051340, v9
	v_max_f32_e32 v5, v3, v3
	v_max_f32_e32 v4, v5, v4
	v_cmp_gt_u32_e64 s[38:39], s25, v205
	v_xor_b32_e32 v5, 32, v178
	v_cndmask_b32_e32 v12, v12, v12, vcc
	v_cndmask_b32_e64 v3, v3, v4, s[38:39]
	v_and_b32_e32 v4, 64, v178
	v_add_u32_e32 v4, 64, v4
	v_cmp_lt_i32_e64 s[54:55], v5, v4
	v_cndmask_b32_e32 v13, v13, v13, vcc
	v_cndmask_b32_e64 v7, v7, v7, s[46:47]
	v_cndmask_b32_e64 v5, v178, v5, s[54:55]
	v_lshlrev_b32_e32 v5, 2, v5
	ds_bpermute_b32 v14, v5, v3
	v_max_f32_e32 v3, v3, v3
	s_cmp_eq_u64 s[28:29], 0
	s_waitcnt lgkmcnt(0)
	v_max_f32_e32 v14, v14, v14
	v_max_f32_e32 v3, v3, v14
	v_xor_b32_e32 v14, 16, v178
	v_cmp_lt_i32_e64 s[54:55], v14, v4
	s_waitcnt vmcnt(0)
	ds_write_b128 v49, v[66:69]
	v_cndmask_b32_e64 v4, v178, v14, s[54:55]
	v_lshlrev_b32_e32 v17, 2, v4
	ds_bpermute_b32 v4, v17, v3
	s_waitcnt lgkmcnt(0)
	v_max_f32_e32 v4, v4, v4
	v_max_f32_e32 v4, v3, v4
	v_sub_f32_e32 v3, v10, v4
	v_mul_f32_e32 v10, 0x3fb8aa3b, v3
	v_fma_f32 v14, v3, s76, -v10
	v_rndne_f32_e32 v15, v10
	v_fmac_f32_e32 v14, 0x32a5705f, v3
	v_sub_f32_e32 v10, v10, v15
	v_add_f32_e32 v10, v10, v14
	v_exp_f32_e32 v10, v10
	v_cvt_i32_f32_e32 v14, v15
	v_sub_f32_e32 v11, v11, v4
	v_cmp_ngt_f32_e64 s[54:55], s77, v3
	v_sub_f32_e32 v12, v12, v4
	v_ldexp_f32 v10, v10, v14
	v_mul_f32_e32 v14, 0x3fb8aa3b, v11
	v_fma_f32 v15, v11, s76, -v14
	v_rndne_f32_e32 v21, v14
	v_fmac_f32_e32 v15, 0x32a5705f, v11
	v_sub_f32_e32 v14, v14, v21
	v_add_f32_e32 v14, v14, v15
	v_exp_f32_e32 v14, v14
	v_cvt_i32_f32_e32 v15, v21
	v_cndmask_b32_e64 v10, 0, v10, s[54:55]
	v_cmp_nlt_f32_e64 s[54:55], s73, v3
	v_sub_f32_e32 v13, v13, v4
	v_sub_f32_e32 v6, v6, v4
	v_cndmask_b32_e64 v3, v212, v10, s[54:55]
	v_cndmask_b32_e64 v10, 0, v3, s[40:41]
	v_ldexp_f32 v3, v14, v15
	v_lshl_add_u64 v[14:15], v[44:45], 2, s[26:27]
	v_lshl_add_u64 v[14:15], v[14:15], 0, v[18:19]
	v_cndmask_b32_e64 v15, v16, v15, s[36:37]
	v_cndmask_b32_e64 v14, v20, v14, s[36:37]
	flat_load_dwordx4 v[66:69], v[14:15]
	v_mul_f32_e32 v15, 0x3fb8aa3b, v12
	v_fma_f32 v21, v12, s76, -v15
	v_rndne_f32_e32 v23, v15
	v_fmac_f32_e32 v21, 0x32a5705f, v12
	v_sub_f32_e32 v15, v15, v23
	v_add_f32_e32 v15, v15, v21
	v_cmp_ngt_f32_e64 s[36:37], s77, v11
	v_exp_f32_e32 v15, v15
	v_cvt_i32_f32_e32 v21, v23
	v_cndmask_b32_e64 v3, 0, v3, s[36:37]
	v_cmp_nlt_f32_e64 s[36:37], s73, v11
	v_sub_f32_e32 v1, v1, v4
	s_waitcnt vmcnt(0) lgkmcnt(0)
	ds_write_b128 v106, v[66:69]
	v_cndmask_b32_e64 v11, v212, v3, s[36:37]
	v_add_f32_e32 v14, v11, v10
	v_mov_b32_e32 v3, s81
	v_cndmask_b32_e32 v11, v3, v11, vcc
	v_cndmask_b32_e32 v3, v10, v14, vcc
	v_ldexp_f32 v14, v15, v21
	v_cmp_ngt_f32_e32 vcc, s77, v12
	v_cvt_f16_f32_e32 v10, v10
	v_cvt_f16_f32_e32 v11, v11
	v_cndmask_b32_e32 v14, 0, v14, vcc
	v_cmp_nlt_f32_e32 vcc, s73, v12
	v_mul_f32_e32 v12, 0x3fb8aa3b, v13
	v_fma_f32 v21, v13, s76, -v12
	v_rndne_f32_e32 v23, v12
	v_fmac_f32_e32 v21, 0x32a5705f, v13
	v_sub_f32_e32 v12, v12, v23
	v_add_f32_e32 v12, v12, v21
	v_exp_f32_e32 v21, v12
	v_cvt_i32_f32_e32 v23, v23
	v_cndmask_b32_e32 v14, v212, v14, vcc
	v_add_f32_e32 v15, v3, v14
	v_mov_b32_e32 v12, s81
	v_cndmask_b32_e64 v14, v12, v14, s[50:51]
	v_cndmask_b32_e64 v12, v3, v15, s[50:51]
	v_ldexp_f32 v3, v21, v23
	v_cmp_ngt_f32_e32 vcc, s77, v13
	s_nop 1
	v_cndmask_b32_e32 v3, 0, v3, vcc
	v_cmp_nlt_f32_e32 vcc, s73, v13
	s_nop 1
	v_cndmask_b32_e32 v13, v212, v3, vcc
	v_mul_f32_e32 v3, 0x3fb8aa3b, v6
	v_fma_f32 v21, v6, s76, -v3
	v_rndne_f32_e32 v23, v3
	v_fmac_f32_e32 v21, 0x32a5705f, v6
	v_sub_f32_e32 v3, v3, v23
	v_add_f32_e32 v3, v3, v21
	v_exp_f32_e32 v21, v3
	v_cvt_i32_f32_e32 v23, v23
	v_add_f32_e32 v15, v12, v13
	v_mov_b32_e32 v3, s81
	v_cndmask_b32_e64 v13, v3, v13, s[48:49]
	v_cndmask_b32_e64 v3, v12, v15, s[48:49]
	v_ldexp_f32 v12, v21, v23
	v_sub_f32_e32 v23, v7, v4
	v_mul_f32_e32 v7, 0x3fb8aa3b, v23
	v_cndmask_b32_e64 v21, v9, v9, s[46:47]
	v_fma_f32 v9, v23, s76, -v7
	v_rndne_f32_e32 v24, v7
	v_fmac_f32_e32 v9, 0x32a5705f, v23
	v_sub_f32_e32 v7, v7, v24
	v_add_f32_e32 v7, v7, v9
	v_cmp_ngt_f32_e32 vcc, s77, v6
	v_exp_f32_e32 v7, v7
	v_cvt_i32_f32_e32 v9, v24
	v_cndmask_b32_e32 v12, 0, v12, vcc
	v_cmp_nlt_f32_e32 vcc, s73, v6
	v_mov_b32_e32 v6, s81
	v_cndmask_b32_e64 v24, v8, v8, s[46:47]
	v_cndmask_b32_e32 v12, v212, v12, vcc
	v_add_f32_e32 v15, v12, v3
	v_cndmask_b32_e64 v25, v6, v12, s[46:47]
	v_cndmask_b32_e64 v12, v3, v15, s[46:47]
	v_ldexp_f32 v3, v7, v9
	v_lshl_add_u64 v[6:7], v[46:47], 2, s[26:27]
	v_lshl_add_u64 v[6:7], v[6:7], 0, v[18:19]
	v_cndmask_b32_e64 v7, v16, v7, s[34:35]
	v_cndmask_b32_e64 v6, v20, v6, s[34:35]
	flat_load_dwordx4 v[6:9], v[6:7]
	v_cmp_ngt_f32_e32 vcc, s77, v23
	v_sub_f32_e32 v18, v24, v4
	v_cvt_f16_f32_e32 v13, v13
	v_cndmask_b32_e32 v3, 0, v3, vcc
	v_cmp_nlt_f32_e32 vcc, s73, v23
	s_cselect_b64 s[26:27], -1, 0
	s_waitcnt vmcnt(0) lgkmcnt(0)
	ds_write_b128 v194, v[6:9]
	v_cndmask_b32_e32 v15, v212, v3, vcc
	v_mul_f32_e32 v3, 0x3fb8aa3b, v18
	v_fma_f32 v19, v18, s76, -v3
	v_rndne_f32_e32 v20, v3
	v_fmac_f32_e32 v19, 0x32a5705f, v18
	v_sub_f32_e32 v3, v3, v20
	v_add_f32_e32 v3, v3, v19
	v_exp_f32_e32 v19, v3
	v_cvt_i32_f32_e32 v20, v20
	v_add_f32_e32 v16, v15, v12
	v_mov_b32_e32 v3, s81
	v_cndmask_b32_e64 v23, v3, v15, s[44:45]
	v_cndmask_b32_e64 v3, v12, v16, s[44:45]
	v_ldexp_f32 v12, v19, v20
	v_cmp_ngt_f32_e32 vcc, s77, v18
	s_waitcnt lgkmcnt(0)
	s_barrier
	v_cndmask_b32_e32 v12, 0, v12, vcc
	v_cmp_nlt_f32_e32 vcc, s73, v18
	v_sub_f32_e32 v18, v21, v4
	s_nop 0
	v_cndmask_b32_e32 v15, v212, v12, vcc
	v_mul_f32_e32 v12, 0x3fb8aa3b, v18
	v_fma_f32 v19, v18, s76, -v12
	v_rndne_f32_e32 v20, v12
	v_fmac_f32_e32 v19, 0x32a5705f, v18
	v_sub_f32_e32 v12, v12, v20
	v_add_f32_e32 v12, v12, v19
	v_exp_f32_e32 v19, v12
	v_cvt_i32_f32_e32 v20, v20
	v_add_f32_e32 v16, v15, v3
	v_mov_b32_e32 v12, s81
	v_cndmask_b32_e64 v12, v12, v15, s[42:43]
	v_cndmask_b32_e64 v15, v3, v16, s[42:43]
	v_mul_f32_e32 v16, 0x3fb8aa3b, v1
	v_ldexp_f32 v3, v19, v20
	v_fma_f32 v19, v1, s76, -v16
	v_rndne_f32_e32 v20, v16
	v_fmac_f32_e32 v19, 0x32a5705f, v1
	v_sub_f32_e32 v16, v16, v20
	v_add_f32_e32 v16, v16, v19
	v_exp_f32_e32 v16, v16
	v_cvt_i32_f32_e32 v19, v20
	v_cmp_ngt_f32_e32 vcc, s77, v18
	ds_read_u16 v9, v108 offset:208
	v_cvt_f16_f32_e32 v12, v12
	v_cndmask_b32_e32 v3, 0, v3, vcc
	v_cmp_nlt_f32_e32 vcc, s73, v18
	v_ldexp_f32 v16, v16, v19
	s_nop 0
	v_cndmask_b32_e32 v18, v212, v3, vcc
	v_cmp_ngt_f32_e32 vcc, s77, v1
	v_add_f32_e32 v20, v18, v15
	v_cndmask_b32_e64 v70, v15, v20, s[38:39]
	v_cndmask_b32_e32 v16, 0, v16, vcc
	v_cmp_nlt_f32_e32 vcc, s73, v1
	v_cvt_f16_f32_e32 v15, v14
	v_mov_b32_e32 v3, s81
	v_cndmask_b32_e32 v16, v212, v16, vcc
	v_cmp_le_f32_e32 vcc, s79, v1
	v_pack_b32_f16 v14, v10, v11
	v_pack_b32_f16 v15, v15, v13
	v_cndmask_b32_e32 v1, 0, v16, vcc
	v_cvt_f16_f32_e32 v16, v1
	v_fmac_f32_e32 v70, v22, v1
	v_cvt_f16_f32_e32 v13, v25
	v_cndmask_b32_e64 v3, v3, v18, s[38:39]
	v_pk_mul_f16 v1, v16, v217 op_sel_hi:[0,1]
	v_cvt_f32_f16_e32 v6, v1
	v_cvt_f32_f16_sdwa v7, v1 dst_sel:DWORD dst_unused:UNUSED_PAD src0_sel:WORD_1
	ds_read_u16 v1, v108 offset:416
	ds_read_u16 v10, v109
	ds_read_u16 v25, v109 offset:32
	ds_read_u16 v72, v109 offset:64
	;; [unrolled: 1-line block ×6, first 2 shown]
	v_pk_mul_f16 v18, v16, v216 op_sel_hi:[0,1]
	s_waitcnt lgkmcnt(6)
	v_perm_b32 v11, v10, v1, s24
	ds_read_u16 v1, v107
	ds_read_u16 v76, v107 offset:32
	ds_read_u16 v77, v107 offset:64
	;; [unrolled: 1-line block ×6, first 2 shown]
	s_waitcnt lgkmcnt(6)
	v_perm_b32 v10, v9, v1, s24
	v_cvt_f32_f16_e32 v8, v18
	v_cvt_f32_f16_sdwa v9, v18 dst_sel:DWORD dst_unused:UNUSED_PAD src0_sel:WORD_1
	v_cvt_f16_f32_e32 v1, v23
	v_cvt_f16_f32_e32 v3, v3
	v_mfma_f32_16x16x16_f16 v[6:9], v[10:11], v[14:15], v[6:9]
	ds_read_u16 v10, v195 offset:208
	ds_read_u16 v11, v195 offset:416
	;; [unrolled: 1-line block ×8, first 2 shown]
	s_waitcnt lgkmcnt(6)
	v_perm_b32 v11, v66, v11, s24
	v_perm_b32 v10, v10, v67, s24
	v_cvt_f16_f32_e32 v6, v6
	v_cvt_f16_f32_e32 v7, v7
	;; [unrolled: 1-line block ×4, first 2 shown]
	v_cvt_f32_f16_e32 v6, v6
	v_cvt_f32_f16_e32 v7, v7
	v_cvt_f32_f16_e32 v8, v8
	v_cvt_f32_f16_e32 v9, v9
	v_pk_mul_f16 v19, v16, v219 op_sel_hi:[0,1]
	v_pack_b32_f16 v66, v13, v1
	v_pack_b32_f16 v67, v12, v3
	v_pk_mul_f16 v20, v16, v218 op_sel_hi:[0,1]
	s_waitcnt lgkmcnt(5)
	v_perm_b32 v18, v18, v76, s24
	v_mfma_f32_16x16x16_f16 v[6:9], v[10:11], v[66:67], v[6:9]
	v_cvt_f32_f16_e32 v10, v19
	v_cvt_f32_f16_sdwa v11, v19 dst_sel:DWORD dst_unused:UNUSED_PAD src0_sel:WORD_1
	s_waitcnt lgkmcnt(4)
	v_perm_b32 v19, v25, v23, s24
	v_cvt_f32_f16_e32 v12, v20
	v_cvt_f32_f16_sdwa v13, v20 dst_sel:DWORD dst_unused:UNUSED_PAD src0_sel:WORD_1
	s_nop 0
	v_cvt_f16_f32_e32 v1, v6
	v_cvt_f16_f32_e32 v3, v7
	v_mfma_f32_16x16x16_f16 v[10:13], v[18:19], v[14:15], v[10:13]
	s_waitcnt lgkmcnt(0)
	v_perm_b32 v19, v84, v83, s24
	v_perm_b32 v18, v82, v81, s24
	v_pk_mul_f16 v21, v16, v221 op_sel_hi:[0,1]
	v_pk_mul_f16 v22, v16, v220 op_sel_hi:[0,1]
	s_nop 1
	v_cvt_f16_f32_e32 v6, v10
	v_cvt_f16_f32_e32 v7, v11
	;; [unrolled: 1-line block ×4, first 2 shown]
	v_cvt_f32_f16_e32 v10, v6
	v_cvt_f32_f16_e32 v11, v7
	;; [unrolled: 1-line block ×4, first 2 shown]
	v_cvt_f16_f32_e32 v7, v8
	v_cvt_f16_f32_e32 v23, v9
	v_pack_b32_f16 v6, v1, v3
	v_mfma_f32_16x16x16_f16 v[8:11], v[18:19], v[66:67], v[10:13]
	ds_read_u16 v1, v197 offset:208
	ds_read_u16 v3, v197 offset:416
	;; [unrolled: 1-line block ×8, first 2 shown]
	s_waitcnt lgkmcnt(6)
	v_perm_b32 v13, v72, v3, s24
	v_perm_b32 v12, v1, v77, s24
	v_cvt_f32_f16_e32 v18, v21
	v_cvt_f32_f16_sdwa v19, v21 dst_sel:DWORD dst_unused:UNUSED_PAD src0_sel:WORD_1
	v_cvt_f32_f16_e32 v20, v22
	v_cvt_f32_f16_sdwa v21, v22 dst_sel:DWORD dst_unused:UNUSED_PAD src0_sel:WORD_1
	v_pack_b32_f16 v1, v7, v23
	v_cvt_f16_f32_e32 v3, v8
	v_mfma_f32_16x16x16_f16 v[18:21], v[12:13], v[14:15], v[18:21]
	v_cvt_f16_f32_e32 v7, v9
	s_waitcnt lgkmcnt(2)
	v_perm_b32 v13, v82, v81, s24
	v_pk_mul_f16 v24, v16, v222 op_sel_hi:[0,1]
	v_pk_mul_f16 v68, v16, v223 op_sel_hi:[0,1]
	s_nop 1
	v_cvt_f16_f32_e32 v12, v20
	v_cvt_f16_f32_e32 v8, v18
	;; [unrolled: 1-line block ×4, first 2 shown]
	v_cvt_f32_f16_e32 v20, v12
	v_perm_b32 v12, v76, v25, s24
	v_cvt_f32_f16_e32 v18, v8
	v_cvt_f32_f16_e32 v19, v9
	;; [unrolled: 1-line block ×3, first 2 shown]
	s_waitcnt lgkmcnt(0)
	v_perm_b32 v23, v73, v84, s24
	v_perm_b32 v22, v83, v78, s24
	v_cvt_f16_f32_e32 v9, v10
	v_cvt_f16_f32_e32 v25, v11
	v_mfma_f32_16x16x16_f16 v[10:13], v[12:13], v[66:67], v[18:21]
	v_pack_b32_f16 v8, v3, v7
	v_pk_mul_f16 v69, v16, v225 op_sel_hi:[0,1]
	v_pack_b32_f16 v3, v9, v25
	v_cvt_f32_f16_e32 v18, v24
	v_cvt_f32_f16_sdwa v19, v24 dst_sel:DWORD dst_unused:UNUSED_PAD src0_sel:WORD_1
	v_cvt_f32_f16_e32 v20, v68
	v_cvt_f32_f16_sdwa v21, v68 dst_sel:DWORD dst_unused:UNUSED_PAD src0_sel:WORD_1
	v_cvt_f16_f32_e32 v7, v10
	v_cvt_f16_f32_e32 v9, v11
	v_mfma_f32_16x16x16_f16 v[18:21], v[22:23], v[14:15], v[18:21]
	v_pk_mul_f16 v71, v16, v224 op_sel_hi:[0,1]
	v_cvt_f16_f32_e32 v76, v13
	v_cvt_f32_f16_e32 v24, v71
	v_pk_mul_f16 v85, v16, v227 op_sel_hi:[0,1]
	s_nop 2
	v_cvt_f16_f32_e32 v10, v18
	v_cvt_f16_f32_e32 v11, v19
	;; [unrolled: 1-line block ×4, first 2 shown]
	v_cvt_f32_f16_e32 v18, v10
	v_cvt_f32_f16_e32 v19, v11
	ds_read_u16 v10, v116 offset:6656
	ds_read_u16 v11, v117 offset:208
	;; [unrolled: 1-line block ×8, first 2 shown]
	s_waitcnt lgkmcnt(4)
	v_perm_b32 v23, v23, v22, s24
	v_perm_b32 v22, v11, v10, s24
	v_cvt_f32_f16_e32 v20, v20
	v_cvt_f32_f16_e32 v21, v21
	v_cvt_f16_f32_e32 v11, v12
	s_waitcnt lgkmcnt(2)
	v_perm_b32 v13, v74, v68, s24
	v_perm_b32 v12, v25, v79, s24
	v_mfma_f32_16x16x16_f16 v[18:21], v[22:23], v[66:67], v[18:21]
	v_cvt_f32_f16_e32 v22, v69
	v_cvt_f32_f16_sdwa v23, v69 dst_sel:DWORD dst_unused:UNUSED_PAD src0_sel:WORD_1
	v_cvt_f32_f16_sdwa v25, v71 dst_sel:DWORD dst_unused:UNUSED_PAD src0_sel:WORD_1
	v_pack_b32_f16 v10, v7, v9
	v_pack_b32_f16 v7, v11, v76
	v_mfma_f32_16x16x16_f16 v[22:25], v[12:13], v[14:15], v[22:25]
	s_nop 0
	v_cvt_f16_f32_e32 v9, v18
	v_cvt_f16_f32_e32 v11, v19
	v_pk_mul_f16 v16, v16, v226 op_sel_hi:[0,1]
	ds_bpermute_b32 v5, v5, v70
	s_nop 1
	v_cvt_f16_f32_e32 v12, v22
	v_cvt_f16_f32_e32 v13, v23
	;; [unrolled: 1-line block ×4, first 2 shown]
	v_cvt_f32_f16_e32 v22, v12
	v_cvt_f32_f16_e32 v23, v13
	;; [unrolled: 1-line block ×3, first 2 shown]
	ds_read_u16 v12, v120 offset:416
	ds_read_u16 v13, v121 offset:6656
	;; [unrolled: 1-line block ×8, first 2 shown]
	s_waitcnt lgkmcnt(6)
	v_perm_b32 v19, v13, v12, s24
	v_perm_b32 v18, v73, v72, s24
	v_cvt_f32_f16_e32 v25, v25
	s_waitcnt lgkmcnt(4)
	v_perm_b32 v69, v75, v69, s24
	v_perm_b32 v68, v68, v80, s24
	v_cvt_f16_f32_e32 v13, v20
	v_cvt_f16_f32_e32 v72, v21
	v_mfma_f32_16x16x16_f16 v[18:21], v[18:19], v[66:67], v[22:25]
	v_pack_b32_f16 v12, v9, v11
	v_add_f32_e32 v5, v70, v5
	v_pack_b32_f16 v9, v13, v72
	v_cvt_f32_f16_e32 v22, v85
	v_cvt_f32_f16_sdwa v23, v85 dst_sel:DWORD dst_unused:UNUSED_PAD src0_sel:WORD_1
	v_cvt_f32_f16_e32 v24, v16
	v_cvt_f32_f16_sdwa v25, v16 dst_sel:DWORD dst_unused:UNUSED_PAD src0_sel:WORD_1
	v_cvt_f16_f32_e32 v11, v18
	v_cvt_f16_f32_e32 v13, v19
	v_mfma_f32_16x16x16_f16 v[22:25], v[68:69], v[14:15], v[22:25]
	s_waitcnt lgkmcnt(0)
	v_perm_b32 v19, v77, v76, s24
	v_perm_b32 v18, v74, v71, s24
	v_readlane_b32 s38, v238, 52
	v_readlane_b32 s39, v238, 53
	s_nop 1
	v_cvt_f16_f32_e32 v14, v22
	v_cvt_f16_f32_e32 v15, v23
	;; [unrolled: 1-line block ×4, first 2 shown]
	v_cvt_f32_f16_e32 v22, v14
	v_cvt_f32_f16_e32 v23, v15
	;; [unrolled: 1-line block ×4, first 2 shown]
	v_cvt_f16_f32_e32 v15, v20
	v_cvt_f16_f32_e32 v16, v21
	v_mfma_f32_16x16x16_f16 v[18:21], v[18:19], v[66:67], v[22:25]
	v_pack_b32_f16 v14, v11, v13
	v_pack_b32_f16 v11, v15, v16
	s_xor_b64 s[34:35], s[38:39], -1
	s_or_b64 s[26:27], s[34:35], s[26:27]
	s_nop 2
	v_cvt_f16_f32_e32 v13, v18
	v_cvt_f16_f32_e32 v18, v19
	;; [unrolled: 1-line block ×4, first 2 shown]
	v_pack_b32_f16 v16, v13, v18
	ds_bpermute_b32 v18, v17, v5
	v_pack_b32_f16 v13, v15, v19
	s_barrier
	s_waitcnt lgkmcnt(0)
	v_add_f32_e32 v5, v5, v18
	s_and_saveexec_b64 s[34:35], s[26:27]
	s_xor_b64 s[26:27], exec, s[34:35]
	s_andn2_saveexec_b64 s[34:35], s[26:27]
	s_cbranch_execz .LBB14_190
; %bb.189:                              ;   in Loop: Header=BB14_14 Depth=1
	global_load_dword v15, v2, s[28:29]
	v_max_f32_e32 v19, v4, v4
	s_waitcnt vmcnt(0)
	v_max_f32_e32 v18, v15, v15
	v_max_f32_e32 v18, v19, v18
	v_sub_f32_e32 v4, v4, v18
	v_mul_f32_e32 v19, 0x3fb8aa3b, v4
	v_fma_f32 v20, v4, s76, -v19
	v_rndne_f32_e32 v21, v19
	v_fmac_f32_e32 v20, 0x32a5705f, v4
	v_sub_f32_e32 v19, v19, v21
	v_add_f32_e32 v19, v19, v20
	v_exp_f32_e32 v19, v19
	v_cvt_i32_f32_e32 v20, v21
	v_cmp_ngt_f32_e32 vcc, s77, v4
	v_sub_f32_e32 v15, v15, v18
	v_ldexp_f32 v19, v19, v20
	v_cndmask_b32_e32 v19, 0, v19, vcc
	v_cmp_nlt_f32_e32 vcc, s73, v4
	s_nop 1
	v_cndmask_b32_e32 v19, v212, v19, vcc
	v_cmp_le_f32_e32 vcc, s79, v4
	s_nop 1
	v_cndmask_b32_e32 v4, 0, v19, vcc
	v_cvt_f16_f32_e32 v19, v4
	v_cmp_ngt_f32_e32 vcc, s77, v15
	v_pk_mul_f16 v6, v19, v6 op_sel_hi:[0,1]
	v_pk_mul_f16 v1, v19, v1 op_sel_hi:[0,1]
	;; [unrolled: 1-line block ×12, first 2 shown]
	v_mul_f32_e32 v19, 0x3fb8aa3b, v15
	v_fma_f32 v20, v15, s76, -v19
	v_rndne_f32_e32 v21, v19
	v_fmac_f32_e32 v20, 0x32a5705f, v15
	v_sub_f32_e32 v19, v19, v21
	v_add_f32_e32 v19, v19, v20
	v_exp_f32_e32 v19, v19
	v_cvt_i32_f32_e32 v20, v21
	v_ldexp_f32 v19, v19, v20
	v_cndmask_b32_e32 v19, 0, v19, vcc
	v_cmp_nlt_f32_e32 vcc, s73, v15
	s_nop 1
	v_cndmask_b32_e32 v19, v212, v19, vcc
	v_fmac_f32_e32 v19, v5, v4
	v_mov_b64_e32 v[4:5], v[18:19]
.LBB14_190:                             ;   in Loop: Header=BB14_14 Depth=1
	s_or_b64 exec, exec, s[34:35]
	s_mov_b64 s[26:27], exec
	v_readlane_b32 s28, v238, 56
	v_readlane_b32 s29, v238, 57
	s_and_b64 s[28:29], s[26:27], s[28:29]
	v_readlane_b32 s46, v237, 0
	s_mov_b64 exec, s[28:29]
	s_cbranch_execz .LBB14_192
; %bb.191:                              ;   in Loop: Header=BB14_14 Depth=1
	v_add_u32_e32 v15, 0, v149
	ds_write2_b32 v15, v4, v5 offset0:48 offset1:49
.LBB14_192:                             ;   in Loop: Header=BB14_14 Depth=1
	s_or_b64 exec, exec, s[26:27]
	s_waitcnt lgkmcnt(0)
	s_barrier
	s_mov_b64 s[26:27], exec
	v_readlane_b32 s28, v238, 54
	v_readlane_b32 s29, v238, 55
	s_and_b64 s[28:29], s[26:27], s[28:29]
	s_xor_b64 s[26:27], s[28:29], s[26:27]
	s_mov_b64 exec, s[28:29]
	s_cbranch_execz .LBB14_194
; %bb.193:                              ;   in Loop: Header=BB14_14 Depth=1
	s_barrier
	s_waitcnt lgkmcnt(0)
                                        ; implicit-def: $vgpr17
.LBB14_194:                             ;   in Loop: Header=BB14_14 Depth=1
	s_andn2_saveexec_b64 s[26:27], s[26:27]
	s_cbranch_execz .LBB14_198
; %bb.195:                              ;   in Loop: Header=BB14_14 Depth=1
	v_add_u32_e32 v15, 0, v150
	ds_read_b64 v[4:5], v15 offset:192
	s_waitcnt lgkmcnt(0)
	s_barrier
	ds_bpermute_b32 v18, v17, v4
	v_max_f32_e32 v19, v4, v4
	s_waitcnt lgkmcnt(0)
	v_max_f32_e32 v18, v18, v18
	v_max_f32_e32 v18, v19, v18
	v_sub_f32_e32 v4, v4, v18
	v_mul_f32_e32 v18, 0x3fb8aa3b, v4
	v_fma_f32 v19, v4, s76, -v18
	v_rndne_f32_e32 v20, v18
	v_fmac_f32_e32 v19, 0x32a5705f, v4
	v_sub_f32_e32 v18, v18, v20
	v_add_f32_e32 v18, v18, v19
	v_cvt_i32_f32_e32 v20, v20
	v_exp_f32_e32 v18, v18
	v_cmp_ngt_f32_e32 vcc, s77, v4
	v_ldexp_f32 v18, v18, v20
	s_nop 0
	v_cndmask_b32_e32 v18, 0, v18, vcc
	v_cmp_nlt_f32_e32 vcc, s73, v4
	s_nop 1
	v_cndmask_b32_e32 v4, v212, v18, vcc
	v_mul_f32_e32 v5, v5, v4
	ds_bpermute_b32 v17, v17, v5
	s_mov_b64 s[28:29], exec
	v_readlane_b32 s34, v238, 58
	v_readlane_b32 s35, v238, 59
	s_and_b64 s[34:35], s[28:29], s[34:35]
	s_mov_b64 exec, s[34:35]
	s_cbranch_execz .LBB14_197
; %bb.196:                              ;   in Loop: Header=BB14_14 Depth=1
	s_waitcnt lgkmcnt(0)
	v_add_f32_e32 v5, v5, v17
	ds_write_b64 v15, v[4:5] offset:192
.LBB14_197:                             ;   in Loop: Header=BB14_14 Depth=1
	s_or_b64 exec, exec, s[28:29]
.LBB14_198:                             ;   in Loop: Header=BB14_14 Depth=1
	s_or_b64 exec, exec, s[26:27]
	ds_write2_b32 v151, v6, v1 offset1:1
	ds_write2_b32 v151, v8, v3 offset0:8 offset1:9
	ds_write2_b32 v151, v10, v7 offset0:16 offset1:17
	;; [unrolled: 1-line block ×5, first 2 shown]
	s_waitcnt lgkmcnt(0)
	s_barrier
	s_and_saveexec_b64 s[28:29], s[38:39]
	s_cbranch_execz .LBB14_12
; %bb.199:                              ;   in Loop: Header=BB14_14 Depth=1
	v_add_u32_e32 v1, s2, v125
	v_cmp_gt_i32_e32 vcc, s72, v1
	v_mov_b32_e32 v3, 0x47
	s_and_saveexec_b64 s[26:27], vcc
	s_cbranch_execz .LBB14_201
; %bb.200:                              ;   in Loop: Header=BB14_14 Depth=1
	v_add_u32_e32 v3, 0, v154
	ds_read2_b32 v[4:5], v3 offset0:48 offset1:49
	ds_read2st64_b32 v[6:7], v155 offset1:13
	ds_read_b32 v8, v3 offset:3520
	v_readlane_b32 s3, v238, 42
	s_waitcnt lgkmcnt(1)
	v_cvt_f32_f16_sdwa v13, v6 dst_sel:DWORD dst_unused:UNUSED_PAD src0_sel:WORD_1
	v_cvt_f32_f16_e32 v12, v6
	v_cvt_f32_f16_sdwa v15, v7 dst_sel:DWORD dst_unused:UNUSED_PAD src0_sel:WORD_1
	v_cvt_f32_f16_e32 v14, v7
	v_mad_u64_u32 v[10:11], s[34:35], v1, s3, v[48:49]
	v_readlane_b32 s34, v237, 2
	v_pk_fma_f32 v[12:13], v[4:5], v[12:13], 0 op_sel_hi:[0,1,0]
	v_ashrrev_i32_e32 v11, 31, v10
	v_readlane_b32 s35, v237, 3
	s_waitcnt lgkmcnt(0)
	v_pk_fma_f32 v[6:7], v[8:9], v[14:15], v[12:13] op_sel_hi:[0,1,1]
	v_lshl_add_u64 v[10:11], v[10:11], 3, s[34:35]
	v_div_scale_f32 v1, s[34:35], v5, v5, v7
	v_rcp_f32_e32 v3, v1
	s_nop 0
	v_fma_f32 v4, -v1, v3, 1.0
	v_fmac_f32_e32 v3, v4, v3
	v_div_scale_f32 v4, vcc, v7, v5, v7
	v_mul_f32_e32 v8, v4, v3
	v_fma_f32 v9, -v1, v8, v4
	v_fmac_f32_e32 v8, v9, v3
	v_fma_f32 v1, -v1, v8, v4
	v_div_fmas_f32 v1, v1, v3, v8
	v_div_fixup_f32 v7, v1, v5, v7
	v_div_scale_f32 v1, s[34:35], v5, v5, v6
	v_rcp_f32_e32 v3, v1
	s_nop 0
	v_fma_f32 v4, -v1, v3, 1.0
	v_fmac_f32_e32 v3, v4, v3
	v_div_scale_f32 v4, vcc, v6, v5, v6
	v_mul_f32_e32 v8, v4, v3
	v_fma_f32 v9, -v1, v8, v4
	v_fmac_f32_e32 v8, v9, v3
	v_fma_f32 v1, -v1, v8, v4
	v_div_fmas_f32 v1, v1, v3, v8
	v_div_fixup_f32 v6, v1, v5, v6
	v_mov_b32_e32 v3, 0
	global_store_dwordx2 v[10:11], v[6:7], off
.LBB14_201:                             ;   in Loop: Header=BB14_14 Depth=1
	s_or_b64 exec, exec, s[26:27]
	s_movk_i32 s3, 0x47
	v_cmp_gt_i32_e32 vcc, s3, v3
	s_mov_b64 s[26:27], -1
	s_and_saveexec_b64 s[34:35], vcc
; %bb.202:                              ;   in Loop: Header=BB14_14 Depth=1
	v_cmp_eq_u32_e32 vcc, 0, v3
	s_orn2_b64 s[26:27], vcc, exec
; %bb.203:                              ;   in Loop: Header=BB14_14 Depth=1
	s_or_b64 exec, exec, s[34:35]
	s_and_saveexec_b64 s[34:35], s[26:27]
	s_cbranch_execz .LBB14_236
; %bb.204:                              ;   in Loop: Header=BB14_14 Depth=1
	v_add_u32_e32 v1, s2, v127
	v_cmp_gt_i32_e32 vcc, s72, v1
	v_mov_b32_e32 v3, 0x47
	s_and_saveexec_b64 s[26:27], vcc
	s_cbranch_execz .LBB14_206
; %bb.205:                              ;   in Loop: Header=BB14_14 Depth=1
	v_add_u32_e32 v3, 0, v156
	ds_read2_b32 v[4:5], v3 offset0:48 offset1:49
	ds_read2st64_b32 v[6:7], v157 offset1:13
	ds_read_b32 v8, v3 offset:3520
	v_readlane_b32 s3, v238, 42
	s_waitcnt lgkmcnt(1)
	v_cvt_f32_f16_sdwa v13, v6 dst_sel:DWORD dst_unused:UNUSED_PAD src0_sel:WORD_1
	v_cvt_f32_f16_e32 v12, v6
	v_cvt_f32_f16_sdwa v15, v7 dst_sel:DWORD dst_unused:UNUSED_PAD src0_sel:WORD_1
	v_cvt_f32_f16_e32 v14, v7
	v_mad_u64_u32 v[10:11], s[36:37], v1, s3, v[48:49]
	v_readlane_b32 s36, v237, 2
	v_pk_fma_f32 v[12:13], v[4:5], v[12:13], 0 op_sel_hi:[0,1,0]
	v_ashrrev_i32_e32 v11, 31, v10
	v_readlane_b32 s37, v237, 3
	s_waitcnt lgkmcnt(0)
	v_pk_fma_f32 v[6:7], v[8:9], v[14:15], v[12:13] op_sel_hi:[0,1,1]
	v_lshl_add_u64 v[10:11], v[10:11], 3, s[36:37]
	v_div_scale_f32 v1, s[36:37], v5, v5, v7
	v_rcp_f32_e32 v3, v1
	s_nop 0
	v_fma_f32 v4, -v1, v3, 1.0
	v_fmac_f32_e32 v3, v4, v3
	v_div_scale_f32 v4, vcc, v7, v5, v7
	v_mul_f32_e32 v8, v4, v3
	v_fma_f32 v9, -v1, v8, v4
	v_fmac_f32_e32 v8, v9, v3
	v_fma_f32 v1, -v1, v8, v4
	v_div_fmas_f32 v1, v1, v3, v8
	v_div_fixup_f32 v7, v1, v5, v7
	v_div_scale_f32 v1, s[36:37], v5, v5, v6
	v_rcp_f32_e32 v3, v1
	s_nop 0
	v_fma_f32 v4, -v1, v3, 1.0
	v_fmac_f32_e32 v3, v4, v3
	v_div_scale_f32 v4, vcc, v6, v5, v6
	v_mul_f32_e32 v8, v4, v3
	v_fma_f32 v9, -v1, v8, v4
	v_fmac_f32_e32 v8, v9, v3
	v_fma_f32 v1, -v1, v8, v4
	v_div_fmas_f32 v1, v1, v3, v8
	v_div_fixup_f32 v6, v1, v5, v6
	v_mov_b32_e32 v3, 0
	global_store_dwordx2 v[10:11], v[6:7], off
.LBB14_206:                             ;   in Loop: Header=BB14_14 Depth=1
	s_or_b64 exec, exec, s[26:27]
	s_movk_i32 s3, 0x47
	v_cmp_gt_i32_e32 vcc, s3, v3
	s_mov_b64 s[26:27], -1
	s_and_saveexec_b64 s[36:37], vcc
; %bb.207:                              ;   in Loop: Header=BB14_14 Depth=1
	v_cmp_eq_u32_e32 vcc, 0, v3
	s_orn2_b64 s[26:27], vcc, exec
; %bb.208:                              ;   in Loop: Header=BB14_14 Depth=1
	s_or_b64 exec, exec, s[36:37]
	s_and_b64 exec, exec, s[26:27]
	s_cbranch_execz .LBB14_236
; %bb.209:                              ;   in Loop: Header=BB14_14 Depth=1
	v_add_u32_e32 v1, s2, v128
	v_cmp_gt_i32_e32 vcc, s72, v1
	v_mov_b32_e32 v3, 0x47
	s_and_saveexec_b64 s[26:27], vcc
	s_cbranch_execz .LBB14_211
; %bb.210:                              ;   in Loop: Header=BB14_14 Depth=1
	v_add_u32_e32 v3, 0, v158
	ds_read2_b32 v[4:5], v3 offset0:48 offset1:49
	ds_read2st64_b32 v[6:7], v159 offset1:13
	ds_read_b32 v8, v3 offset:3520
	v_readlane_b32 s3, v238, 42
	s_waitcnt lgkmcnt(1)
	v_cvt_f32_f16_sdwa v13, v6 dst_sel:DWORD dst_unused:UNUSED_PAD src0_sel:WORD_1
	v_cvt_f32_f16_e32 v12, v6
	v_cvt_f32_f16_sdwa v15, v7 dst_sel:DWORD dst_unused:UNUSED_PAD src0_sel:WORD_1
	v_cvt_f32_f16_e32 v14, v7
	v_mad_u64_u32 v[10:11], s[36:37], v1, s3, v[48:49]
	v_readlane_b32 s36, v237, 2
	v_pk_fma_f32 v[12:13], v[4:5], v[12:13], 0 op_sel_hi:[0,1,0]
	v_ashrrev_i32_e32 v11, 31, v10
	v_readlane_b32 s37, v237, 3
	s_waitcnt lgkmcnt(0)
	v_pk_fma_f32 v[6:7], v[8:9], v[14:15], v[12:13] op_sel_hi:[0,1,1]
	v_lshl_add_u64 v[10:11], v[10:11], 3, s[36:37]
	v_div_scale_f32 v1, s[36:37], v5, v5, v7
	v_rcp_f32_e32 v3, v1
	s_nop 0
	v_fma_f32 v4, -v1, v3, 1.0
	v_fmac_f32_e32 v3, v4, v3
	v_div_scale_f32 v4, vcc, v7, v5, v7
	v_mul_f32_e32 v8, v4, v3
	v_fma_f32 v9, -v1, v8, v4
	v_fmac_f32_e32 v8, v9, v3
	v_fma_f32 v1, -v1, v8, v4
	v_div_fmas_f32 v1, v1, v3, v8
	v_div_fixup_f32 v7, v1, v5, v7
	v_div_scale_f32 v1, s[36:37], v5, v5, v6
	v_rcp_f32_e32 v3, v1
	s_nop 0
	v_fma_f32 v4, -v1, v3, 1.0
	v_fmac_f32_e32 v3, v4, v3
	v_div_scale_f32 v4, vcc, v6, v5, v6
	v_mul_f32_e32 v8, v4, v3
	v_fma_f32 v9, -v1, v8, v4
	v_fmac_f32_e32 v8, v9, v3
	v_fma_f32 v1, -v1, v8, v4
	v_div_fmas_f32 v1, v1, v3, v8
	v_div_fixup_f32 v6, v1, v5, v6
	v_mov_b32_e32 v3, 0
	global_store_dwordx2 v[10:11], v[6:7], off
.LBB14_211:                             ;   in Loop: Header=BB14_14 Depth=1
	s_or_b64 exec, exec, s[26:27]
	s_movk_i32 s3, 0x47
	v_cmp_gt_i32_e32 vcc, s3, v3
	s_mov_b64 s[26:27], -1
	s_and_saveexec_b64 s[36:37], vcc
; %bb.212:                              ;   in Loop: Header=BB14_14 Depth=1
	v_cmp_eq_u32_e32 vcc, 0, v3
	s_orn2_b64 s[26:27], vcc, exec
; %bb.213:                              ;   in Loop: Header=BB14_14 Depth=1
	s_or_b64 exec, exec, s[36:37]
	s_and_b64 exec, exec, s[26:27]
	s_cbranch_execz .LBB14_236
; %bb.214:                              ;   in Loop: Header=BB14_14 Depth=1
	v_add_u32_e32 v1, s2, v129
	v_cmp_gt_i32_e32 vcc, s72, v1
	v_mov_b32_e32 v3, 0x47
	s_and_saveexec_b64 s[26:27], vcc
	s_cbranch_execz .LBB14_216
; %bb.215:                              ;   in Loop: Header=BB14_14 Depth=1
	v_add_u32_e32 v3, 0, v160
	ds_read2_b32 v[4:5], v3 offset0:48 offset1:49
	ds_read2st64_b32 v[6:7], v161 offset1:13
	ds_read_b32 v8, v3 offset:3520
	v_readlane_b32 s3, v238, 42
	s_waitcnt lgkmcnt(1)
	v_cvt_f32_f16_sdwa v13, v6 dst_sel:DWORD dst_unused:UNUSED_PAD src0_sel:WORD_1
	v_cvt_f32_f16_e32 v12, v6
	v_cvt_f32_f16_sdwa v15, v7 dst_sel:DWORD dst_unused:UNUSED_PAD src0_sel:WORD_1
	v_cvt_f32_f16_e32 v14, v7
	v_mad_u64_u32 v[10:11], s[36:37], v1, s3, v[48:49]
	v_readlane_b32 s36, v237, 2
	v_pk_fma_f32 v[12:13], v[4:5], v[12:13], 0 op_sel_hi:[0,1,0]
	v_ashrrev_i32_e32 v11, 31, v10
	v_readlane_b32 s37, v237, 3
	s_waitcnt lgkmcnt(0)
	v_pk_fma_f32 v[6:7], v[8:9], v[14:15], v[12:13] op_sel_hi:[0,1,1]
	v_lshl_add_u64 v[10:11], v[10:11], 3, s[36:37]
	v_div_scale_f32 v1, s[36:37], v5, v5, v7
	v_rcp_f32_e32 v3, v1
	s_nop 0
	v_fma_f32 v4, -v1, v3, 1.0
	v_fmac_f32_e32 v3, v4, v3
	v_div_scale_f32 v4, vcc, v7, v5, v7
	v_mul_f32_e32 v8, v4, v3
	v_fma_f32 v9, -v1, v8, v4
	v_fmac_f32_e32 v8, v9, v3
	v_fma_f32 v1, -v1, v8, v4
	v_div_fmas_f32 v1, v1, v3, v8
	v_div_fixup_f32 v7, v1, v5, v7
	v_div_scale_f32 v1, s[36:37], v5, v5, v6
	v_rcp_f32_e32 v3, v1
	s_nop 0
	v_fma_f32 v4, -v1, v3, 1.0
	v_fmac_f32_e32 v3, v4, v3
	v_div_scale_f32 v4, vcc, v6, v5, v6
	v_mul_f32_e32 v8, v4, v3
	v_fma_f32 v9, -v1, v8, v4
	v_fmac_f32_e32 v8, v9, v3
	v_fma_f32 v1, -v1, v8, v4
	v_div_fmas_f32 v1, v1, v3, v8
	v_div_fixup_f32 v6, v1, v5, v6
	v_mov_b32_e32 v3, 0
	global_store_dwordx2 v[10:11], v[6:7], off
.LBB14_216:                             ;   in Loop: Header=BB14_14 Depth=1
	s_or_b64 exec, exec, s[26:27]
	s_movk_i32 s3, 0x47
	v_cmp_gt_i32_e32 vcc, s3, v3
	s_mov_b64 s[26:27], -1
	s_and_saveexec_b64 s[36:37], vcc
; %bb.217:                              ;   in Loop: Header=BB14_14 Depth=1
	v_cmp_eq_u32_e32 vcc, 0, v3
	s_orn2_b64 s[26:27], vcc, exec
; %bb.218:                              ;   in Loop: Header=BB14_14 Depth=1
	s_or_b64 exec, exec, s[36:37]
	s_and_b64 exec, exec, s[26:27]
	s_cbranch_execz .LBB14_236
; %bb.219:                              ;   in Loop: Header=BB14_14 Depth=1
	v_add_u32_e32 v1, s2, v130
	v_cmp_gt_i32_e32 vcc, s72, v1
	v_mov_b32_e32 v3, 0x47
	s_and_saveexec_b64 s[26:27], vcc
	s_cbranch_execz .LBB14_221
; %bb.220:                              ;   in Loop: Header=BB14_14 Depth=1
	v_add_u32_e32 v3, 0, v162
	ds_read2_b32 v[4:5], v3 offset0:48 offset1:49
	ds_read2st64_b32 v[6:7], v163 offset1:13
	ds_read_b32 v8, v3 offset:3520
	v_readlane_b32 s3, v238, 42
	s_waitcnt lgkmcnt(1)
	v_cvt_f32_f16_sdwa v13, v6 dst_sel:DWORD dst_unused:UNUSED_PAD src0_sel:WORD_1
	v_cvt_f32_f16_e32 v12, v6
	v_cvt_f32_f16_sdwa v15, v7 dst_sel:DWORD dst_unused:UNUSED_PAD src0_sel:WORD_1
	v_cvt_f32_f16_e32 v14, v7
	v_mad_u64_u32 v[10:11], s[36:37], v1, s3, v[48:49]
	v_readlane_b32 s36, v237, 2
	v_pk_fma_f32 v[12:13], v[4:5], v[12:13], 0 op_sel_hi:[0,1,0]
	v_ashrrev_i32_e32 v11, 31, v10
	v_readlane_b32 s37, v237, 3
	s_waitcnt lgkmcnt(0)
	v_pk_fma_f32 v[6:7], v[8:9], v[14:15], v[12:13] op_sel_hi:[0,1,1]
	v_lshl_add_u64 v[10:11], v[10:11], 3, s[36:37]
	v_div_scale_f32 v1, s[36:37], v5, v5, v7
	v_rcp_f32_e32 v3, v1
	s_nop 0
	v_fma_f32 v4, -v1, v3, 1.0
	v_fmac_f32_e32 v3, v4, v3
	v_div_scale_f32 v4, vcc, v7, v5, v7
	v_mul_f32_e32 v8, v4, v3
	v_fma_f32 v9, -v1, v8, v4
	v_fmac_f32_e32 v8, v9, v3
	v_fma_f32 v1, -v1, v8, v4
	v_div_fmas_f32 v1, v1, v3, v8
	v_div_fixup_f32 v7, v1, v5, v7
	v_div_scale_f32 v1, s[36:37], v5, v5, v6
	v_rcp_f32_e32 v3, v1
	s_nop 0
	v_fma_f32 v4, -v1, v3, 1.0
	v_fmac_f32_e32 v3, v4, v3
	v_div_scale_f32 v4, vcc, v6, v5, v6
	v_mul_f32_e32 v8, v4, v3
	v_fma_f32 v9, -v1, v8, v4
	v_fmac_f32_e32 v8, v9, v3
	v_fma_f32 v1, -v1, v8, v4
	v_div_fmas_f32 v1, v1, v3, v8
	v_div_fixup_f32 v6, v1, v5, v6
	v_mov_b32_e32 v3, 0
	global_store_dwordx2 v[10:11], v[6:7], off
.LBB14_221:                             ;   in Loop: Header=BB14_14 Depth=1
	s_or_b64 exec, exec, s[26:27]
	s_movk_i32 s3, 0x47
	v_cmp_gt_i32_e32 vcc, s3, v3
	s_mov_b64 s[26:27], -1
	s_and_saveexec_b64 s[36:37], vcc
; %bb.222:                              ;   in Loop: Header=BB14_14 Depth=1
	v_cmp_eq_u32_e32 vcc, 0, v3
	s_orn2_b64 s[26:27], vcc, exec
; %bb.223:                              ;   in Loop: Header=BB14_14 Depth=1
	s_or_b64 exec, exec, s[36:37]
	s_and_b64 exec, exec, s[26:27]
	s_cbranch_execz .LBB14_236
; %bb.224:                              ;   in Loop: Header=BB14_14 Depth=1
	v_add_u32_e32 v1, s2, v131
	v_cmp_gt_i32_e32 vcc, s72, v1
	v_mov_b32_e32 v3, 0x47
	s_and_saveexec_b64 s[26:27], vcc
	s_cbranch_execz .LBB14_226
; %bb.225:                              ;   in Loop: Header=BB14_14 Depth=1
	v_add_u32_e32 v3, 0, v164
	ds_read2_b32 v[4:5], v3 offset0:48 offset1:49
	ds_read2st64_b32 v[6:7], v165 offset1:13
	ds_read_b32 v8, v3 offset:3520
	v_readlane_b32 s3, v238, 42
	s_waitcnt lgkmcnt(1)
	v_cvt_f32_f16_sdwa v13, v6 dst_sel:DWORD dst_unused:UNUSED_PAD src0_sel:WORD_1
	v_cvt_f32_f16_e32 v12, v6
	v_cvt_f32_f16_sdwa v15, v7 dst_sel:DWORD dst_unused:UNUSED_PAD src0_sel:WORD_1
	v_cvt_f32_f16_e32 v14, v7
	v_mad_u64_u32 v[10:11], s[36:37], v1, s3, v[48:49]
	v_readlane_b32 s36, v237, 2
	v_pk_fma_f32 v[12:13], v[4:5], v[12:13], 0 op_sel_hi:[0,1,0]
	v_ashrrev_i32_e32 v11, 31, v10
	v_readlane_b32 s37, v237, 3
	s_waitcnt lgkmcnt(0)
	v_pk_fma_f32 v[6:7], v[8:9], v[14:15], v[12:13] op_sel_hi:[0,1,1]
	v_lshl_add_u64 v[10:11], v[10:11], 3, s[36:37]
	v_div_scale_f32 v1, s[36:37], v5, v5, v7
	v_rcp_f32_e32 v3, v1
	s_nop 0
	v_fma_f32 v4, -v1, v3, 1.0
	v_fmac_f32_e32 v3, v4, v3
	v_div_scale_f32 v4, vcc, v7, v5, v7
	v_mul_f32_e32 v8, v4, v3
	v_fma_f32 v9, -v1, v8, v4
	v_fmac_f32_e32 v8, v9, v3
	v_fma_f32 v1, -v1, v8, v4
	v_div_fmas_f32 v1, v1, v3, v8
	v_div_fixup_f32 v7, v1, v5, v7
	v_div_scale_f32 v1, s[36:37], v5, v5, v6
	v_rcp_f32_e32 v3, v1
	s_nop 0
	v_fma_f32 v4, -v1, v3, 1.0
	v_fmac_f32_e32 v3, v4, v3
	v_div_scale_f32 v4, vcc, v6, v5, v6
	v_mul_f32_e32 v8, v4, v3
	v_fma_f32 v9, -v1, v8, v4
	v_fmac_f32_e32 v8, v9, v3
	v_fma_f32 v1, -v1, v8, v4
	v_div_fmas_f32 v1, v1, v3, v8
	v_div_fixup_f32 v6, v1, v5, v6
	v_mov_b32_e32 v3, 0
	global_store_dwordx2 v[10:11], v[6:7], off
.LBB14_226:                             ;   in Loop: Header=BB14_14 Depth=1
	s_or_b64 exec, exec, s[26:27]
	s_movk_i32 s3, 0x47
	v_cmp_gt_i32_e32 vcc, s3, v3
	s_mov_b64 s[26:27], -1
	s_and_saveexec_b64 s[36:37], vcc
; %bb.227:                              ;   in Loop: Header=BB14_14 Depth=1
	v_cmp_eq_u32_e32 vcc, 0, v3
	s_orn2_b64 s[26:27], vcc, exec
; %bb.228:                              ;   in Loop: Header=BB14_14 Depth=1
	s_or_b64 exec, exec, s[36:37]
	s_and_b64 exec, exec, s[26:27]
	s_cbranch_execz .LBB14_236
; %bb.229:                              ;   in Loop: Header=BB14_14 Depth=1
	v_add_u32_e32 v1, s2, v132
	v_cmp_gt_i32_e32 vcc, s72, v1
	v_mov_b32_e32 v3, 0x47
	s_and_saveexec_b64 s[26:27], vcc
	s_cbranch_execz .LBB14_231
; %bb.230:                              ;   in Loop: Header=BB14_14 Depth=1
	v_add_u32_e32 v3, 0, v166
	ds_read2_b32 v[4:5], v3 offset0:48 offset1:49
	ds_read2st64_b32 v[6:7], v167 offset1:13
	ds_read_b32 v8, v3 offset:3520
	v_readlane_b32 s3, v238, 42
	s_waitcnt lgkmcnt(1)
	v_cvt_f32_f16_sdwa v13, v6 dst_sel:DWORD dst_unused:UNUSED_PAD src0_sel:WORD_1
	v_cvt_f32_f16_e32 v12, v6
	v_cvt_f32_f16_sdwa v15, v7 dst_sel:DWORD dst_unused:UNUSED_PAD src0_sel:WORD_1
	v_cvt_f32_f16_e32 v14, v7
	v_mad_u64_u32 v[10:11], s[36:37], v1, s3, v[48:49]
	v_readlane_b32 s36, v237, 2
	v_pk_fma_f32 v[12:13], v[4:5], v[12:13], 0 op_sel_hi:[0,1,0]
	v_ashrrev_i32_e32 v11, 31, v10
	v_readlane_b32 s37, v237, 3
	s_waitcnt lgkmcnt(0)
	v_pk_fma_f32 v[6:7], v[8:9], v[14:15], v[12:13] op_sel_hi:[0,1,1]
	v_lshl_add_u64 v[10:11], v[10:11], 3, s[36:37]
	v_div_scale_f32 v1, s[36:37], v5, v5, v7
	v_rcp_f32_e32 v3, v1
	s_nop 0
	v_fma_f32 v4, -v1, v3, 1.0
	v_fmac_f32_e32 v3, v4, v3
	v_div_scale_f32 v4, vcc, v7, v5, v7
	v_mul_f32_e32 v8, v4, v3
	v_fma_f32 v9, -v1, v8, v4
	v_fmac_f32_e32 v8, v9, v3
	v_fma_f32 v1, -v1, v8, v4
	v_div_fmas_f32 v1, v1, v3, v8
	v_div_fixup_f32 v7, v1, v5, v7
	v_div_scale_f32 v1, s[36:37], v5, v5, v6
	v_rcp_f32_e32 v3, v1
	s_nop 0
	v_fma_f32 v4, -v1, v3, 1.0
	v_fmac_f32_e32 v3, v4, v3
	v_div_scale_f32 v4, vcc, v6, v5, v6
	v_mul_f32_e32 v8, v4, v3
	v_fma_f32 v9, -v1, v8, v4
	v_fmac_f32_e32 v8, v9, v3
	v_fma_f32 v1, -v1, v8, v4
	v_div_fmas_f32 v1, v1, v3, v8
	v_div_fixup_f32 v6, v1, v5, v6
	v_mov_b32_e32 v3, 0
	global_store_dwordx2 v[10:11], v[6:7], off
.LBB14_231:                             ;   in Loop: Header=BB14_14 Depth=1
	s_or_b64 exec, exec, s[26:27]
	s_movk_i32 s3, 0x47
	v_cmp_gt_i32_e32 vcc, s3, v3
	s_mov_b64 s[26:27], -1
	s_and_saveexec_b64 s[36:37], vcc
; %bb.232:                              ;   in Loop: Header=BB14_14 Depth=1
	v_cmp_eq_u32_e32 vcc, 0, v3
	s_orn2_b64 s[26:27], vcc, exec
; %bb.233:                              ;   in Loop: Header=BB14_14 Depth=1
	s_or_b64 exec, exec, s[36:37]
	s_and_b64 exec, exec, s[26:27]
	s_cbranch_execz .LBB14_236
; %bb.234:                              ;   in Loop: Header=BB14_14 Depth=1
	v_add_u32_e32 v1, s2, v133
	v_cmp_gt_i32_e32 vcc, s72, v1
	s_and_b64 exec, exec, vcc
	s_cbranch_execz .LBB14_236
; %bb.235:                              ;   in Loop: Header=BB14_14 Depth=1
	v_add_u32_e32 v3, 0, v168
	ds_read2_b32 v[4:5], v3 offset0:48 offset1:49
	ds_read2st64_b32 v[6:7], v169 offset1:13
	ds_read_b32 v8, v3 offset:3520
	v_readlane_b32 s3, v238, 42
	s_waitcnt lgkmcnt(1)
	v_cvt_f32_f16_sdwa v13, v6 dst_sel:DWORD dst_unused:UNUSED_PAD src0_sel:WORD_1
	v_cvt_f32_f16_e32 v12, v6
	v_cvt_f32_f16_sdwa v15, v7 dst_sel:DWORD dst_unused:UNUSED_PAD src0_sel:WORD_1
	v_cvt_f32_f16_e32 v14, v7
	v_mad_u64_u32 v[10:11], s[26:27], v1, s3, v[48:49]
	v_readlane_b32 s26, v237, 2
	v_pk_fma_f32 v[12:13], v[4:5], v[12:13], 0 op_sel_hi:[0,1,0]
	v_ashrrev_i32_e32 v11, 31, v10
	v_readlane_b32 s27, v237, 3
	s_waitcnt lgkmcnt(0)
	v_pk_fma_f32 v[6:7], v[8:9], v[14:15], v[12:13] op_sel_hi:[0,1,1]
	v_lshl_add_u64 v[10:11], v[10:11], 3, s[26:27]
	v_div_scale_f32 v1, s[26:27], v5, v5, v7
	v_rcp_f32_e32 v3, v1
	s_nop 0
	v_fma_f32 v4, -v1, v3, 1.0
	v_fmac_f32_e32 v3, v4, v3
	v_div_scale_f32 v4, vcc, v7, v5, v7
	v_mul_f32_e32 v8, v4, v3
	v_fma_f32 v9, -v1, v8, v4
	v_fmac_f32_e32 v8, v9, v3
	v_fma_f32 v1, -v1, v8, v4
	v_div_fmas_f32 v1, v1, v3, v8
	v_div_fixup_f32 v7, v1, v5, v7
	v_div_scale_f32 v1, s[26:27], v5, v5, v6
	v_rcp_f32_e32 v3, v1
	s_nop 0
	v_fma_f32 v4, -v1, v3, 1.0
	v_fmac_f32_e32 v3, v4, v3
	v_div_scale_f32 v4, vcc, v6, v5, v6
	v_mul_f32_e32 v8, v4, v3
	v_fma_f32 v9, -v1, v8, v4
	v_fmac_f32_e32 v8, v9, v3
	v_fma_f32 v1, -v1, v8, v4
	v_div_fmas_f32 v1, v1, v3, v8
	v_div_fixup_f32 v6, v1, v5, v6
	global_store_dwordx2 v[10:11], v[6:7], off
.LBB14_236:                             ;   in Loop: Header=BB14_14 Depth=1
	s_or_b64 exec, exec, s[34:35]
	v_add_u32_e32 v3, s2, v126
	v_cmp_gt_i32_e32 vcc, s72, v3
	v_mov_b32_e32 v1, 0x47
	s_and_saveexec_b64 s[26:27], vcc
	s_cbranch_execz .LBB14_238
; %bb.237:                              ;   in Loop: Header=BB14_14 Depth=1
	v_readlane_b32 s3, v238, 42
	v_add_u32_e32 v1, 0, v170
	ds_read2_b32 v[6:7], v1 offset0:48 offset1:49
	v_mul_lo_u32 v4, v3, s3
	v_add_u32_e32 v3, 0x80, v171
	ds_read2st64_b32 v[8:9], v3 offset1:13
	ds_read_b32 v10, v1 offset:3520
	v_ashrrev_i32_e32 v5, 31, v4
	v_readlane_b32 s34, v237, 2
	v_lshl_add_u64 v[4:5], v[4:5], 0, v[28:29]
	s_waitcnt lgkmcnt(1)
	v_cvt_f32_f16_sdwa v13, v8 dst_sel:DWORD dst_unused:UNUSED_PAD src0_sel:WORD_1
	v_cvt_f32_f16_e32 v12, v8
	v_cvt_f32_f16_sdwa v15, v9 dst_sel:DWORD dst_unused:UNUSED_PAD src0_sel:WORD_1
	v_cvt_f32_f16_e32 v14, v9
	v_readlane_b32 s35, v237, 3
	v_pk_fma_f32 v[12:13], v[6:7], v[12:13], 0 op_sel_hi:[0,1,0]
	s_waitcnt lgkmcnt(0)
	v_pk_fma_f32 v[8:9], v[10:11], v[14:15], v[12:13] op_sel_hi:[0,1,1]
	v_lshl_add_u64 v[4:5], v[4:5], 3, s[34:35]
	v_div_scale_f32 v1, s[34:35], v7, v7, v9
	v_rcp_f32_e32 v3, v1
	s_nop 0
	v_fma_f32 v6, -v1, v3, 1.0
	v_fmac_f32_e32 v3, v6, v3
	v_div_scale_f32 v6, vcc, v9, v7, v9
	v_mul_f32_e32 v10, v6, v3
	v_fma_f32 v11, -v1, v10, v6
	v_fmac_f32_e32 v10, v11, v3
	v_fma_f32 v1, -v1, v10, v6
	v_div_fmas_f32 v1, v1, v3, v10
	v_div_fixup_f32 v9, v1, v7, v9
	v_div_scale_f32 v1, s[34:35], v7, v7, v8
	v_rcp_f32_e32 v3, v1
	s_nop 0
	v_fma_f32 v6, -v1, v3, 1.0
	v_fmac_f32_e32 v3, v6, v3
	v_div_scale_f32 v6, vcc, v8, v7, v8
	v_mul_f32_e32 v10, v6, v3
	v_fma_f32 v11, -v1, v10, v6
	v_fmac_f32_e32 v10, v11, v3
	v_fma_f32 v1, -v1, v10, v6
	v_div_fmas_f32 v1, v1, v3, v10
	v_div_fixup_f32 v8, v1, v7, v8
	v_mov_b32_e32 v1, 0
	global_store_dwordx2 v[4:5], v[8:9], off offset:256
.LBB14_238:                             ;   in Loop: Header=BB14_14 Depth=1
	s_or_b64 exec, exec, s[26:27]
	s_movk_i32 s3, 0x47
	v_cmp_gt_i32_e32 vcc, s3, v1
	s_mov_b64 s[26:27], -1
	s_and_saveexec_b64 s[34:35], vcc
; %bb.239:                              ;   in Loop: Header=BB14_14 Depth=1
	v_cmp_eq_u32_e32 vcc, 0, v1
	s_orn2_b64 s[26:27], vcc, exec
; %bb.240:                              ;   in Loop: Header=BB14_14 Depth=1
	s_or_b64 exec, exec, s[34:35]
	s_and_b64 exec, exec, s[26:27]
	s_cbranch_execz .LBB14_12
; %bb.241:                              ;   in Loop: Header=BB14_14 Depth=1
	v_add_u32_e32 v3, s2, v134
	v_cmp_gt_i32_e32 vcc, s72, v3
	v_mov_b32_e32 v1, 0x47
	s_and_saveexec_b64 s[26:27], vcc
	s_cbranch_execz .LBB14_243
; %bb.242:                              ;   in Loop: Header=BB14_14 Depth=1
	v_readlane_b32 s3, v238, 42
	v_add_u32_e32 v1, 0, v172
	ds_read2_b32 v[6:7], v1 offset0:48 offset1:49
	v_mul_lo_u32 v4, v3, s3
	v_add_u32_e32 v3, 0x80, v173
	ds_read2st64_b32 v[8:9], v3 offset1:13
	ds_read_b32 v10, v1 offset:3520
	v_ashrrev_i32_e32 v5, 31, v4
	v_readlane_b32 s34, v237, 2
	v_lshl_add_u64 v[4:5], v[4:5], 0, v[28:29]
	s_waitcnt lgkmcnt(1)
	v_cvt_f32_f16_sdwa v13, v8 dst_sel:DWORD dst_unused:UNUSED_PAD src0_sel:WORD_1
	v_cvt_f32_f16_e32 v12, v8
	v_cvt_f32_f16_sdwa v15, v9 dst_sel:DWORD dst_unused:UNUSED_PAD src0_sel:WORD_1
	v_cvt_f32_f16_e32 v14, v9
	v_readlane_b32 s35, v237, 3
	v_pk_fma_f32 v[12:13], v[6:7], v[12:13], 0 op_sel_hi:[0,1,0]
	s_waitcnt lgkmcnt(0)
	v_pk_fma_f32 v[8:9], v[10:11], v[14:15], v[12:13] op_sel_hi:[0,1,1]
	v_lshl_add_u64 v[4:5], v[4:5], 3, s[34:35]
	v_div_scale_f32 v1, s[34:35], v7, v7, v9
	v_rcp_f32_e32 v3, v1
	s_nop 0
	v_fma_f32 v6, -v1, v3, 1.0
	v_fmac_f32_e32 v3, v6, v3
	v_div_scale_f32 v6, vcc, v9, v7, v9
	v_mul_f32_e32 v10, v6, v3
	v_fma_f32 v11, -v1, v10, v6
	v_fmac_f32_e32 v10, v11, v3
	v_fma_f32 v1, -v1, v10, v6
	v_div_fmas_f32 v1, v1, v3, v10
	v_div_fixup_f32 v9, v1, v7, v9
	v_div_scale_f32 v1, s[34:35], v7, v7, v8
	v_rcp_f32_e32 v3, v1
	s_nop 0
	v_fma_f32 v6, -v1, v3, 1.0
	v_fmac_f32_e32 v3, v6, v3
	v_div_scale_f32 v6, vcc, v8, v7, v8
	v_mul_f32_e32 v10, v6, v3
	v_fma_f32 v11, -v1, v10, v6
	v_fmac_f32_e32 v10, v11, v3
	v_fma_f32 v1, -v1, v10, v6
	v_div_fmas_f32 v1, v1, v3, v10
	v_div_fixup_f32 v8, v1, v7, v8
	v_mov_b32_e32 v1, 0
	global_store_dwordx2 v[4:5], v[8:9], off offset:256
.LBB14_243:                             ;   in Loop: Header=BB14_14 Depth=1
	s_or_b64 exec, exec, s[26:27]
	s_movk_i32 s3, 0x47
	v_cmp_gt_i32_e32 vcc, s3, v1
	s_mov_b64 s[26:27], -1
	s_and_saveexec_b64 s[34:35], vcc
; %bb.244:                              ;   in Loop: Header=BB14_14 Depth=1
	v_cmp_eq_u32_e32 vcc, 0, v1
	s_orn2_b64 s[26:27], vcc, exec
; %bb.245:                              ;   in Loop: Header=BB14_14 Depth=1
	s_or_b64 exec, exec, s[34:35]
	s_and_b64 exec, exec, s[26:27]
	s_cbranch_execz .LBB14_12
; %bb.246:                              ;   in Loop: Header=BB14_14 Depth=1
	v_add_u32_e32 v3, s2, v135
	v_cmp_gt_i32_e32 vcc, s72, v3
	v_mov_b32_e32 v1, 0x47
	s_and_saveexec_b64 s[26:27], vcc
	s_cbranch_execz .LBB14_248
; %bb.247:                              ;   in Loop: Header=BB14_14 Depth=1
	v_readlane_b32 s3, v238, 42
	v_add_u32_e32 v1, 0, v174
	ds_read2_b32 v[6:7], v1 offset0:48 offset1:49
	v_mul_lo_u32 v4, v3, s3
	v_add_u32_e32 v3, 0x80, v175
	ds_read2st64_b32 v[8:9], v3 offset1:13
	ds_read_b32 v10, v1 offset:3520
	v_ashrrev_i32_e32 v5, 31, v4
	v_readlane_b32 s34, v237, 2
	v_lshl_add_u64 v[4:5], v[4:5], 0, v[28:29]
	s_waitcnt lgkmcnt(1)
	v_cvt_f32_f16_sdwa v13, v8 dst_sel:DWORD dst_unused:UNUSED_PAD src0_sel:WORD_1
	v_cvt_f32_f16_e32 v12, v8
	v_cvt_f32_f16_sdwa v15, v9 dst_sel:DWORD dst_unused:UNUSED_PAD src0_sel:WORD_1
	v_cvt_f32_f16_e32 v14, v9
	v_readlane_b32 s35, v237, 3
	v_pk_fma_f32 v[12:13], v[6:7], v[12:13], 0 op_sel_hi:[0,1,0]
	s_waitcnt lgkmcnt(0)
	v_pk_fma_f32 v[8:9], v[10:11], v[14:15], v[12:13] op_sel_hi:[0,1,1]
	v_lshl_add_u64 v[4:5], v[4:5], 3, s[34:35]
	v_div_scale_f32 v1, s[34:35], v7, v7, v9
	v_rcp_f32_e32 v3, v1
	s_nop 0
	v_fma_f32 v6, -v1, v3, 1.0
	v_fmac_f32_e32 v3, v6, v3
	v_div_scale_f32 v6, vcc, v9, v7, v9
	v_mul_f32_e32 v10, v6, v3
	v_fma_f32 v11, -v1, v10, v6
	v_fmac_f32_e32 v10, v11, v3
	v_fma_f32 v1, -v1, v10, v6
	v_div_fmas_f32 v1, v1, v3, v10
	v_div_fixup_f32 v9, v1, v7, v9
	v_div_scale_f32 v1, s[34:35], v7, v7, v8
	v_rcp_f32_e32 v3, v1
	s_nop 0
	v_fma_f32 v6, -v1, v3, 1.0
	v_fmac_f32_e32 v3, v6, v3
	v_div_scale_f32 v6, vcc, v8, v7, v8
	v_mul_f32_e32 v10, v6, v3
	v_fma_f32 v11, -v1, v10, v6
	v_fmac_f32_e32 v10, v11, v3
	v_fma_f32 v1, -v1, v10, v6
	v_div_fmas_f32 v1, v1, v3, v10
	v_div_fixup_f32 v8, v1, v7, v8
	v_mov_b32_e32 v1, 0
	global_store_dwordx2 v[4:5], v[8:9], off offset:256
.LBB14_248:                             ;   in Loop: Header=BB14_14 Depth=1
	s_or_b64 exec, exec, s[26:27]
	s_movk_i32 s3, 0x47
	v_cmp_gt_i32_e32 vcc, s3, v1
	s_mov_b64 s[26:27], -1
	s_and_saveexec_b64 s[34:35], vcc
; %bb.249:                              ;   in Loop: Header=BB14_14 Depth=1
	v_cmp_eq_u32_e32 vcc, 0, v1
	s_orn2_b64 s[26:27], vcc, exec
; %bb.250:                              ;   in Loop: Header=BB14_14 Depth=1
	s_or_b64 exec, exec, s[34:35]
	s_and_b64 exec, exec, s[26:27]
	s_cbranch_execz .LBB14_12
; %bb.251:                              ;   in Loop: Header=BB14_14 Depth=1
	v_add_u32_e32 v1, s2, v136
	v_cmp_gt_i32_e32 vcc, s72, v1
	s_and_b64 exec, exec, vcc
	s_cbranch_execz .LBB14_12
; %bb.252:                              ;   in Loop: Header=BB14_14 Depth=1
	v_readlane_b32 s2, v238, 42
	v_add_u32_e32 v3, 0x80, v177
	s_nop 0
	v_mul_lo_u32 v4, v1, s2
	v_add_u32_e32 v1, 0, v176
	ds_read2_b32 v[6:7], v1 offset0:48 offset1:49
	ds_read2st64_b32 v[8:9], v3 offset1:13
	ds_read_b32 v10, v1 offset:3520
	v_ashrrev_i32_e32 v5, 31, v4
	v_readlane_b32 s2, v237, 2
	v_lshl_add_u64 v[4:5], v[4:5], 0, v[28:29]
	s_waitcnt lgkmcnt(1)
	v_cvt_f32_f16_sdwa v13, v8 dst_sel:DWORD dst_unused:UNUSED_PAD src0_sel:WORD_1
	v_cvt_f32_f16_e32 v12, v8
	v_cvt_f32_f16_sdwa v15, v9 dst_sel:DWORD dst_unused:UNUSED_PAD src0_sel:WORD_1
	v_cvt_f32_f16_e32 v14, v9
	v_readlane_b32 s3, v237, 3
	v_pk_fma_f32 v[12:13], v[6:7], v[12:13], 0 op_sel_hi:[0,1,0]
	s_waitcnt lgkmcnt(0)
	v_pk_fma_f32 v[8:9], v[10:11], v[14:15], v[12:13] op_sel_hi:[0,1,1]
	v_lshl_add_u64 v[4:5], v[4:5], 3, s[2:3]
	v_div_scale_f32 v1, s[2:3], v7, v7, v9
	v_rcp_f32_e32 v3, v1
	s_nop 0
	v_fma_f32 v6, -v1, v3, 1.0
	v_fmac_f32_e32 v3, v6, v3
	v_div_scale_f32 v6, vcc, v9, v7, v9
	v_mul_f32_e32 v10, v6, v3
	v_fma_f32 v11, -v1, v10, v6
	v_fmac_f32_e32 v10, v11, v3
	v_fma_f32 v1, -v1, v10, v6
	v_div_fmas_f32 v1, v1, v3, v10
	v_div_fixup_f32 v9, v1, v7, v9
	v_div_scale_f32 v1, s[2:3], v7, v7, v8
	v_rcp_f32_e32 v3, v1
	s_nop 0
	v_fma_f32 v6, -v1, v3, 1.0
	v_fmac_f32_e32 v3, v6, v3
	v_div_scale_f32 v6, vcc, v8, v7, v8
	v_mul_f32_e32 v10, v6, v3
	v_fma_f32 v11, -v1, v10, v6
	v_fmac_f32_e32 v10, v11, v3
	v_fma_f32 v1, -v1, v10, v6
	v_div_fmas_f32 v1, v1, v3, v10
	v_div_fixup_f32 v8, v1, v7, v8
	global_store_dwordx2 v[4:5], v[8:9], off offset:256
	s_branch .LBB14_12
.LBB14_253:
	v_readlane_b32 s20, v238, 36
	v_readlane_b32 s54, v238, 31
	;; [unrolled: 1-line block ×10, first 2 shown]
	s_andn2_b64 vcc, exec, s[26:27]
	s_cbranch_vccnz .LBB14_10
.LBB14_254:
	v_readlane_b32 s6, v238, 7
	s_abs_i32 s0, s6
	v_cvt_f32_u32_e32 v1, s0
	s_sub_i32 s3, 0, s0
	s_abs_i32 s2, s98
	s_xor_b32 s1, s98, s6
	v_rcp_iflag_f32_e32 v1, v1
	s_ashr_i32 s1, s1, 31
	v_readlane_b32 s10, v238, 6
	v_readlane_b32 s7, v238, 3
	v_mul_f32_e32 v1, 0x4f7ffffe, v1
	v_cvt_u32_f32_e32 v1, v1
	s_nop 0
	v_readfirstlane_b32 s4, v1
	s_mul_i32 s3, s3, s4
	s_mul_hi_u32 s3, s4, s3
	s_add_i32 s4, s4, s3
	s_mul_hi_u32 s3, s2, s4
	s_mul_i32 s4, s3, s0
	s_sub_i32 s2, s2, s4
	s_add_i32 s5, s3, 1
	s_sub_i32 s4, s2, s0
	s_cmp_ge_u32 s2, s0
	s_cselect_b32 s3, s5, s3
	s_cselect_b32 s2, s4, s2
	s_add_i32 s4, s3, 1
	s_cmp_ge_u32 s2, s0
	s_cselect_b32 s0, s4, s3
	s_abs_i32 s2, s10
	v_cvt_f32_u32_e32 v1, s2
	s_xor_b32 s0, s0, s1
	s_sub_i32 s3, 0, s2
	s_sub_i32 s8, s0, s1
	v_rcp_iflag_f32_e32 v1, v1
	s_mul_i32 s0, s8, s6
	s_sub_i32 s0, s98, s0
	s_abs_i32 s4, s0
	v_mul_f32_e32 v1, 0x4f7ffffe, v1
	v_cvt_u32_f32_e32 v1, v1
	s_xor_b32 s1, s0, s10
	s_ashr_i32 s1, s1, 31
	v_readfirstlane_b32 s5, v1
	s_mul_i32 s3, s3, s5
	s_mul_hi_u32 s3, s5, s3
	s_add_i32 s5, s5, s3
	s_mul_hi_u32 s3, s4, s5
	s_mul_i32 s5, s3, s2
	s_sub_i32 s4, s4, s5
	s_add_i32 s6, s3, 1
	s_sub_i32 s5, s4, s2
	s_cmp_ge_u32 s4, s2
	s_cselect_b32 s3, s6, s3
	s_cselect_b32 s4, s5, s4
	s_add_i32 s5, s3, 1
	s_cmp_ge_u32 s4, s2
	s_cselect_b32 s2, s5, s3
	s_abs_i32 s3, s7
	v_cvt_f32_u32_e32 v1, s3
	s_xor_b32 s2, s2, s1
	s_sub_i32 s4, 0, s3
	s_sub_i32 s9, s2, s1
	v_rcp_iflag_f32_e32 v1, v1
	s_mul_i32 s1, s9, s10
	s_sub_i32 s1, s0, s1
	s_abs_i32 s2, s1
	v_mul_f32_e32 v1, 0x4f7ffffe, v1
	v_cvt_u32_f32_e32 v1, v1
	s_xor_b32 s0, s1, s7
	s_ashr_i32 s0, s0, 31
	v_readfirstlane_b32 s5, v1
	s_mul_i32 s4, s4, s5
	s_mul_hi_u32 s4, s5, s4
	s_add_i32 s5, s5, s4
	s_mul_hi_u32 s4, s2, s5
	s_mul_i32 s5, s4, s3
	s_sub_i32 s2, s2, s5
	s_add_i32 s6, s4, 1
	s_sub_i32 s5, s2, s3
	s_cmp_ge_u32 s2, s3
	s_cselect_b32 s4, s6, s4
	s_cselect_b32 s2, s5, s2
	s_add_i32 s5, s4, 1
	s_cmp_ge_u32 s2, s3
	s_cselect_b32 s2, s5, s4
	s_xor_b32 s2, s2, s0
	s_sub_i32 s0, s2, s0
	s_mul_i32 s2, s0, s7
	s_sub_i32 s1, s1, s2
	s_abs_i32 s12, s1
	s_ashr_i32 s10, s8, 31
	s_mul_hi_u32 s11, s12, s41
	s_cmp_eq_u64 s[62:63], 0
	s_mov_b64 s[2:3], 0
	s_cbranch_scc1 .LBB14_256
; %bb.255:
	s_abs_i32 s2, s16
	v_cvt_f32_u32_e32 v1, s2
	s_sub_i32 s4, 0, s2
	s_abs_i32 s3, s8
	v_readlane_b32 s6, v238, 15
	v_rcp_iflag_f32_e32 v1, v1
	v_readlane_b32 s7, v238, 16
	v_mul_f32_e32 v1, 0x4f7ffffe, v1
	v_cvt_u32_f32_e32 v1, v1
	s_nop 0
	v_readfirstlane_b32 s5, v1
	s_mul_i32 s4, s4, s5
	s_mul_hi_u32 s4, s5, s4
	s_add_i32 s5, s5, s4
	s_mul_hi_u32 s4, s3, s5
	s_mul_i32 s4, s4, s2
	s_sub_i32 s3, s3, s4
	s_sub_i32 s4, s3, s2
	s_cmp_ge_u32 s3, s2
	s_cselect_b32 s3, s4, s3
	s_sub_i32 s4, s3, s2
	s_cmp_ge_u32 s3, s2
	s_cselect_b32 s2, s4, s3
	s_xor_b32 s2, s2, s10
	s_sub_i32 s2, s2, s10
	s_ashr_i32 s3, s2, 31
	s_mul_i32 s4, s2, s7
	s_mul_hi_u32 s5, s2, s6
	s_add_i32 s4, s5, s4
	s_mul_i32 s3, s3, s6
	s_add_i32 s4, s4, s3
	s_mul_i32 s2, s2, s6
	s_add_u32 s2, s62, s2
	s_addc_u32 s3, s63, s4
.LBB14_256:
	s_ashr_i32 s14, s1, 31
	v_readlane_b32 s1, v238, 2
	s_mul_i32 s13, s9, s1
	s_add_i32 s13, s13, s0
	v_cmp_le_f32_e64 s[0:1], s21, 0
	s_and_b64 vcc, exec, s[0:1]
	v_mov_b32_e32 v30, 1.0
	s_cbranch_vccnz .LBB14_258
; %bb.257:
	v_readlane_b32 s1, v238, 12
	s_sub_i32 s0, s13, s1
	s_lshl_b32 s0, s0, 1
	s_add_i32 s4, s13, 1
	s_or_b32 s5, s0, 1
	s_cmp_lt_u32 s13, s1
	s_cselect_b64 vcc, -1, 0
	s_and_b64 s[0:1], vcc, exec
	v_mov_b32_e32 v1, s23
	v_mov_b32_e32 v2, s22
	s_cselect_b32 s0, s4, s5
	v_cndmask_b32_e32 v18, v1, v2, vcc
	v_cvt_f32_i32_e32 v1, s0
	v_cmp_neq_f32_e32 vcc, 1.0, v18
	s_mov_b32 s0, 0x3f2aaaab
	s_movk_i32 s4, 0x204
	v_cndmask_b32_e32 v19, 1.0, v1, vcc
	v_cmp_eq_f32_e32 vcc, 0, v19
	s_mov_b32 s6, 0x42b17218
	s_mov_b32 s5, 0x7f800000
	v_cndmask_b32_e64 v20, |v18|, 1.0, vcc
	v_frexp_mant_f32_e32 v1, v20
	v_cmp_gt_f32_e64 s[0:1], s0, v1
	s_brev_b32 s15, -2
	s_nop 0
	v_cndmask_b32_e64 v2, 1.0, 2.0, s[0:1]
	v_mul_f32_e32 v1, v1, v2
	v_add_f32_e32 v2, 1.0, v1
	v_rcp_f32_e32 v10, v2
	v_add_f32_e32 v3, -1.0, v2
	v_sub_f32_e32 v5, v1, v3
	v_add_f32_e32 v3, -1.0, v1
	v_mul_f32_e32 v1, v3, v10
	v_mul_f32_e32 v4, v2, v1
	v_fma_f32 v6, v1, v2, -v4
	v_fmac_f32_e32 v6, v1, v5
	v_add_f32_e32 v2, v4, v6
	v_sub_f32_e32 v5, v3, v2
	v_pk_add_f32 v[8:9], v[2:3], v[4:5] neg_lo:[0,1] neg_hi:[0,1]
	v_mov_b32_e32 v7, v2
	v_pk_add_f32 v[2:3], v[8:9], v[6:7] neg_lo:[0,1] neg_hi:[0,1]
	v_mov_b32_e32 v6, 0x3e91f4c4
	v_add_f32_e32 v2, v2, v3
	v_add_f32_e32 v2, v5, v2
	v_mul_f32_e32 v3, v10, v2
	v_add_f32_e32 v2, v1, v3
	v_sub_f32_e32 v1, v2, v1
	v_sub_f32_e32 v1, v3, v1
	v_mul_f32_e32 v3, v2, v2
	v_fma_f32 v5, v2, v2, -v3
	v_add_f32_e32 v4, v1, v1
	v_fmac_f32_e32 v5, v2, v4
	v_add_f32_e32 v4, v3, v5
	v_fmac_f32_e32 v6, 0x3e76c4e1, v4
	v_fmaak_f32 v6, v4, v6, 0x3ecccdef
	v_sub_f32_e32 v3, v4, v3
	v_sub_f32_e32 v12, v5, v3
	v_mul_f32_e32 v3, v4, v6
	v_fma_f32 v5, v4, v6, -v3
	v_fmac_f32_e32 v5, v12, v6
	v_add_f32_e32 v6, v3, v5
	v_add_f32_e32 v7, 0x3f2aaaaa, v6
	v_sub_f32_e32 v3, v6, v3
	v_sub_f32_e32 v3, v5, v3
	v_add_f32_e32 v5, 0xbf2aaaaa, v7
	v_add_f32_e32 v3, 0x31739010, v3
	v_sub_f32_e32 v5, v6, v5
	v_pk_mul_f32 v[8:9], v[2:3], v[4:5]
	v_pk_add_f32 v[10:11], v[2:3], v[4:5]
	v_fma_f32 v6, v4, v2, -v8
	v_fmac_f32_e32 v6, v4, v1
	v_mov_b32_e32 v9, v11
	v_fmac_f32_e32 v6, v12, v2
	v_pk_add_f32 v[4:5], v[8:9], v[6:7]
	v_ldexp_f32 v1, v1, 1
	v_sub_f32_e32 v3, v4, v8
	v_sub_f32_e32 v3, v6, v3
	;; [unrolled: 1-line block ×3, first 2 shown]
	v_add_f32_e32 v9, v11, v6
	v_mov_b32_e32 v6, v5
	v_pk_mul_f32 v[6:7], v[4:5], v[6:7]
	v_cvt_f64_f32_e32 v[10:11], v20
	v_frexp_exp_i32_f64_e32 v7, v[10:11]
	v_subbrev_co_u32_e64 v7, s[0:1], 0, v7, s[0:1]
	v_cvt_f32_i32_e32 v7, v7
	v_fma_f32 v8, v4, v5, -v6
	v_fmac_f32_e32 v8, v4, v9
	s_mov_b32 s0, 0x3f317218
	v_mul_f32_e32 v4, 0x3f317218, v7
	v_fmac_f32_e32 v8, v3, v5
	v_fma_f32 v3, v7, s0, -v4
	v_fmamk_f32 v10, v7, 0xb102e308, v3
	v_ldexp_f32 v11, v2, 1
	v_add_f32_e32 v5, v6, v8
	v_pk_add_f32 v[2:3], v[4:5], v[10:11]
	v_mov_b32_e32 v12, v5
	v_mov_b32_e32 v13, v3
	;; [unrolled: 1-line block ×3, first 2 shown]
	v_pk_add_f32 v[6:7], v[12:13], v[6:7] neg_lo:[0,1] neg_hi:[0,1]
	v_mov_b32_e32 v9, v5
	v_pk_add_f32 v[6:7], v[8:9], v[6:7] neg_lo:[0,1] neg_hi:[0,1]
	v_mov_b32_e32 v11, v2
	v_add_f32_e32 v1, v1, v6
	v_add_f32_e32 v5, v1, v7
	v_pk_add_f32 v[6:7], v[2:3], v[4:5] neg_lo:[0,1] neg_hi:[0,1]
	v_pk_add_f32 v[8:9], v[2:3], v[4:5]
	v_mov_b32_e32 v12, v6
	v_mov_b32_e32 v13, v9
	v_pk_add_f32 v[12:13], v[10:11], v[12:13]
	v_pk_add_f32 v[6:7], v[10:11], v[6:7] neg_lo:[0,1] neg_hi:[0,1]
	v_mov_b32_e32 v4, v13
	v_pk_add_f32 v[14:15], v[4:5], v[2:3] neg_lo:[0,1] neg_hi:[0,1]
	v_mov_b32_e32 v12, v9
	v_mov_b32_e32 v1, v14
	v_mov_b32_e32 v2, v3
	v_mov_b32_e32 v3, v14
	v_pk_add_f32 v[16:17], v[8:9], v[0:1] neg_lo:[0,1] neg_hi:[0,1]
	v_pk_add_f32 v[2:3], v[12:13], v[2:3] neg_lo:[0,1] neg_hi:[0,1]
	v_mov_b32_e32 v10, v5
	v_pk_add_f32 v[2:3], v[10:11], v[2:3] neg_lo:[0,1] neg_hi:[0,1]
	v_mov_b32_e32 v16, v6
	v_pk_add_f32 v[8:9], v[16:17], v[2:3]
	v_mov_b32_e32 v7, v13
	v_mov_b32_e32 v10, v9
	v_pk_add_f32 v[10:11], v[8:9], v[10:11]
	s_nop 0
	v_pk_add_f32 v[4:5], v[4:5], v[10:11]
	v_mov_b32_e32 v3, v10
	v_mov_b32_e32 v9, v4
	v_pk_add_f32 v[12:13], v[8:9], v[6:7] neg_lo:[0,1] neg_hi:[0,1]
	s_nop 0
	v_sub_f32_e32 v1, v8, v12
	v_pk_add_f32 v[2:3], v[2:3], v[12:13] neg_lo:[0,1] neg_hi:[0,1]
	v_sub_f32_e32 v1, v6, v1
	v_add_f32_e32 v1, v2, v1
	v_add_f32_e32 v1, v1, v3
	v_add_f32_e32 v2, v4, v1
	v_sub_f32_e32 v3, v2, v4
	v_sub_f32_e32 v1, v1, v3
	v_mul_f32_e32 v3, v19, v2
	v_fma_f32 v2, v19, v2, -v3
	v_fmac_f32_e32 v2, v19, v1
	v_add_f32_e32 v1, v3, v2
	v_cmp_class_f32_e64 s[0:1], v3, s4
	v_sub_f32_e32 v4, v1, v3
	v_sub_f32_e32 v2, v2, v4
	v_cndmask_b32_e64 v1, v1, v3, s[0:1]
	v_mov_b32_e32 v3, 0x37000000
	v_cmp_eq_f32_e64 s[0:1], s6, v1
	s_nop 1
	v_cndmask_b32_e64 v3, 0, v3, s[0:1]
	v_sub_f32_e32 v4, v1, v3
	s_mov_b32 s0, 0x3fb8aa3b
	v_mul_f32_e32 v5, 0x3fb8aa3b, v4
	v_fma_f32 v6, v4, s0, -v5
	v_rndne_f32_e32 v7, v5
	v_fmamk_f32 v6, v4, 0x32a5705f, v6
	v_sub_f32_e32 v5, v5, v7
	v_add_f32_e32 v5, v5, v6
	v_exp_f32_e32 v5, v5
	v_cvt_i32_f32_e32 v6, v7
	v_cmp_neq_f32_e64 s[0:1], |v1|, s5
	s_nop 1
	v_cndmask_b32_e64 v1, 0, v2, s[0:1]
	s_mov_b32 s0, 0xc2ce8ed0
	v_ldexp_f32 v2, v5, v6
	v_cmp_ngt_f32_e64 s[0:1], s0, v4
	v_add_f32_e32 v1, v3, v1
	v_mov_b32_e32 v3, 0x7f800000
	v_cndmask_b32_e64 v2, 0, v2, s[0:1]
	v_cmp_nlt_f32_e64 s[0:1], s6, v4
	v_trunc_f32_e32 v4, v19
	v_mov_b32_e32 v5, 0x7fc00000
	v_cndmask_b32_e64 v2, v3, v2, s[0:1]
	v_fma_f32 v1, v2, v1, v2
	v_cmp_class_f32_e64 s[0:1], v2, s4
	v_cmp_gt_f32_e64 s[6:7], 0, v19
	s_nop 0
	v_cndmask_b32_e64 v1, v1, v2, s[0:1]
	v_cndmask_b32_e64 v2, v18, 1.0, vcc
	v_cmp_eq_f32_e32 vcc, v4, v19
	v_mul_f32_e32 v4, 0.5, v19
	v_trunc_f32_e32 v6, v4
	v_cmp_neq_f32_e64 s[0:1], v6, v4
	s_and_b64 s[0:1], vcc, s[0:1]
	s_nop 0
	v_cndmask_b32_e64 v4, 1.0, v2, s[0:1]
	v_bfi_b32 v1, s15, v1, v4
	v_cndmask_b32_e32 v4, v5, v1, vcc
	v_cmp_gt_f32_e32 vcc, 0, v2
	s_nop 1
	v_cndmask_b32_e32 v1, v1, v4, vcc
	v_cmp_eq_f32_e32 vcc, s5, v20
	v_cmp_eq_f32_e64 s[4:5], 0, v2
	s_xor_b64 s[6:7], s[6:7], s[4:5]
	v_cndmask_b32_e64 v3, v3, 0, s[6:7]
	v_cndmask_b32_e64 v4, 0, v2, s[0:1]
	v_bfi_b32 v3, s15, v3, v4
	s_or_b64 vcc, vcc, s[4:5]
	v_cndmask_b32_e32 v1, v1, v3, vcc
	v_cmp_o_f32_e32 vcc, v2, v2
	s_nop 1
	v_cndmask_b32_e32 v30, v5, v1, vcc
.LBB14_258:
	s_mul_i32 s1, s11, s33
	v_readlane_b32 s0, v238, 23
	s_sub_i32 s1, s12, s1
	s_xor_b32 s0, s14, s0
	s_add_i32 s4, s11, 1
	s_sub_i32 s5, s1, s33
	s_cmp_ge_u32 s1, s33
	s_cselect_b32 s4, s4, s11
	s_cselect_b32 s1, s5, s1
	s_add_i32 s5, s4, 1
	s_cmp_ge_u32 s1, s33
	s_cselect_b32 s1, s5, s4
	s_xor_b32 s1, s1, s0
	s_sub_i32 s4, s1, s0
	s_cmp_eq_u64 s[66:67], 0
	v_mov_b32_e32 v12, s25
	s_cbranch_scc1 .LBB14_260
; %bb.259:
	v_readlane_b32 s0, v238, 0
	s_mul_i32 s0, s8, s0
	s_add_i32 s0, s4, s0
	s_ashr_i32 s1, s0, 31
	s_lshl_b64 s[0:1], s[0:1], 2
	s_add_u32 s0, s66, s0
	s_addc_u32 s1, s67, s1
	v_mov_b32_e32 v1, 0
	global_load_dword v1, v1, s[0:1]
	s_waitcnt vmcnt(0)
	v_ashrrev_i32_e32 v2, 31, v1
	v_lshrrev_b32_e32 v2, 26, v2
	v_add_u32_e32 v1, v1, v2
	v_ashrrev_i32_e32 v1, 6, v1
	v_min_i32_e32 v12, s25, v1
.LBB14_260:
	v_readlane_b32 s6, v238, 8
	v_readlane_b32 s7, v238, 9
	s_mul_i32 s0, s8, s7
	s_ashr_i32 s1, s0, 31
	s_add_u32 s0, s56, s0
	s_mul_i32 s13, s13, s6
	s_addc_u32 s1, s57, s1
	s_ashr_i32 s5, s13, 31
	v_and_b32_e32 v69, 0x3ff, v0
	s_add_u32 s0, s0, s13
	v_lshrrev_b32_e32 v68, 5, v69
	s_addc_u32 s1, s1, s5
	s_lshl_b32 s41, s4, 5
	v_add_u32_e32 v0, v68, v100
	v_add_u32_e32 v1, s41, v0
	v_and_b32_e32 v28, 31, v69
	v_cmp_le_i32_e32 vcc, s72, v1
	s_and_saveexec_b64 s[4:5], vcc
	s_xor_b64 s[4:5], exec, s[4:5]
	s_cbranch_execz .LBB14_262
; %bb.261:
	v_mad_u32_u24 v1, v0, 52, v28
	v_lshl_add_u32 v1, v1, 2, 0
	v_mov_b32_e32 v2, 0
	ds_write_b32 v1, v2
                                        ; implicit-def: $vgpr1
.LBB14_262:
	s_andn2_saveexec_b64 s[4:5], s[4:5]
	s_cbranch_execz .LBB14_264
; %bb.263:
	v_mad_u64_u32 v[2:3], s[6:7], v1, s46, v[28:29]
	v_ashrrev_i32_e32 v3, 31, v2
	v_lshl_add_u64 v[2:3], v[2:3], 3, s[0:1]
	global_load_dwordx2 v[2:3], v[2:3], off
	s_waitcnt vmcnt(0)
	v_cvt_f16_f32_e32 v1, v2
	v_cvt_f16_f32_e32 v2, v3
	v_mad_u32_u24 v3, v0, 52, v28
	v_pack_b32_f16 v1, v1, v2
	v_pk_mul_f16 v1, v31, v1
	v_lshl_add_u32 v2, v3, 2, 0
	ds_write_b32 v2, v1
.LBB14_264:
	s_or_b64 exec, exec, s[4:5]
	v_add_u32_e32 v1, 8, v0
	v_add_u32_e32 v2, s41, v1
	v_cmp_le_i32_e32 vcc, s72, v2
	s_and_saveexec_b64 s[4:5], vcc
	s_xor_b64 s[4:5], exec, s[4:5]
	s_cbranch_execz .LBB14_266
; %bb.265:
	v_mad_u32_u24 v1, v1, 52, v28
	v_lshl_add_u32 v1, v1, 2, 0
	v_mov_b32_e32 v2, 0
	ds_write_b32 v1, v2
                                        ; implicit-def: $vgpr2
                                        ; implicit-def: $vgpr1
.LBB14_266:
	s_andn2_saveexec_b64 s[4:5], s[4:5]
	s_cbranch_execz .LBB14_268
; %bb.267:
	v_mad_u64_u32 v[2:3], s[6:7], v2, s46, v[28:29]
	v_ashrrev_i32_e32 v3, 31, v2
	v_lshl_add_u64 v[2:3], v[2:3], 3, s[0:1]
	global_load_dwordx2 v[2:3], v[2:3], off
	v_mad_u32_u24 v1, v1, 52, v28
	v_lshl_add_u32 v1, v1, 2, 0
	s_waitcnt vmcnt(0)
	v_cvt_f16_f32_e32 v2, v2
	v_cvt_f16_f32_e32 v3, v3
	v_pack_b32_f16 v2, v2, v3
	v_pk_mul_f16 v2, v31, v2
	ds_write_b32 v1, v2
.LBB14_268:
	s_or_b64 exec, exec, s[4:5]
	v_add_u32_e32 v1, 16, v0
	v_add_u32_e32 v2, s41, v1
	v_cmp_le_i32_e32 vcc, s72, v2
	s_and_saveexec_b64 s[4:5], vcc
	s_xor_b64 s[4:5], exec, s[4:5]
	s_cbranch_execz .LBB14_270
; %bb.269:
	v_mad_u32_u24 v1, v1, 52, v28
	v_lshl_add_u32 v1, v1, 2, 0
	v_mov_b32_e32 v2, 0
	ds_write_b32 v1, v2
                                        ; implicit-def: $vgpr2
                                        ; implicit-def: $vgpr1
.LBB14_270:
	s_andn2_saveexec_b64 s[4:5], s[4:5]
	s_cbranch_execz .LBB14_272
; %bb.271:
	v_mad_u64_u32 v[2:3], s[6:7], v2, s46, v[28:29]
	v_ashrrev_i32_e32 v3, 31, v2
	v_lshl_add_u64 v[2:3], v[2:3], 3, s[0:1]
	global_load_dwordx2 v[2:3], v[2:3], off
	v_mad_u32_u24 v1, v1, 52, v28
	v_lshl_add_u32 v1, v1, 2, 0
	s_waitcnt vmcnt(0)
	v_cvt_f16_f32_e32 v2, v2
	v_cvt_f16_f32_e32 v3, v3
	v_pack_b32_f16 v2, v2, v3
	v_pk_mul_f16 v2, v31, v2
	ds_write_b32 v1, v2
.LBB14_272:
	s_or_b64 exec, exec, s[4:5]
	v_add_u32_e32 v0, 24, v0
	v_add_u32_e32 v1, s41, v0
	v_cmp_le_i32_e32 vcc, s72, v1
	s_and_saveexec_b64 s[4:5], vcc
	s_xor_b64 s[4:5], exec, s[4:5]
	s_cbranch_execz .LBB14_274
; %bb.273:
	v_mad_u32_u24 v0, v0, 52, v28
	v_lshl_add_u32 v0, v0, 2, 0
	v_mov_b32_e32 v1, 0
	ds_write_b32 v0, v1
                                        ; implicit-def: $vgpr1
                                        ; implicit-def: $vgpr0
.LBB14_274:
	s_andn2_saveexec_b64 s[4:5], s[4:5]
	s_cbranch_execz .LBB14_276
; %bb.275:
	v_mad_u64_u32 v[2:3], s[6:7], v1, s46, v[28:29]
	v_ashrrev_i32_e32 v3, 31, v2
	v_lshl_add_u64 v[2:3], v[2:3], 3, s[0:1]
	global_load_dwordx2 v[2:3], v[2:3], off
	v_mad_u32_u24 v0, v0, 52, v28
	v_lshl_add_u32 v0, v0, 2, 0
	s_waitcnt vmcnt(0)
	v_cvt_f16_f32_e32 v1, v2
	v_cvt_f16_f32_e32 v2, v3
	v_pack_b32_f16 v1, v1, v2
	v_pk_mul_f16 v1, v31, v1
	ds_write_b32 v0, v1
.LBB14_276:
	s_or_b64 exec, exec, s[4:5]
	v_lshrrev_b32_e32 v29, 4, v69
	v_lshl_add_u32 v0, v101, 2, v29
	v_add_u32_e32 v1, s41, v0
	v_and_b32_e32 v26, 15, v69
	v_cmp_le_i32_e32 vcc, s72, v1
	s_and_saveexec_b64 s[4:5], vcc
	s_xor_b64 s[4:5], exec, s[4:5]
	s_cbranch_execz .LBB14_278
; %bb.277:
	v_mad_u32_u24 v1, v0, 52, v26
	v_lshl_add_u32 v1, v1, 2, 0
	v_mov_b32_e32 v2, 0
	ds_write_b32 v1, v2 offset:128
                                        ; implicit-def: $vgpr1
.LBB14_278:
	s_andn2_saveexec_b64 s[4:5], s[4:5]
	s_cbranch_execz .LBB14_280
; %bb.279:
	v_mul_lo_u32 v2, v1, s46
	v_ashrrev_i32_e32 v3, 31, v2
	v_mov_b32_e32 v27, 0
	v_lshl_add_u64 v[2:3], v[2:3], 0, v[26:27]
	v_lshl_add_u64 v[2:3], v[2:3], 3, s[0:1]
	global_load_dwordx2 v[2:3], v[2:3], off offset:256
	s_waitcnt vmcnt(0)
	v_cvt_f16_f32_e32 v1, v2
	v_cvt_f16_f32_e32 v2, v3
	v_mad_u32_u24 v3, v0, 52, v26
	v_pack_b32_f16 v1, v1, v2
	v_pk_mul_f16 v1, v31, v1
	v_lshl_add_u32 v2, v3, 2, 0
	ds_write_b32 v2, v1 offset:128
.LBB14_280:
	s_or_b64 exec, exec, s[4:5]
	v_add_u32_e32 v0, 16, v0
	v_add_u32_e32 v1, s41, v0
	v_cmp_le_i32_e32 vcc, s72, v1
	s_and_saveexec_b64 s[4:5], vcc
	s_xor_b64 s[4:5], exec, s[4:5]
	s_cbranch_execz .LBB14_282
; %bb.281:
	v_mad_u32_u24 v0, v0, 52, v26
	v_lshl_add_u32 v0, v0, 2, 0
	v_mov_b32_e32 v1, 0
	ds_write_b32 v0, v1 offset:128
                                        ; implicit-def: $vgpr1
                                        ; implicit-def: $vgpr31
                                        ; implicit-def: $vgpr0
.LBB14_282:
	s_andn2_saveexec_b64 s[4:5], s[4:5]
	s_cbranch_execz .LBB14_284
; %bb.283:
	v_mul_lo_u32 v2, v1, s46
	v_ashrrev_i32_e32 v3, 31, v2
	v_mov_b32_e32 v27, 0
	v_lshl_add_u64 v[2:3], v[2:3], 0, v[26:27]
	v_lshl_add_u64 v[2:3], v[2:3], 3, s[0:1]
	global_load_dwordx2 v[2:3], v[2:3], off offset:256
	v_mad_u32_u24 v0, v0, 52, v26
	v_lshl_add_u32 v0, v0, 2, 0
	s_waitcnt vmcnt(0)
	v_cvt_f16_f32_e32 v1, v2
	v_cvt_f16_f32_e32 v2, v3
	v_pack_b32_f16 v1, v1, v2
	v_pk_mul_f16 v1, v31, v1
	ds_write_b32 v0, v1 offset:128
.LBB14_284:
	s_or_b64 exec, exec, s[4:5]
	v_readlane_b32 s4, v238, 13
	v_readlane_b32 s5, v238, 14
	s_mul_i32 s0, s8, s5
	s_mul_hi_u32 s1, s8, s4
	s_add_i32 s0, s1, s0
	s_mul_i32 s1, s10, s4
	s_add_i32 s0, s0, s1
	s_mul_i32 s1, s8, s4
	v_readlane_b32 s4, v238, 19
	v_readlane_b32 s5, v238, 20
	;; [unrolled: 1-line block ×3, first 2 shown]
	s_add_u32 s1, s60, s1
	s_mov_b64 s[12:13], s[4:5]
	s_mul_i32 s4, s9, s7
	v_lshrrev_b32_e32 v14, 3, v69
	s_addc_u32 s0, s61, s0
	s_ashr_i32 s5, s4, 31
	v_and_b32_e32 v13, 0x1ff0, v103
	s_movk_i32 s24, 0xd0
	v_and_b32_e32 v27, 0x7e, v14
	s_add_u32 s33, s1, s4
	v_mad_u32_u24 v0, v13, s24, 0
	v_mul_u32_u24_e32 v87, 0xd0, v26
	v_lshlrev_b32_e32 v88, 2, v27
	s_addc_u32 s40, s0, s5
	s_mul_i32 s0, s8, s13
	s_mul_hi_u32 s1, s8, s12
	v_add3_u32 v0, v0, v87, v88
	s_add_i32 s0, s1, s0
	s_mul_i32 s10, s10, s12
	v_readlane_b32 s4, v238, 17
	s_waitcnt lgkmcnt(0)
	s_barrier
	ds_read2_b64 v[8:11], v0 offset1:4
	ds_read2_b64 v[4:7], v0 offset0:8 offset1:12
	ds_read2_b64 v[0:3], v0 offset0:16 offset1:20
	s_add_i32 s0, s0, s10
	s_mul_i32 s8, s8, s12
	v_readlane_b32 s5, v238, 18
	s_add_u32 s1, s58, s8
	s_mul_i32 s9, s9, s5
	s_addc_u32 s0, s59, s0
	s_ashr_i32 s4, s9, 31
	v_add_u32_e32 v91, -1, v12
	s_add_u32 s43, s1, s9
	v_cmp_ge_i32_e32 vcc, s42, v91
	v_add_u32_e32 v89, v103, v14
	s_addc_u32 s44, s0, s4
	s_mov_b32 s45, 0
	s_and_b64 vcc, exec, vcc
	v_mov_b32_e32 v72, 0
	v_or_b32_e32 v86, v13, v26
	v_lshlrev_b32_e32 v34, 1, v69
	v_mbcnt_lo_u32_b32 v76, -1, 0
	v_lshrrev_b32_e32 v74, 2, v69
	v_lshlrev_b32_e32 v90, 2, v69
	v_mul_lo_u32 v32, s86, v89
	v_mul_lo_u32 v24, s74, v89
	v_and_b32_e32 v71, 8, v103
	v_lshlrev_b32_e32 v70, 1, v26
	v_readlane_b32 s6, v238, 21
	s_waitcnt lgkmcnt(0)
	s_barrier
	s_cbranch_vccnz .LBB14_297
; %bb.285:
	v_add_u32_e32 v13, s41, v101
	v_mul_hi_u32 v14, s88, v13
	v_add_u32_e32 v14, v13, v14
	v_lshrrev_b32_e32 v14, s89, v14
	v_mul_lo_u32 v14, v14, s72
	v_mov_b32_e32 v12, 0
	v_sub_u32_e32 v14, v13, v14
	v_mov_b32_e32 v35, v12
	v_mad_i64_i32 v[38:39], s[4:5], v14, s76, 0
	v_mul_u32_u24_e32 v14, 0x90, v101
	v_lshl_add_u64 v[36:37], s[2:3], 0, v[34:35]
	v_add3_u32 v35, 0, v14, v34
	v_add_u32_e32 v14, 4, v13
	v_mul_hi_u32 v15, s88, v14
	v_add_u32_e32 v15, v14, v15
	v_lshrrev_b32_e32 v15, s89, v15
	v_mul_lo_u32 v15, v15, s72
	v_sub_u32_e32 v14, v14, v15
	v_mad_i64_i32 v[40:41], s[4:5], v14, s76, 0
	v_add_u32_e32 v14, 8, v13
	v_mul_hi_u32 v15, s88, v14
	v_add_u32_e32 v15, v14, v15
	v_lshrrev_b32_e32 v15, s89, v15
	v_mul_lo_u32 v15, v15, s72
	v_sub_u32_e32 v14, v14, v15
	v_mad_i64_i32 v[42:43], s[4:5], v14, s76, 0
	;; [unrolled: 7-line block ×5, first 2 shown]
	v_add_u32_e32 v14, 24, v13
	v_mul_hi_u32 v15, s88, v14
	v_add_u32_e32 v15, v14, v15
	v_lshrrev_b32_e32 v15, s89, v15
	v_mul_lo_u32 v15, v15, s72
	v_sub_u32_e32 v14, v14, v15
	v_add_u32_e32 v13, 28, v13
	v_mad_i64_i32 v[50:51], s[4:5], v14, s76, 0
	v_mul_hi_u32 v14, s88, v13
	v_add_u32_e32 v14, v13, v14
	v_lshrrev_b32_e32 v14, s89, v14
	v_mul_lo_u32 v14, v14, s72
	v_sub_u32_e32 v13, v13, v14
	v_mad_i64_i32 v[52:53], s[4:5], v13, s76, 0
	v_mbcnt_hi_u32_b32 v13, -1, v76
	v_and_b32_e32 v14, 64, v13
	v_add_u32_e32 v14, 64, v14
	v_xor_b32_e32 v15, 32, v13
	v_cmp_lt_i32_e32 vcc, v15, v14
	s_movk_i32 s4, 0x80
	v_and_b32_e32 v19, 0xfc, v74
	v_cndmask_b32_e32 v15, v13, v15, vcc
	v_lshlrev_b32_e32 v99, 2, v15
	v_xor_b32_e32 v15, 16, v13
	v_cmp_lt_i32_e32 vcc, v15, v14
	v_and_b32_e32 v14, 12, v90
	v_lshlrev_b32_e32 v16, 2, v14
	v_cndmask_b32_e32 v13, v13, v15, vcc
	v_lshlrev_b32_e32 v105, 2, v13
	v_add_u32_e32 v13, v102, v74
	v_mad_u32_u24 v15, v13, s24, 0
	v_add3_u32 v106, v15, v16, s4
	v_and_b32_e32 v16, 28, v90
	v_mul_u32_u24_e32 v15, 0xd0, v89
	v_lshlrev_b32_e32 v17, 2, v16
	v_add3_u32 v107, 0, v15, v17
	v_and_b32_e32 v15, 16, v102
	s_movk_i32 s8, 0x90
	v_mul_u32_u24_e32 v18, 0xd0, v15
	v_add_u32_e32 v20, v15, v19
	v_add_u16_e32 v15, v15, v19
	v_mad_u32_u24 v21, v86, s8, 0
	v_lshrrev_b16_e32 v15, 1, v15
	v_cmp_gt_u32_e64 s[26:27], 64, v13
	v_mul_lo_u32 v54, s86, v13
	v_lshl_add_u32 v15, v15, 2, v21
	v_lshl_add_u32 v21, v20, 1, v21
	v_mul_lo_u32 v58, s74, v13
	v_mul_u32_u24_e32 v13, 0x68, v19
	s_movk_i32 s34, 0x1a0
	v_add_u32_e32 v109, 64, v21
	v_add_u32_e32 v110, 0x44, v21
	v_cmp_gt_u32_e64 s[8:9], 64, v20
	v_cmp_gt_u32_e64 s[10:11], 63, v20
	;; [unrolled: 1-line block ×8, first 2 shown]
	v_or_b32_e32 v13, v13, v26
	v_mul_u32_u24_e32 v20, 0xd0, v19
	v_or_b32_e32 v21, 3, v74
	v_mul_u32_u24_e32 v22, 0x1a0, v71
	v_mad_u32_u24 v23, v71, s34, 0
	s_cmp_lg_u64 s[2:3], 0
	v_mul_u32_u24_e32 v21, 0xd0, v21
	v_lshlrev_b32_e32 v13, 1, v13
	v_add3_u32 v112, v23, v20, v70
	v_add3_u32 v20, 0, 32, v22
	s_cselect_b64 s[28:29], -1, 0
	v_add_u32_e32 v111, v23, v13
	v_add3_u32 v113, v23, v21, v70
	v_add_u32_e32 v116, v20, v13
	v_mad_u32_u24 v23, v19, s24, v20
	v_add3_u32 v118, v20, v21, v70
	v_add3_u32 v20, 0, 64, v22
	s_add_i32 s35, 0, 0x60
	v_add_u32_e32 v120, v20, v13
	v_mad_u32_u24 v22, v19, s24, v20
	v_add3_u32 v122, v20, v21, v70
	v_mov_b32_e32 v20, s35
	s_movk_i32 s25, 0x1a00
	v_mad_u32_u24 v20, v71, s34, v20
	s_add_i32 s35, 0, 0x80
	v_add3_u32 v121, v22, v70, s25
	v_add_u32_e32 v124, v20, v13
	v_mad_u32_u24 v22, v19, s24, v20
	v_add3_u32 v126, v20, v21, v70
	v_mov_b32_e32 v20, s35
	v_mad_u32_u24 v20, v71, s34, v20
	s_add_i32 s35, 0, 0xa0
	v_add3_u32 v125, v22, v70, s25
	v_add_u32_e32 v128, v20, v13
	v_mad_u32_u24 v22, v19, s24, v20
	v_add3_u32 v130, v20, v21, v70
	v_mov_b32_e32 v20, s35
	v_mad_u32_u24 v20, v71, s34, v20
	s_mov_b64 s[30:31], src_private_base
	v_lshl_add_u32 v56, s86, 5, v32
	v_add3_u32 v17, 0, v87, v88
	v_lshl_add_u32 v60, s74, 5, v24
	v_add_u32_e32 v132, v20, v13
	v_mad_u32_u24 v13, v19, s24, v20
	v_cmp_lt_u32_e64 s[0:1], 63, v69
	v_add_u32_e32 v92, 0x240, v35
	v_add_u32_e32 v93, 0x480, v35
	;; [unrolled: 1-line block ×7, first 2 shown]
	s_mov_b32 s30, 0
	v_ashrrev_i32_e32 v55, 31, v54
	v_cmp_gt_u32_e64 s[4:5], 64, v89
	v_ashrrev_i32_e32 v33, 31, v32
	v_add_u32_e32 v108, 0x1a00, v107
	v_cmp_gt_u32_e64 s[6:7], 32, v89
	v_ashrrev_i32_e32 v57, 31, v56
	v_ashrrev_i32_e32 v59, 31, v58
	;; [unrolled: 1-line block ×4, first 2 shown]
	v_add_u32_e32 v114, 0x1a00, v112
	v_add_u32_e32 v115, 32, v112
	v_add3_u32 v117, v23, v70, s25
	v_add_u32_e32 v119, 64, v112
	v_add_u32_e32 v123, 0x60, v112
	;; [unrolled: 1-line block ×3, first 2 shown]
	v_add3_u32 v129, v22, v70, s25
	v_add_u32_e32 v131, 0xa0, v112
	v_add3_u32 v133, v13, v70, s25
	v_add3_u32 v134, v20, v21, v70
	v_mov_b32_e32 v62, v30
	v_mov_b32_e32 v63, v30
	s_lshl_b32 s34, s42, 6
	v_mov_b32_e32 v139, 0xfeffffff
	v_lshlrev_b32_e32 v64, 2, v14
	s_mov_b64 s[36:37], 0x80
	v_lshlrev_b32_e32 v66, 2, v16
	v_add_u32_e32 v135, v17, v18
	v_add_u32_e32 v136, 0x3400, v15
	s_mov_b32 s46, 0x3fb8aa3b
	s_mov_b32 s47, 0xc2ce8ed0
	;; [unrolled: 1-line block ×5, first 2 shown]
	v_mov_b32_e32 v137, 0x7f800000
	v_mov_b32_e32 v138, 0
	;; [unrolled: 1-line block ×14, first 2 shown]
.LBB14_286:                             ; =>This Inner Loop Header: Depth=1
	v_cndmask_b32_e64 v13, 0, 1, s[28:29]
	v_cmp_ne_u32_e64 s[24:25], 1, v13
	s_andn2_b64 vcc, exec, s[28:29]
	s_ashr_i32 s35, s34, 31
	s_cbranch_vccnz .LBB14_292
; %bb.287:                              ;   in Loop: Header=BB14_286 Depth=1
                                        ; implicit-def: $sgpr51
	s_and_saveexec_b64 s[38:39], s[0:1]
	s_xor_b64 s[38:39], exec, s[38:39]
	s_cbranch_execz .LBB14_289
; %bb.288:                              ;   in Loop: Header=BB14_286 Depth=1
	ds_write_b16 v35, v12 offset:13312
	ds_write_b16 v92, v12 offset:13312
	;; [unrolled: 1-line block ×4, first 2 shown]
	s_mov_b32 s51, 0
.LBB14_289:                             ;   in Loop: Header=BB14_286 Depth=1
	s_or_saveexec_b64 s[38:39], s[38:39]
	v_mov_b32_e32 v13, s51
	v_mov_b32_e32 v14, s51
	;; [unrolled: 1-line block ×4, first 2 shown]
	s_xor_b64 exec, exec, s[38:39]
	s_cbranch_execz .LBB14_291
; %bb.290:                              ;   in Loop: Header=BB14_286 Depth=1
	v_lshl_add_u64 v[14:15], s[34:35], 1, v[36:37]
	v_lshl_add_u64 v[16:17], v[38:39], 1, v[14:15]
	;; [unrolled: 1-line block ×5, first 2 shown]
	flat_load_ushort v13, v[16:17]
	flat_load_ushort v31, v[18:19]
	;; [unrolled: 1-line block ×4, first 2 shown]
	v_lshl_add_u64 v[16:17], v[46:47], 1, v[14:15]
	v_lshl_add_u64 v[18:19], v[48:49], 1, v[14:15]
	;; [unrolled: 1-line block ×4, first 2 shown]
	s_waitcnt vmcnt(0) lgkmcnt(0)
	ds_write_b16 v35, v13 offset:13312
	ds_write_b16 v92, v31 offset:13312
	;; [unrolled: 1-line block ×4, first 2 shown]
	flat_load_ushort v13, v[16:17]
	flat_load_ushort v14, v[18:19]
	;; [unrolled: 1-line block ×3, first 2 shown]
	s_nop 0
	flat_load_ushort v16, v[22:23]
.LBB14_291:                             ;   in Loop: Header=BB14_286 Depth=1
	s_or_b64 exec, exec, s[38:39]
	s_waitcnt vmcnt(0) lgkmcnt(0)
	ds_write_b16 v95, v13 offset:13312
	ds_write_b16 v96, v14 offset:13312
	;; [unrolled: 1-line block ×4, first 2 shown]
.LBB14_292:                             ;   in Loop: Header=BB14_286 Depth=1
	s_mul_hi_i32 s39, s34, s86
	s_mul_i32 s38, s34, s86
	s_lshl_b64 s[38:39], s[38:39], 2
	s_add_u32 s38, s43, s38
	s_addc_u32 s39, s44, s39
	v_lshl_add_u64 v[16:17], v[54:55], 2, s[38:39]
	v_mov_b32_e32 v65, v12
	v_lshl_add_u64 v[16:17], v[16:17], 0, v[64:65]
	v_mov_b32_e32 v13, v12
	v_mov_b32_e32 v14, v12
	v_mov_b32_e32 v15, v12
	v_lshl_add_u64 v[16:17], v[16:17], 0, s[36:37]
	v_mov_b32_e32 v22, s31
	v_mov_b32_e32 v23, s30
	scratch_store_dwordx4 off, v[12:15], off
	v_cndmask_b32_e64 v17, v22, v17, s[26:27]
	v_cndmask_b32_e64 v16, v23, v16, s[26:27]
	flat_load_dwordx4 v[16:19], v[16:17]
	v_mov_b32_e32 v67, v12
	v_lshl_add_u64 v[20:21], v[32:33], 2, s[38:39]
	v_lshl_add_u64 v[20:21], v[20:21], 0, v[66:67]
	v_cndmask_b32_e64 v21, v22, v21, s[4:5]
	v_cndmask_b32_e64 v20, v23, v20, s[4:5]
	v_add_u32_e32 v31, 0x1800, v135
	s_and_b64 vcc, exec, s[24:25]
	s_waitcnt vmcnt(0) lgkmcnt(0)
	ds_write_b128 v106, v[16:19]
	flat_load_dwordx4 v[16:19], v[20:21]
	v_lshl_add_u64 v[20:21], v[56:57], 2, s[38:39]
	v_lshl_add_u64 v[20:21], v[20:21], 0, v[66:67]
	v_cndmask_b32_e64 v21, v22, v21, s[6:7]
	v_cndmask_b32_e64 v20, v23, v20, s[6:7]
	s_waitcnt vmcnt(0) lgkmcnt(0)
	ds_write_b128 v107, v[16:19]
	flat_load_dwordx4 v[16:19], v[20:21]
	s_waitcnt vmcnt(0) lgkmcnt(0)
	ds_write_b128 v108, v[16:19]
	s_waitcnt lgkmcnt(0)
	s_barrier
	ds_read2_b64 v[16:19], v135 offset1:4
	ds_read2_b64 v[140:143], v31 offset0:64 offset1:68
	s_waitcnt lgkmcnt(1)
	v_mfma_f32_16x16x16_f16 v[20:23], v[16:17], v[8:9], 0
	s_waitcnt lgkmcnt(0)
	v_mfma_f32_16x16x16_f16 v[144:147], v[140:141], v[8:9], 0
	v_mfma_f32_16x16x16_f16 v[16:19], v[18:19], v[10:11], v[20:23]
	;; [unrolled: 1-line block ×3, first 2 shown]
	ds_read2_b64 v[140:143], v135 offset0:8 offset1:12
	s_nop 3
	ds_read2_b64 v[144:147], v31 offset0:72 offset1:76
	s_waitcnt lgkmcnt(1)
	v_mfma_f32_16x16x16_f16 v[16:19], v[140:141], v[4:5], v[16:19]
	s_waitcnt lgkmcnt(0)
	v_mfma_f32_16x16x16_f16 v[20:23], v[144:145], v[4:5], v[20:23]
	v_mfma_f32_16x16x16_f16 v[16:19], v[142:143], v[6:7], v[16:19]
	ds_read2_b64 v[140:143], v135 offset0:16 offset1:20
	v_mfma_f32_16x16x16_f16 v[20:23], v[146:147], v[6:7], v[20:23]
	ds_read2_b64 v[144:147], v31 offset0:80 offset1:84
	s_waitcnt lgkmcnt(0)
	s_barrier
	v_mfma_f32_16x16x16_f16 v[16:19], v[140:141], v[0:1], v[16:19]
	v_mfma_f32_16x16x16_f16 v[148:151], v[144:145], v[0:1], v[20:23]
	;; [unrolled: 1-line block ×4, first 2 shown]
	s_cbranch_vccnz .LBB14_294
; %bb.293:                              ;   in Loop: Header=BB14_286 Depth=1
	ds_read2_b32 v[140:141], v136 offset1:1
	ds_read_b32 v144, v109 offset:13312
	ds_read_b32 v146, v110 offset:13312
	v_mov_b32_e32 v31, v30
	s_waitcnt lgkmcnt(2)
	v_cvt_f32_f16_e32 v142, v140
	v_cvt_f32_f16_sdwa v143, v140 dst_sel:DWORD dst_unused:UNUSED_PAD src0_sel:WORD_1
	v_cvt_f32_f16_e32 v140, v141
	v_cvt_f32_f16_sdwa v141, v141 dst_sel:DWORD dst_unused:UNUSED_PAD src0_sel:WORD_1
	s_waitcnt lgkmcnt(1)
	v_cvt_f32_f16_sdwa v145, v144 dst_sel:DWORD dst_unused:UNUSED_PAD src0_sel:WORD_1
	s_waitcnt lgkmcnt(0)
	v_cvt_f32_f16_sdwa v147, v146 dst_sel:DWORD dst_unused:UNUSED_PAD src0_sel:WORD_1
	v_cvt_f32_f16_e32 v146, v146
	v_cvt_f32_f16_e32 v144, v144
	v_pk_fma_f32 v[22:23], v[30:31], v[140:141], v[22:23]
	v_pk_fma_f32 v[20:21], v[62:63], v[142:143], v[20:21]
	;; [unrolled: 1-line block ×4, first 2 shown]
.LBB14_294:                             ;   in Loop: Header=BB14_286 Depth=1
	s_mul_hi_i32 s25, s34, s74
	s_mul_i32 s24, s34, s74
	s_lshl_b64 s[24:25], s[24:25], 2
	s_add_u32 s24, s33, s24
	s_addc_u32 s25, s40, s25
	scratch_store_dwordx4 off, v[12:15], off
	v_mov_b32_e32 v31, s31
	v_add_f32_e32 v145, 0x40051340, v20
	v_lshl_add_u64 v[14:15], v[58:59], 2, s[24:25]
	v_lshl_add_u64 v[14:15], v[14:15], 0, v[64:65]
	v_lshl_add_u64 v[14:15], v[14:15], 0, s[36:37]
	v_mov_b32_e32 v65, s30
	v_cndmask_b32_e64 v15, v31, v15, s[26:27]
	v_cndmask_b32_e64 v14, v65, v14, s[26:27]
	flat_load_dwordx4 v[140:143], v[14:15]
	v_max_f32_e32 v146, v139, v139
	v_add_f32_e32 v148, 0x40051340, v22
	v_cndmask_b32_e64 v155, v22, v22, s[10:11]
	v_max_f32_e32 v22, v146, v145
	v_cndmask_b32_e64 v145, v139, v22, s[8:9]
	v_add_f32_e32 v147, 0x40051340, v21
	v_max_f32_e32 v22, v145, v145
	v_max_f32_e32 v146, v22, v147
	v_cndmask_b32_e64 v145, v145, v146, s[10:11]
	v_max_f32_e32 v146, v145, v145
	v_max_f32_e32 v146, v146, v148
	v_cndmask_b32_e64 v145, v145, v146, s[12:13]
	v_add_f32_e32 v149, 0x40051340, v23
	v_max_f32_e32 v146, v145, v145
	v_max_f32_e32 v146, v146, v149
	v_cndmask_b32_e64 v145, v145, v146, s[14:15]
	v_add_f32_e32 v150, 0x40051340, v16
	v_max_f32_e32 v146, v145, v145
	v_max_f32_e32 v146, v146, v150
	v_cndmask_b32_e64 v145, v145, v146, s[16:17]
	v_add_f32_e32 v151, 0x40051340, v17
	v_max_f32_e32 v146, v145, v145
	v_max_f32_e32 v146, v146, v151
	v_cndmask_b32_e64 v145, v145, v146, s[18:19]
	v_add_f32_e32 v152, 0x40051340, v18
	v_max_f32_e32 v146, v145, v145
	v_max_f32_e32 v146, v146, v152
	v_cndmask_b32_e64 v145, v145, v146, s[20:21]
	v_add_f32_e32 v153, 0x40051340, v19
	v_max_f32_e32 v146, v145, v145
	v_max_f32_e32 v146, v146, v153
	v_cndmask_b32_e64 v145, v145, v146, s[22:23]
	ds_bpermute_b32 v148, v99, v145
	v_cndmask_b32_e64 v154, v23, v23, s[10:11]
	v_lshl_add_u64 v[22:23], v[24:25], 2, s[24:25]
	v_lshl_add_u64 v[146:147], v[60:61], 2, s[24:25]
	;; [unrolled: 1-line block ×4, first 2 shown]
	v_max_f32_e32 v67, v145, v145
	s_waitcnt lgkmcnt(0)
	v_max_f32_e32 v145, v148, v148
	v_cndmask_b32_e64 v149, v31, v23, s[4:5]
	v_cndmask_b32_e64 v148, v65, v22, s[4:5]
	;; [unrolled: 1-line block ×4, first 2 shown]
	v_max_f32_e32 v67, v67, v145
	ds_bpermute_b32 v145, v105, v67
	v_cndmask_b32_e64 v157, v18, v18, s[16:17]
	v_cndmask_b32_e64 v158, v17, v17, s[16:17]
	;; [unrolled: 1-line block ×3, first 2 shown]
	v_mov_b32_e32 v13, s45
	s_waitcnt lgkmcnt(0)
	v_max_f32_e32 v22, v145, v145
	v_max_f32_e32 v22, v67, v22
	v_sub_f32_e32 v20, v20, v22
	v_sub_f32_e32 v21, v21, v22
	v_mul_f32_e32 v150, 0x3fb8aa3b, v20
	v_sub_f32_e32 v23, v155, v22
	v_sub_f32_e32 v65, v158, v22
	;; [unrolled: 1-line block ×3, first 2 shown]
	v_fma_f32 v157, v20, s46, -v150
	v_rndne_f32_e32 v158, v150
	v_sub_f32_e32 v31, v154, v22
	v_fmac_f32_e32 v157, 0x32a5705f, v20
	v_sub_f32_e32 v150, v150, v158
	v_sub_f32_e32 v16, v16, v22
	v_mul_f32_e32 v151, 0x3fb8aa3b, v31
	v_add_f32_e32 v150, v150, v157
	v_mul_f32_e32 v152, 0x3fb8aa3b, v16
	v_fma_f32 v163, v31, s46, -v151
	v_rndne_f32_e32 v164, v151
	v_cvt_i32_f32_e32 v158, v158
	v_exp_f32_e32 v150, v150
	v_mul_f32_e32 v153, 0x3fb8aa3b, v65
	v_fma_f32 v165, v16, s46, -v152
	v_rndne_f32_e32 v166, v152
	v_fmac_f32_e32 v163, 0x32a5705f, v31
	v_sub_f32_e32 v151, v151, v164
	v_sub_f32_e32 v145, v156, v22
	v_mul_f32_e32 v154, 0x3fb8aa3b, v67
	v_fma_f32 v167, v65, s46, -v153
	s_waitcnt vmcnt(0)
	ds_write_b128 v106, v[140:143]
	flat_load_dwordx4 v[140:143], v[148:149]
	v_mul_f32_e32 v148, 0x3fb8aa3b, v21
	v_mul_f32_e32 v149, 0x3fb8aa3b, v23
	v_fma_f32 v159, v21, s46, -v148
	v_rndne_f32_e32 v160, v148
	v_fma_f32 v161, v23, s46, -v149
	v_rndne_f32_e32 v162, v149
	v_fmac_f32_e32 v159, 0x32a5705f, v21
	v_sub_f32_e32 v148, v148, v160
	v_fmac_f32_e32 v161, 0x32a5705f, v23
	v_sub_f32_e32 v149, v149, v162
	v_add_f32_e32 v148, v148, v159
	v_cvt_i32_f32_e32 v160, v160
	v_add_f32_e32 v149, v149, v161
	v_exp_f32_e32 v148, v148
	v_rndne_f32_e32 v168, v153
	v_cvt_i32_f32_e32 v162, v162
	v_fmac_f32_e32 v165, 0x32a5705f, v16
	v_sub_f32_e32 v152, v152, v166
	v_add_f32_e32 v151, v151, v163
	v_exp_f32_e32 v149, v149
	v_sub_f32_e32 v139, v139, v22
	v_mul_f32_e32 v155, 0x3fb8aa3b, v145
	v_fma_f32 v169, v67, s46, -v154
	v_rndne_f32_e32 v170, v154
	v_cvt_i32_f32_e32 v164, v164
	v_fmac_f32_e32 v167, 0x32a5705f, v65
	v_sub_f32_e32 v153, v153, v168
	v_add_f32_e32 v152, v152, v165
	v_exp_f32_e32 v151, v151
	v_mul_f32_e32 v156, 0x3fb8aa3b, v139
	v_fma_f32 v171, v145, s46, -v155
	v_rndne_f32_e32 v172, v155
	v_cvt_i32_f32_e32 v166, v166
	v_fmac_f32_e32 v169, 0x32a5705f, v67
	v_sub_f32_e32 v154, v154, v170
	v_add_f32_e32 v153, v153, v167
	v_exp_f32_e32 v152, v152
	v_ldexp_f32 v150, v150, v158
	v_cmp_ngt_f32_e32 vcc, s47, v20
	v_fma_f32 v173, v139, s46, -v156
	v_rndne_f32_e32 v174, v156
	v_cvt_i32_f32_e32 v168, v168
	v_fmac_f32_e32 v171, 0x32a5705f, v145
	v_sub_f32_e32 v155, v155, v172
	v_add_f32_e32 v154, v154, v169
	v_exp_f32_e32 v153, v153
	v_ldexp_f32 v148, v148, v160
	v_cvt_i32_f32_e32 v170, v170
	v_fmac_f32_e32 v173, 0x32a5705f, v139
	v_sub_f32_e32 v156, v156, v174
	v_add_f32_e32 v155, v155, v171
	v_exp_f32_e32 v154, v154
	v_ldexp_f32 v149, v149, v162
	v_cvt_i32_f32_e32 v172, v172
	v_add_f32_e32 v156, v156, v173
	v_exp_f32_e32 v155, v155
	v_ldexp_f32 v151, v151, v164
	v_cvt_i32_f32_e32 v174, v174
	v_exp_f32_e32 v156, v156
	v_ldexp_f32 v152, v152, v166
	v_ldexp_f32 v153, v153, v168
	;; [unrolled: 1-line block ×4, first 2 shown]
	v_mov_b32_e32 v14, s45
	v_mov_b32_e32 v18, s45
	;; [unrolled: 1-line block ×6, first 2 shown]
	s_add_i32 s42, s42, 1
	s_add_i32 s34, s34, 64
	s_waitcnt vmcnt(0) lgkmcnt(0)
	ds_write_b128 v107, v[140:143]
	flat_load_dwordx4 v[140:143], v[146:147]
	v_cndmask_b32_e32 v147, 0, v150, vcc
	v_cmp_ngt_f32_e32 vcc, s47, v21
	v_ldexp_f32 v146, v156, v174
	s_waitcnt vmcnt(0) lgkmcnt(0)
	ds_write_b128 v108, v[140:143]
	v_cndmask_b32_e32 v148, 0, v148, vcc
	v_cmp_ngt_f32_e32 vcc, s47, v23
	s_waitcnt lgkmcnt(0)
	s_barrier
	v_cndmask_b32_e32 v149, 0, v149, vcc
	v_cmp_ngt_f32_e32 vcc, s47, v31
	s_nop 1
	v_cndmask_b32_e32 v150, 0, v151, vcc
	v_cmp_ngt_f32_e32 vcc, s47, v16
	s_nop 1
	;; [unrolled: 3-line block ×6, first 2 shown]
	v_cndmask_b32_e32 v146, 0, v146, vcc
	v_cmp_nlt_f32_e32 vcc, s48, v20
	s_nop 1
	v_cndmask_b32_e32 v20, v137, v147, vcc
	v_cmp_nlt_f32_e32 vcc, s48, v21
	s_nop 1
	v_cndmask_b32_e32 v21, v137, v148, vcc
	v_cmp_nlt_f32_e32 vcc, s48, v23
	v_cndmask_b32_e64 v13, v13, v21, s[10:11]
	v_cvt_f16_f32_e32 v13, v13
	v_cndmask_b32_e32 v23, v137, v149, vcc
	v_cmp_nlt_f32_e32 vcc, s48, v31
	v_cndmask_b32_e64 v14, v14, v23, s[12:13]
	s_nop 0
	v_cndmask_b32_e32 v31, v137, v150, vcc
	v_cmp_nlt_f32_e32 vcc, s48, v16
	v_cndmask_b32_e64 v16, 0, v20, s[8:9]
	v_cndmask_b32_e64 v15, v15, v31, s[14:15]
	v_cndmask_b32_e32 v147, v137, v151, vcc
	v_cmp_nlt_f32_e32 vcc, s48, v65
	v_cndmask_b32_e64 v20, v144, v147, s[16:17]
	v_cvt_f16_f32_e32 v15, v15
	v_cndmask_b32_e32 v65, v137, v152, vcc
	v_cmp_nlt_f32_e32 vcc, s48, v67
	v_cndmask_b32_e64 v144, v17, v65, s[18:19]
	s_nop 0
	v_cndmask_b32_e32 v67, v137, v153, vcc
	v_cmp_nlt_f32_e32 vcc, s48, v145
	v_cndmask_b32_e64 v148, v18, v67, s[20:21]
	v_add_f32_e32 v18, v21, v16
	v_cndmask_b32_e32 v145, v137, v154, vcc
	v_cndmask_b32_e64 v149, v19, v145, s[22:23]
	v_cvt_f16_f32_e32 v19, v16
	v_cvt_f16_f32_e32 v21, v14
	v_cndmask_b32_e64 v14, v16, v18, s[10:11]
	v_add_f32_e32 v16, v14, v23
	v_cndmask_b32_e64 v16, v14, v16, s[12:13]
	v_add_f32_e32 v18, v16, v31
	v_pack_b32_f16 v14, v19, v13
	v_cndmask_b32_e64 v13, v16, v18, s[14:15]
	v_add_f32_e32 v16, v147, v13
	v_cndmask_b32_e64 v13, v13, v16, s[16:17]
	v_add_f32_e32 v16, v65, v13
	v_cmp_nlt_f32_e32 vcc, s48, v139
	v_cndmask_b32_e64 v13, v13, v16, s[18:19]
	v_add_f32_e32 v16, v67, v13
	v_cndmask_b32_e32 v146, v137, v146, vcc
	v_cmp_le_f32_e32 vcc, s49, v139
	v_cndmask_b32_e64 v13, v13, v16, s[20:21]
	v_add_f32_e32 v16, v145, v13
	v_cndmask_b32_e32 v17, 0, v146, vcc
	v_cvt_f16_f32_e32 v139, v17
	v_cndmask_b32_e64 v31, v13, v16, s[22:23]
	ds_read_u16 v13, v112 offset:208
	v_cvt_f16_f32_e32 v146, v20
	v_pk_mul_f16 v20, v139, v84 op_sel_hi:[0,1]
	v_pk_mul_f16 v23, v139, v83 op_sel_hi:[0,1]
	v_pk_mul_f16 v83, v139, v85 op_sel_hi:[0,1]
	v_pk_mul_f16 v85, v139, v78 op_sel_hi:[0,1]
	v_fmac_f32_e32 v31, v138, v17
	v_cvt_f32_f16_e32 v16, v20
	v_cvt_f32_f16_sdwa v17, v20 dst_sel:DWORD dst_unused:UNUSED_PAD src0_sel:WORD_1
	ds_read_u16 v19, v112 offset:416
	ds_read_u16 v20, v113
	ds_read_u16 v65, v113 offset:32
	ds_read_u16 v67, v113 offset:64
	;; [unrolled: 1-line block ×6, first 2 shown]
	v_pk_mul_f16 v84, v139, v79 op_sel_hi:[0,1]
	v_pk_mul_f16 v150, v139, v81 op_sel_hi:[0,1]
	v_pack_b32_f16 v15, v21, v15
	s_waitcnt lgkmcnt(6)
	v_perm_b32 v21, v20, v19, s50
	ds_read_u16 v19, v111
	ds_read_u16 v81, v111 offset:32
	ds_read_u16 v140, v111 offset:64
	;; [unrolled: 1-line block ×6, first 2 shown]
	s_waitcnt lgkmcnt(6)
	v_perm_b32 v20, v13, v19, s50
	v_cvt_f32_f16_e32 v18, v23
	v_cvt_f32_f16_sdwa v19, v23 dst_sel:DWORD dst_unused:UNUSED_PAD src0_sel:WORD_1
	v_pk_mul_f16 v151, v139, v80 op_sel_hi:[0,1]
	v_cvt_f16_f32_e32 v13, v144
	v_mfma_f32_16x16x16_f16 v[16:19], v[20:21], v[14:15], v[16:19]
	v_cvt_f16_f32_e32 v23, v148
	v_cvt_f16_f32_e32 v80, v149
	ds_read_u16 v20, v114 offset:208
	ds_read_u16 v21, v114 offset:416
	;; [unrolled: 1-line block ×8, first 2 shown]
	v_cvt_f16_f32_e32 v16, v16
	v_cvt_f16_f32_e32 v17, v17
	;; [unrolled: 1-line block ×4, first 2 shown]
	s_waitcnt lgkmcnt(6)
	v_perm_b32 v21, v78, v21, s50
	v_perm_b32 v20, v20, v79, s50
	v_cvt_f32_f16_e32 v16, v16
	v_cvt_f32_f16_e32 v17, v17
	;; [unrolled: 1-line block ×4, first 2 shown]
	v_pack_b32_f16 v142, v146, v13
	v_pack_b32_f16 v143, v23, v80
	v_pk_mul_f16 v77, v139, v77 op_sel_hi:[0,1]
	v_cvt_f32_f16_e32 v78, v83
	v_mfma_f32_16x16x16_f16 v[16:19], v[20:21], v[142:143], v[16:19]
	s_waitcnt lgkmcnt(4)
	v_perm_b32 v21, v65, v148, s50
	v_perm_b32 v20, v144, v81, s50
	v_cvt_f32_f16_sdwa v79, v83 dst_sel:DWORD dst_unused:UNUSED_PAD src0_sel:WORD_1
	v_cvt_f32_f16_e32 v80, v77
	v_cvt_f32_f16_sdwa v81, v77 dst_sel:DWORD dst_unused:UNUSED_PAD src0_sel:WORD_1
	v_pk_mul_f16 v23, v139, v72 op_sel_hi:[0,1]
	v_cvt_f16_f32_e32 v65, v16
	v_mfma_f32_16x16x16_f16 v[78:81], v[20:21], v[14:15], v[78:81]
	v_pk_mul_f16 v82, v139, v82 op_sel_hi:[0,1]
	v_pk_mul_f16 v75, v139, v75 op_sel_hi:[0,1]
	;; [unrolled: 1-line block ×3, first 2 shown]
	v_cvt_f16_f32_e32 v73, v18
	s_nop 2
	v_cvt_f16_f32_e32 v20, v79
	v_cvt_f16_f32_e32 v21, v80
	;; [unrolled: 1-line block ×4, first 2 shown]
	v_cvt_f32_f16_e32 v79, v20
	v_cvt_f32_f16_e32 v80, v21
	s_waitcnt lgkmcnt(0)
	v_perm_b32 v21, v156, v155, s50
	v_perm_b32 v20, v154, v149, s50
	v_cvt_f32_f16_e32 v78, v16
	v_cvt_f32_f16_e32 v81, v72
	v_cvt_f16_f32_e32 v72, v17
	v_cvt_f16_f32_e32 v77, v19
	v_mfma_f32_16x16x16_f16 v[16:19], v[20:21], v[142:143], v[78:81]
	ds_read_u16 v20, v119 offset:208
	ds_read_u16 v21, v119 offset:416
	;; [unrolled: 1-line block ×8, first 2 shown]
	s_waitcnt lgkmcnt(6)
	v_perm_b32 v21, v67, v21, s50
	v_perm_b32 v20, v20, v140, s50
	v_cvt_f32_f16_e32 v78, v84
	v_cvt_f32_f16_sdwa v79, v84 dst_sel:DWORD dst_unused:UNUSED_PAD src0_sel:WORD_1
	v_cvt_f32_f16_e32 v80, v85
	v_cvt_f32_f16_sdwa v81, v85 dst_sel:DWORD dst_unused:UNUSED_PAD src0_sel:WORD_1
	v_pack_b32_f16 v84, v65, v72
	v_cvt_f16_f32_e32 v65, v16
	v_mfma_f32_16x16x16_f16 v[78:81], v[20:21], v[14:15], v[78:81]
	v_pack_b32_f16 v83, v73, v77
	v_cvt_f16_f32_e32 v72, v18
	v_cvt_f16_f32_e32 v73, v19
	v_cvt_f32_f16_e32 v140, v75
	s_nop 2
	v_cvt_f16_f32_e32 v20, v79
	v_cvt_f16_f32_e32 v21, v80
	;; [unrolled: 1-line block ×4, first 2 shown]
	v_cvt_f32_f16_e32 v79, v20
	v_cvt_f32_f16_e32 v80, v21
	s_waitcnt lgkmcnt(2)
	v_perm_b32 v21, v148, v146, s50
	v_perm_b32 v20, v144, v139, s50
	v_cvt_f32_f16_e32 v78, v16
	v_cvt_f32_f16_e32 v81, v67
	v_cvt_f16_f32_e32 v67, v17
	v_pack_b32_f16 v77, v72, v73
	v_mfma_f32_16x16x16_f16 v[16:19], v[20:21], v[142:143], v[78:81]
	s_waitcnt lgkmcnt(0)
	v_perm_b32 v21, v138, v154, s50
	v_perm_b32 v20, v149, v147, s50
	v_cvt_f32_f16_e32 v78, v150
	v_cvt_f32_f16_sdwa v79, v150 dst_sel:DWORD dst_unused:UNUSED_PAD src0_sel:WORD_1
	v_cvt_f32_f16_e32 v80, v151
	v_cvt_f32_f16_sdwa v81, v151 dst_sel:DWORD dst_unused:UNUSED_PAD src0_sel:WORD_1
	v_pack_b32_f16 v85, v65, v67
	v_cvt_f16_f32_e32 v65, v16
	v_mfma_f32_16x16x16_f16 v[78:81], v[20:21], v[14:15], v[78:81]
	v_cvt_f16_f32_e32 v148, v19
	v_cvt_f32_f16_e32 v138, v82
	v_cvt_f32_f16_sdwa v139, v82 dst_sel:DWORD dst_unused:UNUSED_PAD src0_sel:WORD_1
	v_cmp_lt_i32_e32 vcc, s42, v91
	s_nop 2
	v_cvt_f16_f32_e32 v16, v78
	v_cvt_f16_f32_e32 v20, v79
	;; [unrolled: 1-line block ×4, first 2 shown]
	v_cvt_f32_f16_e32 v78, v16
	v_cvt_f32_f16_e32 v79, v20
	v_cvt_f32_f16_e32 v80, v21
	ds_read_u16 v16, v124 offset:6656
	ds_read_u16 v20, v125 offset:208
	ds_read_u16 v21, v125 offset:416
	ds_read_u16 v72, v126 offset:6656
	ds_read_u16 v73, v127 offset:208
	ds_read_u16 v144, v127 offset:416
	ds_read_u16 v146, v128 offset:6656
	ds_read_u16 v147, v129 offset:208
	s_waitcnt lgkmcnt(4)
	v_perm_b32 v21, v72, v21, s50
	v_perm_b32 v20, v20, v16, s50
	v_cvt_f32_f16_e32 v81, v67
	v_cvt_f16_f32_e32 v67, v17
	v_cvt_f16_f32_e32 v72, v18
	v_mfma_f32_16x16x16_f16 v[16:19], v[20:21], v[142:143], v[78:81]
	s_waitcnt lgkmcnt(2)
	v_perm_b32 v21, v141, v144, s50
	v_perm_b32 v20, v73, v152, s50
	v_cvt_f32_f16_sdwa v141, v75 dst_sel:DWORD dst_unused:UNUSED_PAD src0_sel:WORD_1
	v_pack_b32_f16 v79, v65, v67
	s_nop 1
	v_cvt_f16_f32_e32 v65, v16
	v_mfma_f32_16x16x16_f16 v[138:141], v[20:21], v[14:15], v[138:141]
	v_pack_b32_f16 v78, v72, v148
	v_cvt_f16_f32_e32 v80, v18
	s_and_b64 vcc, exec, vcc
	s_nop 3
	v_cvt_f16_f32_e32 v16, v138
	v_cvt_f16_f32_e32 v20, v139
	;; [unrolled: 1-line block ×4, first 2 shown]
	v_cvt_f32_f16_e32 v138, v16
	v_cvt_f32_f16_e32 v139, v20
	ds_read_u16 v16, v129 offset:416
	ds_read_u16 v20, v130 offset:6656
	;; [unrolled: 1-line block ×8, first 2 shown]
	v_cvt_f32_f16_e32 v140, v21
	s_waitcnt lgkmcnt(6)
	v_perm_b32 v21, v20, v16, s50
	v_perm_b32 v20, v147, v146, s50
	v_cvt_f32_f16_e32 v141, v67
	v_cvt_f16_f32_e32 v67, v17
	v_cvt_f16_f32_e32 v146, v19
	v_mfma_f32_16x16x16_f16 v[16:19], v[20:21], v[142:143], v[138:141]
	s_waitcnt lgkmcnt(4)
	v_perm_b32 v21, v145, v73, s50
	v_perm_b32 v20, v72, v153, s50
	v_cvt_f32_f16_e32 v138, v13
	v_cvt_f32_f16_sdwa v139, v13 dst_sel:DWORD dst_unused:UNUSED_PAD src0_sel:WORD_1
	v_cvt_f32_f16_e32 v140, v23
	v_cvt_f32_f16_sdwa v141, v23 dst_sel:DWORD dst_unused:UNUSED_PAD src0_sel:WORD_1
	v_cvt_f16_f32_e32 v13, v16
	v_cvt_f16_f32_e32 v18, v18
	v_mfma_f32_16x16x16_f16 v[138:141], v[20:21], v[14:15], v[138:141]
	v_cvt_f16_f32_e32 v19, v19
	v_pack_b32_f16 v81, v65, v67
	v_pack_b32_f16 v80, v80, v146
	s_waitcnt lgkmcnt(0)
	s_nop 2
	v_cvt_f16_f32_e32 v14, v138
	v_cvt_f16_f32_e32 v15, v139
	;; [unrolled: 1-line block ×4, first 2 shown]
	v_cvt_f32_f16_e32 v138, v14
	v_cvt_f32_f16_e32 v139, v15
	v_perm_b32 v15, v148, v144, s50
	v_perm_b32 v14, v82, v75, s50
	v_cvt_f32_f16_e32 v140, v16
	v_cvt_f32_f16_e32 v141, v20
	v_cvt_f16_f32_e32 v20, v17
	v_pack_b32_f16 v75, v18, v19
	v_mfma_f32_16x16x16_f16 v[14:17], v[14:15], v[142:143], v[138:141]
	v_pack_b32_f16 v82, v13, v20
	s_barrier
	s_nop 4
	v_cvt_f16_f32_e32 v14, v14
	v_cvt_f16_f32_e32 v15, v15
	;; [unrolled: 1-line block ×4, first 2 shown]
	v_pack_b32_f16 v73, v14, v15
	v_pack_b32_f16 v72, v16, v17
	s_cbranch_vccz .LBB14_298
; %bb.295:                              ;   in Loop: Header=BB14_286 Depth=1
	v_mov_b32_e32 v138, v31
	v_mov_b32_e32 v139, v22
	s_branch .LBB14_286
.LBB14_296:
                                        ; implicit-def: $sgpr6_sgpr7
                                        ; kill: killed $sgpr6_sgpr7
	s_load_dwordx2 s[88:89], s[0:1], 0x5c
	s_branch .LBB14_7
.LBB14_297:
	v_mov_b32_e32 v31, 0
	v_mov_b32_e32 v22, 0xfeffffff
	;; [unrolled: 1-line block ×13, first 2 shown]
.LBB14_298:
	s_lshl_b32 s8, s42, 6
	v_readlane_b32 s0, v238, 4
	s_sub_i32 s20, s0, s8
	s_cmp_lg_u64 s[2:3], 0
	s_cselect_b64 s[10:11], -1, 0
	s_ashr_i32 s9, s8, 31
	s_cmp_eq_u64 s[2:3], 0
	v_readlane_b32 s1, v238, 5
	s_cbranch_scc1 .LBB14_316
; %bb.299:
	s_lshl_b64 s[0:1], s[8:9], 1
	s_add_u32 s0, s2, s0
	s_addc_u32 s1, s3, s1
	v_mov_b32_e32 v35, 0
	v_cmp_gt_i32_e32 vcc, s20, v69
	v_lshl_add_u64 v[12:13], s[0:1], 0, v[34:35]
	v_mov_b32_e32 v15, 0
	s_and_saveexec_b64 s[0:1], vcc
	s_cbranch_execz .LBB14_301
; %bb.300:
	v_add_u32_e32 v14, s41, v101
	v_mul_hi_u32 v15, s88, v14
	v_add_u32_e32 v15, v14, v15
	v_lshrrev_b32_e32 v15, s89, v15
	v_mul_lo_u32 v15, v15, s72
	v_sub_u32_e32 v14, v14, v15
	v_mad_i64_i32 v[14:15], s[2:3], v14, s76, 0
	v_lshl_add_u64 v[14:15], v[14:15], 1, v[12:13]
	flat_load_ushort v15, v[14:15]
.LBB14_301:
	s_or_b64 exec, exec, s[0:1]
	s_movk_i32 s0, 0x90
	v_mad_u32_u24 v14, v101, s0, 0
	v_lshl_add_u32 v16, v69, 1, v14
	s_waitcnt vmcnt(0) lgkmcnt(0)
	ds_write_b16 v16, v15 offset:13312
	s_and_saveexec_b64 s[0:1], vcc
	s_cbranch_execz .LBB14_303
; %bb.302:
	v_add3_u32 v15, v101, s41, 4
	v_mul_hi_u32 v16, s88, v15
	v_add_u32_e32 v16, v15, v16
	v_lshrrev_b32_e32 v16, s89, v16
	v_mul_lo_u32 v16, v16, s72
	v_sub_u32_e32 v15, v15, v16
	v_mad_i64_i32 v[16:17], s[2:3], v15, s76, 0
	v_lshl_add_u64 v[16:17], v[16:17], 1, v[12:13]
	flat_load_ushort v35, v[16:17]
.LBB14_303:
	s_or_b64 exec, exec, s[0:1]
	v_add_u32_e32 v15, 0x240, v14
	v_lshl_add_u32 v14, v69, 1, v15
	s_waitcnt vmcnt(0) lgkmcnt(0)
	ds_write_b16 v14, v35 offset:13312
	v_mov_b32_e32 v14, 0
	v_mov_b32_e32 v16, 0
	s_and_saveexec_b64 s[0:1], vcc
	s_cbranch_execz .LBB14_305
; %bb.304:
	v_add3_u32 v16, v101, s41, 8
	v_mul_hi_u32 v17, s88, v16
	v_add_u32_e32 v17, v16, v17
	v_lshrrev_b32_e32 v17, s89, v17
	v_mul_lo_u32 v17, v17, s72
	v_sub_u32_e32 v16, v16, v17
	v_mad_i64_i32 v[16:17], s[2:3], v16, s76, 0
	v_lshl_add_u64 v[16:17], v[16:17], 1, v[12:13]
	flat_load_ushort v16, v[16:17]
.LBB14_305:
	s_or_b64 exec, exec, s[0:1]
	v_add_u32_e32 v15, 0x240, v15
	v_lshl_add_u32 v17, v69, 1, v15
	s_waitcnt vmcnt(0) lgkmcnt(0)
	ds_write_b16 v17, v16 offset:13312
	s_and_saveexec_b64 s[0:1], vcc
	s_cbranch_execz .LBB14_307
; %bb.306:
	v_add3_u32 v14, v101, s41, 12
	v_mul_hi_u32 v16, s88, v14
	v_add_u32_e32 v16, v14, v16
	v_lshrrev_b32_e32 v16, s89, v16
	v_mul_lo_u32 v16, v16, s72
	v_sub_u32_e32 v14, v14, v16
	v_mad_i64_i32 v[16:17], s[2:3], v14, s76, 0
	v_lshl_add_u64 v[16:17], v[16:17], 1, v[12:13]
	flat_load_ushort v14, v[16:17]
.LBB14_307:
	s_or_b64 exec, exec, s[0:1]
	v_add_u32_e32 v15, 0x240, v15
	v_lshl_add_u32 v16, v69, 1, v15
	s_waitcnt vmcnt(0) lgkmcnt(0)
	ds_write_b16 v16, v14 offset:13312
	v_mov_b32_e32 v14, 0
	v_mov_b32_e32 v16, 0
	s_and_saveexec_b64 s[0:1], vcc
	s_cbranch_execz .LBB14_309
; %bb.308:
	v_add3_u32 v16, v101, s41, 16
	v_mul_hi_u32 v17, s88, v16
	v_add_u32_e32 v17, v16, v17
	v_lshrrev_b32_e32 v17, s89, v17
	v_mul_lo_u32 v17, v17, s72
	v_sub_u32_e32 v16, v16, v17
	v_mad_i64_i32 v[16:17], s[2:3], v16, s76, 0
	v_lshl_add_u64 v[16:17], v[16:17], 1, v[12:13]
	flat_load_ushort v16, v[16:17]
.LBB14_309:
	s_or_b64 exec, exec, s[0:1]
	v_add_u32_e32 v15, 0x240, v15
	;; [unrolled: 38-line block ×3, first 2 shown]
	v_lshl_add_u32 v15, v69, 1, v15
	s_waitcnt vmcnt(0) lgkmcnt(0)
	ds_write_b16 v15, v16 offset:13312
	s_and_saveexec_b64 s[0:1], vcc
	s_cbranch_execz .LBB14_315
; %bb.314:
	v_add3_u32 v14, v101, s41, 28
	v_mul_hi_u32 v16, s88, v14
	v_add_u32_e32 v16, v14, v16
	v_lshrrev_b32_e32 v16, s89, v16
	v_mul_lo_u32 v16, v16, s72
	v_sub_u32_e32 v14, v14, v16
	v_mad_i64_i32 v[16:17], s[2:3], v14, s76, 0
	v_lshl_add_u64 v[12:13], v[16:17], 1, v[12:13]
	flat_load_ushort v14, v[12:13]
.LBB14_315:
	s_or_b64 exec, exec, s[0:1]
	s_waitcnt vmcnt(0) lgkmcnt(0)
	ds_write_b16 v15, v14 offset:13888
.LBB14_316:
	s_mul_hi_i32 s1, s8, s86
	s_mul_i32 s0, s8, s86
	v_mov_b32_e32 v12, 0
	s_lshl_b64 s[0:1], s[0:1], 2
	v_mov_b32_e32 v13, v12
	v_mov_b32_e32 v14, v12
	;; [unrolled: 1-line block ×3, first 2 shown]
	v_add_u32_e32 v23, v102, v74
	s_add_u32 s0, s43, s0
	scratch_store_dwordx4 off, v[12:15], off
	s_addc_u32 s1, s44, s1
	v_mov_b32_e32 v19, v12
	v_mul_lo_u32 v14, s86, v23
	v_ashrrev_i32_e32 v15, 31, v14
	v_and_b32_e32 v13, 12, v90
	v_lshl_add_u64 v[14:15], v[14:15], 2, s[0:1]
	v_lshlrev_b32_e32 v18, 2, v13
	s_mov_b64 s[2:3], src_private_base
	v_lshl_add_u64 v[14:15], v[14:15], 0, v[18:19]
	s_mov_b64 s[4:5], 0x80
	v_lshl_add_u64 v[14:15], v[14:15], 0, s[4:5]
	v_mov_b32_e32 v20, s3
	v_cmp_gt_i32_e64 s[6:7], s20, v23
	v_mov_b32_e32 v25, 0
	v_and_b32_e32 v13, 28, v90
	v_cndmask_b32_e64 v15, v20, v15, s[6:7]
	v_cndmask_b32_e64 v14, v25, v14, s[6:7]
	flat_load_dwordx4 v[34:37], v[14:15]
	v_ashrrev_i32_e32 v33, 31, v32
	v_mul_u32_u24_e32 v14, 0xd0, v23
	v_lshlrev_b32_e32 v16, 2, v13
	v_mov_b32_e32 v17, v12
	v_lshl_add_u64 v[12:13], v[32:33], 2, s[0:1]
	v_add3_u32 v19, 0, v14, v18
	v_lshl_add_u64 v[12:13], v[12:13], 0, v[16:17]
	v_cmp_gt_i32_e64 s[4:5], s20, v89
	v_lshl_add_u32 v32, s86, 5, v32
	v_ashrrev_i32_e32 v33, 31, v32
	v_cndmask_b32_e64 v13, v20, v13, s[4:5]
	v_cndmask_b32_e64 v12, v25, v12, s[4:5]
	v_mul_u32_u24_e32 v21, 0xd0, v89
	v_lshl_add_u64 v[32:33], v[32:33], 2, s[0:1]
	v_add3_u32 v21, 0, v21, v16
	v_lshl_add_u64 v[32:33], v[32:33], 0, v[16:17]
	v_and_b32_e32 v17, 16, v102
	s_and_b64 vcc, exec, s[10:11]
	s_waitcnt vmcnt(0) lgkmcnt(0)
	ds_write_b128 v19, v[34:37] offset:128
	flat_load_dwordx4 v[12:15], v[12:13]
	v_add_u32_e32 v34, 32, v89
	v_cmp_gt_i32_e64 s[0:1], s20, v34
	s_waitcnt vmcnt(0) lgkmcnt(0)
	ds_write_b128 v21, v[12:15]
	v_cndmask_b32_e64 v33, v20, v33, s[0:1]
	v_cndmask_b32_e64 v32, v25, v32, s[0:1]
	flat_load_dwordx4 v[12:15], v[32:33]
	v_add_u32_e32 v20, 0, v87
	v_mul_u32_u24_e32 v25, 0xd0, v17
	v_add3_u32 v20, v20, v88, v25
	v_add_u32_e32 v25, 0x1800, v20
	s_waitcnt vmcnt(0) lgkmcnt(0)
	ds_write_b128 v21, v[12:15] offset:6656
	s_waitcnt lgkmcnt(0)
	s_barrier
	ds_read2_b64 v[12:15], v20 offset1:4
	ds_read2_b64 v[36:39], v25 offset0:64 offset1:68
	s_waitcnt lgkmcnt(1)
	v_mfma_f32_16x16x16_f16 v[32:35], v[12:13], v[8:9], 0
	s_waitcnt lgkmcnt(0)
	v_mfma_f32_16x16x16_f16 v[40:43], v[36:37], v[8:9], 0
	v_mfma_f32_16x16x16_f16 v[12:15], v[14:15], v[10:11], v[32:35]
	;; [unrolled: 1-line block ×3, first 2 shown]
	s_nop 2
	ds_read2_b64 v[32:35], v20 offset0:8 offset1:12
	ds_read2_b64 v[36:39], v25 offset0:72 offset1:76
	s_waitcnt lgkmcnt(1)
	v_mfma_f32_16x16x16_f16 v[12:15], v[32:33], v[4:5], v[12:15]
	s_waitcnt lgkmcnt(0)
	v_mfma_f32_16x16x16_f16 v[8:11], v[36:37], v[4:5], v[8:11]
	v_mfma_f32_16x16x16_f16 v[12:15], v[34:35], v[6:7], v[12:15]
	ds_read2_b64 v[32:35], v25 offset0:80 offset1:84
	v_mfma_f32_16x16x16_f16 v[4:7], v[38:39], v[6:7], v[8:11]
	s_nop 3
	ds_read2_b64 v[8:11], v20 offset0:16 offset1:20
	s_waitcnt lgkmcnt(0)
	v_mfma_f32_16x16x16_f16 v[12:15], v[8:9], v[0:1], v[12:15]
	v_and_b32_e32 v20, 0xfc, v74
	v_add_u32_e32 v17, v17, v20
	v_add_u32_e32 v36, 34, v17
	v_mfma_f32_16x16x16_f16 v[4:7], v[32:33], v[0:1], v[4:7]
	v_add_u32_e32 v33, 32, v17
	s_barrier
	v_mfma_f32_16x16x16_f16 v[8:11], v[10:11], v[2:3], v[12:15]
	v_mfma_f32_16x16x16_f16 v[12:15], v[34:35], v[2:3], v[4:7]
	s_cbranch_vccz .LBB14_332
; %bb.317:
	s_movk_i32 s2, 0x90
	v_mad_u32_u24 v2, v86, s2, 0
	v_lshlrev_b32_e32 v0, 1, v17
	s_movk_i32 s2, 0x3400
	v_add_u32_e32 v32, 32, v17
	v_add3_u32 v0, v2, v0, s2
	v_lshl_add_u32 v3, v32, 1, v2
	v_add_u32_e32 v25, 34, v17
	ds_read2_b32 v[0:1], v0 offset1:1
	v_lshl_add_u32 v2, v25, 1, v2
	ds_read_b32 v4, v3 offset:13312
	ds_read_b32 v5, v2 offset:13312
	s_waitcnt lgkmcnt(2)
	v_cvt_f32_f16_e32 v2, v0
	v_cvt_f32_f16_sdwa v3, v0 dst_sel:DWORD dst_unused:UNUSED_PAD src0_sel:WORD_1
	v_cvt_f32_f16_e32 v0, v1
	v_cvt_f32_f16_sdwa v1, v1 dst_sel:DWORD dst_unused:UNUSED_PAD src0_sel:WORD_1
	s_waitcnt lgkmcnt(1)
	v_cvt_f32_f16_e32 v34, v4
	s_waitcnt lgkmcnt(0)
	v_cvt_f32_f16_e32 v38, v5
	v_cvt_f32_f16_sdwa v39, v5 dst_sel:DWORD dst_unused:UNUSED_PAD src0_sel:WORD_1
	v_cvt_f32_f16_sdwa v35, v4 dst_sel:DWORD dst_unused:UNUSED_PAD src0_sel:WORD_1
	v_pk_fma_f32 v[6:7], v[30:31], v[0:1], v[10:11] op_sel_hi:[0,1,1]
	v_pk_fma_f32 v[4:5], v[30:31], v[2:3], v[8:9] op_sel_hi:[0,1,1]
	;; [unrolled: 1-line block ×4, first 2 shown]
	v_add_u32_e32 v35, 0x80, v19
	v_add_u32_e32 v34, 0x1a00, v21
	s_cbranch_execnz .LBB14_319
.LBB14_318:
	s_nop 2
	v_mov_b64_e32 v[0:1], v[12:13]
	v_mov_b64_e32 v[4:5], v[8:9]
	v_mov_b32_e32 v25, v36
	v_mov_b32_e32 v32, v33
	v_mov_b64_e32 v[2:3], v[14:15]
	v_mov_b64_e32 v[6:7], v[10:11]
.LBB14_319:
	v_add_f32_e32 v8, 0x40051340, v4
	v_max_f32_e32 v9, v22, v22
	v_max_f32_e32 v8, v9, v8
	v_cmp_gt_u32_e64 s[16:17], s20, v17
	s_mul_hi_i32 s3, s8, s74
	s_mul_i32 s2, s8, s74
	v_cndmask_b32_e64 v14, v22, v8, s[16:17]
	v_add_f32_e32 v8, 0x40051340, v5
	v_max_f32_e32 v9, v14, v14
	s_lshl_b64 s[2:3], s[2:3], 2
	v_max_f32_e32 v30, v9, v8
	s_add_u32 s2, s33, s2
	v_mul_lo_u32 v12, s74, v23
	v_mov_b32_e32 v8, 0
	s_addc_u32 s3, s40, s3
	v_ashrrev_i32_e32 v13, 31, v12
	v_mov_b32_e32 v9, v8
	v_mov_b32_e32 v10, v8
	;; [unrolled: 1-line block ×3, first 2 shown]
	scratch_store_dwordx4 off, v[8:11], off
	v_mov_b32_e32 v19, v8
	s_mov_b64 s[8:9], src_private_base
	v_lshl_add_u64 v[10:11], v[12:13], 2, s[2:3]
	v_lshl_add_u64 v[10:11], v[10:11], 0, v[18:19]
	s_mov_b64 s[10:11], 0x80
	v_lshl_add_u64 v[10:11], v[10:11], 0, s[10:11]
	v_mov_b32_e32 v18, s9
	v_mov_b32_e32 v19, 0
	v_cndmask_b32_e64 v11, v18, v11, s[6:7]
	v_cndmask_b32_e64 v10, v19, v10, s[6:7]
	flat_load_dwordx4 v[10:13], v[10:11]
	v_or_b32_e32 v15, 1, v17
	v_cmp_gt_u32_e64 s[14:15], s20, v15
	v_add_f32_e32 v15, 0x40051340, v6
	v_cmp_gt_u32_e64 s[8:9], s20, v32
	v_cndmask_b32_e64 v9, v14, v30, s[14:15]
	v_or_b32_e32 v14, 2, v17
	v_max_f32_e32 v23, v9, v9
	v_max_f32_e32 v15, v23, v15
	v_cmp_gt_u32_e64 s[12:13], s20, v14
	v_or_b32_e32 v14, 3, v17
	v_cmp_gt_u32_e64 s[10:11], s20, v14
	v_cndmask_b32_e64 v9, v9, v15, s[12:13]
	v_add_f32_e32 v15, 0x40051340, v7
	v_max_f32_e32 v23, v9, v9
	v_max_f32_e32 v15, v23, v15
	v_cndmask_b32_e64 v9, v9, v15, s[10:11]
	v_add_f32_e32 v14, 0x40051340, v0
	v_max_f32_e32 v15, v9, v9
	v_max_f32_e32 v14, v15, v14
	v_cndmask_b32_e64 v9, v9, v14, s[8:9]
	v_add_u32_e32 v14, 33, v17
	v_add_f32_e32 v15, 0x40051340, v1
	v_max_f32_e32 v23, v9, v9
	v_max_f32_e32 v15, v23, v15
	v_cmp_gt_u32_e64 s[6:7], s20, v14
	v_add_f32_e32 v14, 0x40051340, v2
	v_cmp_gt_u32_e64 s[18:19], s20, v25
	v_cndmask_b32_e64 v9, v9, v15, s[6:7]
	v_max_f32_e32 v15, v9, v9
	v_max_f32_e32 v14, v15, v14
	v_cndmask_b32_e64 v9, v9, v14, s[18:19]
	v_add_u32_e32 v14, 35, v17
	v_add_f32_e32 v15, 0x40051340, v3
	v_max_f32_e32 v17, v9, v9
	v_max_f32_e32 v15, v17, v15
	v_cmp_gt_u32_e32 vcc, s20, v14
	v_mbcnt_hi_u32_b32 v14, -1, v76
	v_xor_b32_e32 v17, 32, v14
	v_cndmask_b32_e32 v9, v9, v15, vcc
	v_and_b32_e32 v15, 64, v14
	v_add_u32_e32 v15, 64, v15
	v_cmp_lt_i32_e64 s[20:21], v17, v15
	s_mov_b32 s22, 0x3fb8aa3b
	s_mov_b32 s24, 0xc2ce8ed0
	v_cndmask_b32_e64 v17, v14, v17, s[20:21]
	v_lshlrev_b32_e32 v33, 2, v17
	ds_bpermute_b32 v17, v33, v9
	v_max_f32_e32 v9, v9, v9
	v_ashrrev_i32_e32 v25, 31, v24
	s_mov_b32 s23, 0
	v_cndmask_b32_e64 v7, v7, v7, s[14:15]
	s_waitcnt lgkmcnt(0)
	v_max_f32_e32 v17, v17, v17
	v_max_f32_e32 v9, v9, v17
	v_xor_b32_e32 v17, 16, v14
	v_cmp_lt_i32_e64 s[20:21], v17, v15
	v_cndmask_b32_e64 v1, v1, v1, s[8:9]
	v_cndmask_b32_e64 v2, v2, v2, s[8:9]
	;; [unrolled: 1-line block ×3, first 2 shown]
	v_lshlrev_b32_e32 v32, 2, v14
	ds_bpermute_b32 v14, v32, v9
	v_mov_b32_e32 v17, v8
	v_cndmask_b32_e64 v3, v3, v3, s[8:9]
	v_mul_u32_u24_e32 v44, 0xd0, v20
	v_mul_u32_u24_e32 v55, 0x1a0, v71
	s_waitcnt lgkmcnt(0)
	v_max_f32_e32 v14, v14, v14
	v_max_f32_e32 v30, v9, v14
	v_sub_f32_e32 v4, v4, v30
	v_mul_f32_e32 v9, 0x3fb8aa3b, v4
	v_fma_f32 v14, v4, s22, -v9
	v_rndne_f32_e32 v15, v9
	v_fmac_f32_e32 v14, 0x32a5705f, v4
	v_sub_f32_e32 v9, v9, v15
	v_add_f32_e32 v9, v9, v14
	v_exp_f32_e32 v9, v9
	v_cvt_i32_f32_e32 v14, v15
	v_cmp_ngt_f32_e64 s[20:21], s24, v4
	v_sub_f32_e32 v5, v5, v30
	v_sub_f32_e32 v7, v7, v30
	v_ldexp_f32 v9, v9, v14
	s_waitcnt vmcnt(0)
	ds_write_b128 v35, v[10:13]
	v_lshl_add_u64 v[10:11], v[24:25], 2, s[2:3]
	v_cndmask_b32_e64 v14, 0, v9, s[20:21]
	v_lshl_add_u64 v[8:9], v[10:11], 0, v[16:17]
	v_cndmask_b32_e64 v9, v18, v9, s[4:5]
	v_cndmask_b32_e64 v8, v19, v8, s[4:5]
	flat_load_dwordx4 v[8:11], v[8:9]
	v_mul_f32_e32 v13, 0x3fb8aa3b, v5
	v_fma_f32 v15, v5, s22, -v13
	v_rndne_f32_e32 v23, v13
	v_fmac_f32_e32 v15, 0x32a5705f, v5
	v_sub_f32_e32 v13, v13, v23
	v_add_f32_e32 v13, v13, v15
	v_exp_f32_e32 v13, v13
	v_cvt_i32_f32_e32 v15, v23
	s_mov_b32 s20, 0x42b17218
	v_mov_b32_e32 v12, 0x7f800000
	v_cmp_nlt_f32_e64 s[4:5], s20, v4
	v_ldexp_f32 v13, v13, v15
	v_sub_f32_e32 v0, v0, v30
	v_cndmask_b32_e64 v4, v12, v14, s[4:5]
	v_cmp_ngt_f32_e64 s[4:5], s24, v5
	v_sub_f32_e32 v1, v1, v30
	v_sub_f32_e32 v2, v2, v30
	v_cndmask_b32_e64 v13, 0, v13, s[4:5]
	v_cmp_nlt_f32_e64 s[4:5], s20, v5
	v_cndmask_b32_e64 v5, v6, v6, s[14:15]
	v_sub_f32_e32 v6, v5, v30
	v_mul_f32_e32 v5, 0x3fb8aa3b, v6
	v_cndmask_b32_e64 v25, v12, v13, s[4:5]
	v_fma_f32 v13, v6, s22, -v5
	v_rndne_f32_e32 v14, v5
	v_fmac_f32_e32 v13, 0x32a5705f, v6
	v_sub_f32_e32 v5, v5, v14
	v_add_f32_e32 v5, v5, v13
	v_exp_f32_e32 v13, v5
	v_cvt_i32_f32_e32 v14, v14
	v_mov_b32_e32 v5, s23
	v_cndmask_b32_e64 v15, v5, v25, s[14:15]
	v_cmp_ngt_f32_e64 s[4:5], s24, v6
	v_ldexp_f32 v5, v13, v14
	v_mul_f32_e32 v13, 0x3fb8aa3b, v7
	v_fma_f32 v14, v7, s22, -v13
	v_rndne_f32_e32 v23, v13
	v_fmac_f32_e32 v14, 0x32a5705f, v7
	v_sub_f32_e32 v13, v13, v23
	v_add_f32_e32 v13, v13, v14
	v_exp_f32_e32 v13, v13
	v_cvt_i32_f32_e32 v14, v23
	v_cndmask_b32_e64 v5, 0, v5, s[4:5]
	v_cmp_nlt_f32_e64 s[4:5], s20, v6
	v_mov_b32_e32 v6, s23
	v_cndmask_b32_e64 v4, 0, v4, s[16:17]
	v_cndmask_b32_e64 v35, v12, v5, s[4:5]
	;; [unrolled: 1-line block ×3, first 2 shown]
	v_mul_f32_e32 v6, 0x3fb8aa3b, v0
	v_ldexp_f32 v5, v13, v14
	v_fma_f32 v13, v0, s22, -v6
	v_rndne_f32_e32 v14, v6
	v_fmac_f32_e32 v13, 0x32a5705f, v0
	v_sub_f32_e32 v6, v6, v14
	v_add_f32_e32 v6, v6, v13
	v_exp_f32_e32 v6, v6
	v_cvt_i32_f32_e32 v13, v14
	v_cmp_ngt_f32_e64 s[4:5], s24, v7
	v_ldexp_f32 v6, v6, v13
	s_nop 0
	v_cndmask_b32_e64 v5, 0, v5, s[4:5]
	v_cmp_nlt_f32_e64 s[4:5], s20, v7
	s_waitcnt vmcnt(0) lgkmcnt(0)
	ds_write_b128 v21, v[8:11]
	v_cndmask_b32_e64 v36, v12, v5, s[4:5]
	v_cmp_ngt_f32_e64 s[4:5], s24, v0
	v_mov_b32_e32 v5, s23
	v_cndmask_b32_e64 v5, v5, v36, s[10:11]
	v_cndmask_b32_e64 v6, 0, v6, s[4:5]
	v_cmp_nlt_f32_e64 s[4:5], s20, v0
	v_cvt_f16_f32_e32 v5, v5
	v_mov_b32_e32 v0, s23
	v_cndmask_b32_e64 v37, v12, v6, s[4:5]
	v_mul_f32_e32 v6, 0x3fb8aa3b, v1
	v_rndne_f32_e32 v14, v6
	v_fma_f32 v13, v1, s22, -v6
	v_sub_f32_e32 v38, v6, v14
	v_lshl_add_u32 v6, s74, 5, v24
	v_ashrrev_i32_e32 v7, 31, v6
	v_lshl_add_u64 v[6:7], v[6:7], 2, s[2:3]
	v_lshl_add_u64 v[6:7], v[6:7], 0, v[16:17]
	v_cndmask_b32_e64 v7, v18, v7, s[0:1]
	v_cndmask_b32_e64 v6, v19, v6, s[0:1]
	flat_load_dwordx4 v[6:9], v[6:7]
	v_fmac_f32_e32 v13, 0x32a5705f, v1
	v_add_f32_e32 v10, v38, v13
	v_exp_f32_e32 v10, v10
	v_cvt_i32_f32_e32 v11, v14
	v_cmp_ngt_f32_e64 s[0:1], s24, v1
	v_cndmask_b32_e64 v0, v0, v37, s[8:9]
	s_add_i32 s2, 0, 0x60
	v_ldexp_f32 v10, v10, v11
	v_mul_f32_e32 v11, 0x3fb8aa3b, v2
	v_fma_f32 v13, v2, s22, -v11
	v_rndne_f32_e32 v14, v11
	v_fmac_f32_e32 v13, 0x32a5705f, v2
	v_sub_f32_e32 v11, v11, v14
	v_add_f32_e32 v11, v11, v13
	v_exp_f32_e32 v11, v11
	v_cvt_i32_f32_e32 v13, v14
	v_cndmask_b32_e64 v10, 0, v10, s[0:1]
	v_cmp_nlt_f32_e64 s[0:1], s20, v1
	v_mov_b32_e32 v1, s23
	s_movk_i32 s4, 0xd0
	v_cndmask_b32_e64 v24, v12, v10, s[0:1]
	v_ldexp_f32 v10, v11, v13
	v_cmp_ngt_f32_e64 s[0:1], s24, v2
	v_cndmask_b32_e64 v1, v1, v24, s[6:7]
	s_waitcnt vmcnt(0) lgkmcnt(0)
	ds_write_b128 v34, v[6:9]
	v_cndmask_b32_e64 v10, 0, v10, s[0:1]
	v_cmp_nlt_f32_e64 s[0:1], s20, v2
	v_mov_b32_e32 v2, s23
	s_waitcnt lgkmcnt(0)
	v_cndmask_b32_e64 v40, v12, v10, s[0:1]
	v_cndmask_b32_e64 v10, v2, v40, s[18:19]
	v_sub_f32_e32 v2, v3, v30
	v_mul_f32_e32 v3, 0x3fb8aa3b, v2
	v_fma_f32 v11, v2, s22, -v3
	v_rndne_f32_e32 v13, v3
	v_fmac_f32_e32 v11, 0x32a5705f, v2
	v_sub_f32_e32 v3, v3, v13
	v_add_f32_e32 v3, v3, v11
	v_cvt_i32_f32_e32 v11, v13
	v_sub_f32_e32 v13, v22, v30
	v_mul_f32_e32 v14, 0x3fb8aa3b, v13
	v_fma_f32 v16, v13, s22, -v14
	v_rndne_f32_e32 v17, v14
	v_fmac_f32_e32 v16, 0x32a5705f, v13
	v_sub_f32_e32 v14, v14, v17
	v_exp_f32_e32 v3, v3
	v_add_f32_e32 v14, v14, v16
	v_exp_f32_e32 v14, v14
	v_cvt_i32_f32_e32 v16, v17
	v_ldexp_f32 v3, v3, v11
	v_cmp_ngt_f32_e64 s[0:1], s24, v2
	s_barrier
	v_ldexp_f32 v11, v14, v16
	v_cndmask_b32_e64 v3, 0, v3, s[0:1]
	v_cmp_ngt_f32_e64 s[0:1], s24, v13
	v_cvt_f16_f32_e32 v10, v10
	s_nop 0
	v_cndmask_b32_e64 v11, 0, v11, s[0:1]
	v_cmp_nlt_f32_e64 s[0:1], s20, v13
	s_nop 1
	v_cndmask_b32_e64 v11, v12, v11, s[0:1]
	s_mov_b32 s0, 0xc1a00000
	v_cmp_le_f32_e64 s[0:1], s0, v13
	v_cvt_f16_f32_e32 v13, v23
	v_pack_b32_f16 v23, v13, v5
	v_cndmask_b32_e64 v41, 0, v11, s[0:1]
	v_cmp_nlt_f32_e64 s[0:1], s20, v2
	v_cvt_f16_f32_e32 v42, v41
	v_cvt_f16_f32_e32 v5, v0
	v_cndmask_b32_e64 v43, v12, v3, s[0:1]
	v_mov_b32_e32 v3, s23
	v_cndmask_b32_e32 v11, v3, v43, vcc
	v_cvt_f16_f32_e32 v3, v4
	v_cvt_f16_f32_e32 v12, v15
	s_movk_i32 s1, 0x1a0
	v_mul_u32_u24_e32 v0, 0x68, v20
	v_or_b32_e32 v0, v0, v26
	v_pack_b32_f16 v22, v3, v12
	v_cvt_f16_f32_e32 v12, v1
	v_or_b32_e32 v1, 3, v74
	v_mul_u32_u24_e32 v45, 0xd0, v1
	v_mad_u32_u24 v1, v71, s1, 0
	v_add3_u32 v13, v1, v44, v70
	v_lshlrev_b32_e32 v34, 1, v0
	v_add3_u32 v16, v1, v45, v70
	s_mov_b32 s0, 0x5040100
	ds_read_u16 v8, v13 offset:6864
	ds_read_u16 v9, v16 offset:32
	;; [unrolled: 1-line block ×3, first 2 shown]
	ds_read_u16 v6, v16
	ds_read_u16 v18, v13 offset:7072
	ds_read_u16 v7, v13 offset:416
	;; [unrolled: 1-line block ×9, first 2 shown]
	v_add_u32_e32 v3, v1, v34
	s_waitcnt lgkmcnt(7)
	v_perm_b32 v7, v6, v7, s0
	ds_read_u16 v6, v13 offset:208
	ds_read_u16 v38, v3
	ds_read_u16 v50, v3 offset:32
	ds_read_u16 v51, v3 offset:64
	;; [unrolled: 1-line block ×6, first 2 shown]
	v_pk_mul_f16 v2, v42, v84 op_sel_hi:[0,1]
	v_pk_mul_f16 v14, v42, v83 op_sel_hi:[0,1]
	s_waitcnt lgkmcnt(6)
	v_perm_b32 v6, v6, v38, s0
	v_cvt_f32_f16_e32 v0, v2
	v_cvt_f32_f16_sdwa v1, v2 dst_sel:DWORD dst_unused:UNUSED_PAD src0_sel:WORD_1
	v_cvt_f32_f16_e32 v2, v14
	v_cvt_f32_f16_sdwa v3, v14 dst_sel:DWORD dst_unused:UNUSED_PAD src0_sel:WORD_1
	v_cvt_f16_f32_e32 v11, v11
	v_pk_mul_f16 v15, v42, v85 op_sel_hi:[0,1]
	v_mfma_f32_16x16x16_f16 v[0:3], v[6:7], v[22:23], v[0:3]
	v_add3_u32 v6, 0, 32, v55
	v_add_u32_e32 v7, v6, v34
	v_add3_u32 v14, v6, v44, v70
	v_add3_u32 v6, v6, v45, v70
	s_nop 2
	v_cvt_f16_f32_e32 v0, v0
	v_cvt_f16_f32_e32 v1, v1
	;; [unrolled: 1-line block ×4, first 2 shown]
	ds_read_u16 v38, v16 offset:6656
	ds_read_u16 v56, v7 offset:6656
	;; [unrolled: 1-line block ×6, first 2 shown]
	s_waitcnt lgkmcnt(5)
	v_perm_b32 v7, v38, v18, s0
	v_perm_b32 v6, v8, v39, s0
	v_cvt_f32_f16_e32 v0, v0
	v_cvt_f32_f16_e32 v1, v1
	;; [unrolled: 1-line block ×4, first 2 shown]
	v_pk_mul_f16 v18, v42, v77 op_sel_hi:[0,1]
	v_pack_b32_f16 v38, v5, v12
	v_pack_b32_f16 v39, v10, v11
	v_perm_b32 v11, v9, v19, s0
	v_perm_b32 v10, v21, v50, s0
	v_mfma_f32_16x16x16_f16 v[0:3], v[6:7], v[38:39], v[0:3]
	v_cvt_f32_f16_e32 v6, v15
	v_cvt_f32_f16_sdwa v7, v15 dst_sel:DWORD dst_unused:UNUSED_PAD src0_sel:WORD_1
	v_cvt_f32_f16_e32 v8, v18
	v_cvt_f32_f16_sdwa v9, v18 dst_sel:DWORD dst_unused:UNUSED_PAD src0_sel:WORD_1
	ds_read_u16 v60, v13 offset:576
	ds_read_u16 v18, v13 offset:512
	ds_read_u16 v21, v13 offset:544
	v_mfma_f32_16x16x16_f16 v[6:9], v[10:11], v[22:23], v[6:9]
	s_waitcnt lgkmcnt(4)
	v_perm_b32 v11, v58, v14, s0
	v_perm_b32 v10, v57, v56, s0
	v_pk_mul_f16 v13, v42, v78 op_sel_hi:[0,1]
	v_perm_b32 v15, v17, v20, s0
	s_nop 1
	v_cvt_f16_f32_e32 v5, v6
	v_cvt_f16_f32_e32 v7, v7
	;; [unrolled: 1-line block ×4, first 2 shown]
	v_cvt_f32_f16_e32 v6, v5
	v_cvt_f32_f16_e32 v7, v7
	v_cvt_f32_f16_e32 v8, v8
	v_cvt_f32_f16_e32 v9, v9
	v_pk_mul_f16 v5, v42, v79 op_sel_hi:[0,1]
	v_perm_b32 v14, v46, v51, s0
	v_mfma_f32_16x16x16_f16 v[6:9], v[10:11], v[38:39], v[6:9]
	v_cvt_f32_f16_e32 v10, v5
	v_cvt_f32_f16_sdwa v11, v5 dst_sel:DWORD dst_unused:UNUSED_PAD src0_sel:WORD_1
	v_cvt_f32_f16_e32 v12, v13
	v_cvt_f32_f16_sdwa v13, v13 dst_sel:DWORD dst_unused:UNUSED_PAD src0_sel:WORD_1
	v_add_f32_e32 v5, v25, v4
	ds_read_u16 v19, v16 offset:96
	ds_read_u16 v50, v16 offset:128
	v_mfma_f32_16x16x16_f16 v[10:13], v[14:15], v[22:23], v[10:13]
	v_cndmask_b32_e64 v16, v4, v5, s[14:15]
	v_add_f32_e32 v17, v16, v35
	s_nop 4
	v_cvt_f16_f32_e32 v4, v10
	v_cvt_f16_f32_e32 v5, v11
	v_add3_u32 v10, 0, 64, v55
	v_add_u32_e32 v14, v10, v34
	v_add3_u32 v15, v10, v44, v70
	v_add3_u32 v20, v10, v45, v70
	v_cvt_f32_f16_e32 v10, v4
	v_mov_b32_e32 v4, s2
	v_cvt_f16_f32_e32 v12, v12
	v_cvt_f16_f32_e32 v13, v13
	v_mad_u32_u24 v4, v71, s1, v4
	v_add3_u32 v25, v4, v44, v70
	v_cvt_f32_f16_e32 v11, v5
	v_add_u32_e32 v5, v4, v34
	v_add3_u32 v4, v4, v45, v70
	ds_read_u16 v14, v14 offset:6656
	ds_read_u16 v35, v15 offset:6864
	;; [unrolled: 1-line block ×8, first 2 shown]
	s_waitcnt lgkmcnt(4)
	v_perm_b32 v5, v20, v15, s0
	v_perm_b32 v4, v35, v14, s0
	v_cvt_f32_f16_e32 v12, v12
	v_cvt_f32_f16_e32 v13, v13
	v_cndmask_b32_e64 v20, v16, v17, s[12:13]
	v_pk_mul_f16 v15, v42, v81 op_sel_hi:[0,1]
	v_pk_mul_f16 v17, v42, v80 op_sel_hi:[0,1]
	v_mfma_f32_16x16x16_f16 v[10:13], v[4:5], v[38:39], v[10:13]
	v_perm_b32 v5, v19, v18, s0
	v_perm_b32 v4, v47, v52, s0
	v_cvt_f32_f16_e32 v14, v15
	v_cvt_f32_f16_sdwa v15, v15 dst_sel:DWORD dst_unused:UNUSED_PAD src0_sel:WORD_1
	v_cvt_f32_f16_e32 v16, v17
	v_cvt_f32_f16_sdwa v17, v17 dst_sel:DWORD dst_unused:UNUSED_PAD src0_sel:WORD_1
	v_add_f32_e32 v18, v20, v36
	v_cndmask_b32_e64 v18, v20, v18, s[10:11]
	v_mfma_f32_16x16x16_f16 v[14:17], v[4:5], v[22:23], v[14:17]
	v_add_f32_e32 v19, v37, v18
	v_pk_mul_f16 v35, v42, v75 op_sel_hi:[0,1]
	v_cvt_f32_f16_e32 v20, v35
	s_add_i32 s2, 0, 0x80
	s_nop 2
	v_cvt_f16_f32_e32 v4, v14
	v_cvt_f16_f32_e32 v5, v15
	;; [unrolled: 1-line block ×4, first 2 shown]
	v_cvt_f32_f16_e32 v14, v4
	v_cvt_f32_f16_e32 v15, v5
	s_waitcnt lgkmcnt(0)
	v_perm_b32 v5, v55, v25, s0
	v_perm_b32 v4, v51, v46, s0
	v_cvt_f32_f16_e32 v16, v16
	v_cvt_f32_f16_e32 v17, v17
	v_cndmask_b32_e64 v25, v18, v19, s[8:9]
	v_pk_mul_f16 v19, v42, v82 op_sel_hi:[0,1]
	v_mfma_f32_16x16x16_f16 v[14:17], v[4:5], v[38:39], v[14:17]
	v_perm_b32 v5, v50, v21, s0
	v_perm_b32 v4, v48, v53, s0
	v_cvt_f32_f16_e32 v18, v19
	v_cvt_f32_f16_sdwa v19, v19 dst_sel:DWORD dst_unused:UNUSED_PAD src0_sel:WORD_1
	v_cvt_f32_f16_sdwa v21, v35 dst_sel:DWORD dst_unused:UNUSED_PAD src0_sel:WORD_1
	v_add_f32_e32 v24, v24, v25
	v_cndmask_b32_e64 v24, v25, v24, s[6:7]
	v_mfma_f32_16x16x16_f16 v[18:21], v[4:5], v[22:23], v[18:21]
	v_add_f32_e32 v25, v40, v24
	v_cndmask_b32_e64 v24, v24, v25, s[18:19]
	v_pk_mul_f16 v25, v42, v73 op_sel_hi:[0,1]
	s_nop 3
	v_cvt_f16_f32_e32 v4, v18
	v_cvt_f16_f32_e32 v5, v19
	v_mov_b32_e32 v18, s2
	v_mad_u32_u24 v18, v71, s1, v18
	s_add_i32 s2, 0, 0xa0
	v_cvt_f16_f32_e32 v20, v20
	v_cvt_f16_f32_e32 v21, v21
	v_add_u32_e32 v35, v18, v34
	v_add3_u32 v36, v18, v44, v70
	v_add3_u32 v37, v18, v45, v70
	v_cvt_f32_f16_e32 v18, v4
	v_mov_b32_e32 v4, s2
	v_mad_u32_u24 v4, v71, s1, v4
	v_cvt_f32_f16_e32 v19, v5
	v_add_u32_e32 v5, v4, v34
	v_add3_u32 v34, v4, v44, v70
	v_add3_u32 v4, v4, v45, v70
	ds_read_u16 v35, v35 offset:6656
	ds_read_u16 v40, v36 offset:6864
	;; [unrolled: 1-line block ×8, first 2 shown]
	s_waitcnt lgkmcnt(4)
	v_perm_b32 v5, v37, v36, s0
	v_perm_b32 v4, v40, v35, s0
	v_cvt_f32_f16_e32 v20, v20
	v_cvt_f32_f16_e32 v21, v21
	v_pk_mul_f16 v37, v42, v72 op_sel_hi:[0,1]
	v_cvt_f32_f16_e32 v34, v25
	v_mfma_f32_16x16x16_f16 v[18:21], v[4:5], v[38:39], v[18:21]
	v_perm_b32 v5, v59, v60, s0
	v_perm_b32 v4, v49, v54, s0
	v_cvt_f32_f16_sdwa v35, v25 dst_sel:DWORD dst_unused:UNUSED_PAD src0_sel:WORD_1
	v_cvt_f32_f16_e32 v36, v37
	v_cvt_f32_f16_sdwa v37, v37 dst_sel:DWORD dst_unused:UNUSED_PAD src0_sel:WORD_1
	v_add_f32_e32 v25, v43, v24
	v_cndmask_b32_e32 v40, v24, v25, vcc
	v_mfma_f32_16x16x16_f16 v[22:25], v[4:5], v[22:23], v[34:37]
	v_fmac_f32_e32 v40, v31, v41
	ds_bpermute_b32 v31, v33, v40
	s_waitcnt lgkmcnt(1)
	v_perm_b32 v35, v47, v46, s0
	v_perm_b32 v34, v45, v44, s0
	s_nop 1
	v_cvt_f16_f32_e32 v4, v22
	v_cvt_f16_f32_e32 v5, v23
	;; [unrolled: 1-line block ×4, first 2 shown]
	v_cvt_f32_f16_e32 v22, v4
	v_cvt_f32_f16_e32 v23, v5
	;; [unrolled: 1-line block ×4, first 2 shown]
	s_waitcnt lgkmcnt(0)
	v_add_f32_e32 v4, v40, v31
	ds_bpermute_b32 v5, v32, v4
	v_mfma_f32_16x16x16_f16 v[22:25], v[34:35], v[38:39], v[22:25]
	v_cmp_gt_u32_e64 s[0:1], 16, v69
	s_waitcnt lgkmcnt(0)
	s_barrier
	s_and_saveexec_b64 s[2:3], s[0:1]
	s_cbranch_execz .LBB14_321
; %bb.320:
	v_add_f32_e32 v4, v4, v5
	v_or_b32_e32 v5, v102, v69
	v_mad_u32_u24 v5, v5, s4, 0
	ds_write2_b32 v5, v30, v4 offset0:48 offset1:49
.LBB14_321:
	s_or_b64 exec, exec, s[2:3]
	v_cmp_eq_u32_e32 vcc, 0, v104
	v_cmp_eq_u32_e64 s[4:5], 1, v104
	s_waitcnt lgkmcnt(0)
	s_barrier
	s_and_saveexec_b64 s[2:3], s[4:5]
	s_xor_b64 s[2:3], exec, s[2:3]
	s_cbranch_execz .LBB14_323
; %bb.322:
	s_barrier
	s_waitcnt lgkmcnt(0)
                                        ; implicit-def: $vgpr103
                                        ; implicit-def: $vgpr69
                                        ; implicit-def: $vgpr32
.LBB14_323:
	s_andn2_saveexec_b64 s[2:3], s[2:3]
	s_cbranch_execz .LBB14_329
; %bb.324:
	v_or_b32_e32 v5, v102, v28
	s_movk_i32 s4, 0xd0
	v_mad_u32_u24 v4, v5, s4, 0
	ds_read_b64 v[34:35], v4 offset:192
	s_mov_b32 s4, 0x3fb8aa3b
	s_mov_b32 s6, 0x42b17218
	s_waitcnt lgkmcnt(0)
	s_barrier
	ds_bpermute_b32 v4, v32, v34
	v_max_f32_e32 v30, v34, v34
	s_waitcnt lgkmcnt(0)
	v_max_f32_e32 v4, v4, v4
	v_max_f32_e32 v4, v30, v4
	v_sub_f32_e32 v30, v34, v4
	v_mul_f32_e32 v31, 0x3fb8aa3b, v30
	v_fma_f32 v33, v30, s4, -v31
	v_rndne_f32_e32 v34, v31
	v_fmamk_f32 v33, v30, 0x32a5705f, v33
	v_sub_f32_e32 v31, v31, v34
	v_add_f32_e32 v31, v31, v33
	v_cvt_i32_f32_e32 v34, v34
	v_exp_f32_e32 v31, v31
	s_mov_b32 s4, 0xc2ce8ed0
	v_cmp_ngt_f32_e64 s[4:5], s4, v30
	v_mov_b32_e32 v33, 0x7f800000
	v_ldexp_f32 v31, v31, v34
	v_cndmask_b32_e64 v31, 0, v31, s[4:5]
	v_cmp_nlt_f32_e64 s[4:5], s6, v30
	s_nop 1
	v_cndmask_b32_e64 v30, v33, v31, s[4:5]
	v_mul_f32_e32 v31, v35, v30
	ds_bpermute_b32 v31, v32, v31
	v_cmp_gt_u32_e64 s[4:5], 32, v69
	s_waitcnt lgkmcnt(0)
	v_fmac_f32_e32 v31, v35, v30
	s_and_saveexec_b64 s[6:7], s[4:5]
	s_cbranch_execz .LBB14_326
; %bb.325:
	v_mul_u32_u24_e32 v5, 0xd0, v5
	v_add_u32_e32 v5, 0, v5
	ds_write_b64 v5, v[30:31] offset:192
.LBB14_326:
	s_or_b64 exec, exec, s[6:7]
	s_and_saveexec_b64 s[4:5], s[0:1]
	s_cbranch_execz .LBB14_328
; %bb.327:
	s_add_i32 s0, s55, s54
	s_lshl_b32 s0, s0, 5
	s_mov_b32 s1, 0
	s_lshl_b64 s[0:1], s[0:1], 3
	s_add_u32 s0, s70, s0
	v_or_b32_e32 v5, v103, v69
	s_addc_u32 s1, s71, s1
	v_lshlrev_b32_e32 v30, 3, v5
	v_mov_b32_e32 v5, v31
	global_store_dwordx2 v30, v[4:5], s[0:1]
.LBB14_328:
	s_or_b64 exec, exec, s[4:5]
.LBB14_329:
	s_or_b64 exec, exec, s[2:3]
	v_cvt_f16_f32_e32 v0, v0
	v_cvt_f16_f32_e32 v1, v1
	;; [unrolled: 1-line block ×8, first 2 shown]
	v_pack_b32_f16 v2, v2, v3
	v_pack_b32_f16 v0, v0, v1
	v_pack_b32_f16 v1, v5, v6
	v_pack_b32_f16 v3, v4, v7
	v_cvt_f16_f32_e32 v4, v10
	v_cvt_f16_f32_e32 v5, v11
	;; [unrolled: 1-line block ×8, first 2 shown]
	v_pack_b32_f16 v6, v6, v7
	v_pack_b32_f16 v4, v4, v5
	;; [unrolled: 1-line block ×4, first 2 shown]
	v_cvt_f16_f32_e32 v10, v20
	v_cvt_f16_f32_e32 v11, v21
	;; [unrolled: 1-line block ×8, first 2 shown]
	v_pack_b32_f16 v10, v10, v11
	v_pack_b32_f16 v11, v12, v15
	v_or_b32_e32 v12, v102, v26
	v_mad_u32_u24 v12, v12, 52, v27
	s_mov_b32 s3, 0
	v_lshl_add_u32 v12, v12, 2, 0
	v_pack_b32_f16 v8, v8, v9
	v_pack_b32_f16 v9, v13, v14
	ds_write2_b32 v12, v0, v2 offset1:1
	ds_write2_b32 v12, v3, v1 offset0:8 offset1:9
	ds_write2_b32 v12, v4, v6 offset0:16 offset1:17
	;; [unrolled: 1-line block ×5, first 2 shown]
	s_waitcnt lgkmcnt(0)
	s_barrier
	s_and_saveexec_b64 s[0:1], vcc
	s_cbranch_execz .LBB14_331
; %bb.330:
	s_mul_i32 s2, s54, 0x600
	v_add_u32_e32 v12, v68, v101
	s_lshl_b64 s[4:5], s[2:3], 3
	v_lshlrev_b32_e32 v13, 1, v12
	v_and_b32_e32 v14, 15, v12
	s_movk_i32 s2, 0xfe0
	s_add_u32 s6, s70, s4
	v_and_or_b32 v0, v13, s2, v14
	s_movk_i32 s4, 0xd0
	v_mad_u32_u24 v2, v0, s4, 0
	v_lshlrev_b32_e32 v15, 2, v28
	v_add_u32_e32 v0, v2, v15
	ds_read2st64_b32 v[0:1], v0 offset1:13
	v_add_u32_e32 v2, 0xc0, v2
	ds_read2st64_b32 v[2:3], v2 offset1:13
	s_addc_u32 s5, s71, s5
	s_lshl_b32 s2, s55, 6
	s_waitcnt lgkmcnt(1)
	v_cvt_f32_f16_e32 v4, v0
	v_cvt_f32_f16_sdwa v5, v0 dst_sel:DWORD dst_unused:UNUSED_PAD src0_sel:WORD_1
	s_lshl_b64 s[2:3], s[2:3], 3
	s_add_u32 s2, s6, s2
	s_addc_u32 s3, s5, s3
	s_waitcnt lgkmcnt(0)
	v_pk_fma_f32 v[4:5], v[2:3], v[4:5], 0 op_sel_hi:[0,1,0]
	v_add_u32_e32 v2, 4, v12
	v_lshlrev_b32_e32 v6, 1, v2
	v_and_b32_e32 v2, 15, v2
	s_movk_i32 s5, 0x1fe0
	v_and_or_b32 v2, v6, s5, v2
	v_mad_u32_u24 v8, v2, s4, 0
	v_add_u32_e32 v2, v8, v15
	ds_read2st64_b32 v[6:7], v2 offset1:13
	v_cvt_f32_f16_e32 v0, v1
	v_cvt_f32_f16_sdwa v1, v1 dst_sel:DWORD dst_unused:UNUSED_PAD src0_sel:WORD_1
	v_mov_b32_e32 v2, v3
	v_add_u32_e32 v3, 0xc0, v8
	ds_read2st64_b32 v[8:9], v3 offset1:13
	s_waitcnt lgkmcnt(1)
	v_cvt_f32_f16_e32 v10, v6
	v_cvt_f32_f16_sdwa v11, v6 dst_sel:DWORD dst_unused:UNUSED_PAD src0_sel:WORD_1
	v_pk_fma_f32 v[0:1], v[2:3], v[0:1], v[4:5] op_sel_hi:[0,1,1]
	v_add_u32_e32 v3, 8, v12
	v_mul_u32_u24_e32 v16, 48, v12
	v_lshlrev_b32_e32 v4, 1, v3
	v_and_b32_e32 v3, 15, v3
	v_add_lshl_u32 v16, v16, v28, 3
	v_and_or_b32 v3, v4, s5, v3
	global_store_dwordx2 v16, v[0:1], s[2:3]
	s_waitcnt lgkmcnt(0)
	v_pk_fma_f32 v[0:1], v[8:9], v[10:11], 0 op_sel_hi:[0,1,0]
	v_mad_u32_u24 v8, v3, s4, 0
	v_add_u32_e32 v3, v8, v15
	ds_read2st64_b32 v[4:5], v3 offset1:13
	v_cvt_f32_f16_e32 v2, v7
	v_cvt_f32_f16_sdwa v3, v7 dst_sel:DWORD dst_unused:UNUSED_PAD src0_sel:WORD_1
	v_add_u32_e32 v7, 0xc0, v8
	v_mov_b32_e32 v6, v9
	ds_read2st64_b32 v[8:9], v7 offset1:13
	s_waitcnt lgkmcnt(1)
	v_cvt_f32_f16_e32 v10, v4
	v_cvt_f32_f16_sdwa v11, v4 dst_sel:DWORD dst_unused:UNUSED_PAD src0_sel:WORD_1
	v_pk_fma_f32 v[0:1], v[6:7], v[2:3], v[0:1] op_sel_hi:[0,1,1]
	v_add_u32_e32 v3, 12, v12
	v_lshlrev_b32_e32 v4, 1, v3
	v_and_b32_e32 v3, 15, v3
	v_and_or_b32 v3, v4, s5, v3
	global_store_dwordx2 v16, v[0:1], s[2:3] offset:1536
	s_waitcnt lgkmcnt(0)
	v_pk_fma_f32 v[0:1], v[8:9], v[10:11], 0 op_sel_hi:[0,1,0]
	v_mad_u32_u24 v8, v3, s4, 0
	v_add_u32_e32 v3, v8, v15
	ds_read2st64_b32 v[6:7], v3 offset1:13
	v_cvt_f32_f16_e32 v2, v5
	v_cvt_f32_f16_sdwa v3, v5 dst_sel:DWORD dst_unused:UNUSED_PAD src0_sel:WORD_1
	v_add_u32_e32 v5, 0xc0, v8
	v_mov_b32_e32 v4, v9
	ds_read2st64_b32 v[8:9], v5 offset1:13
	s_waitcnt lgkmcnt(1)
	v_cvt_f32_f16_e32 v10, v6
	v_cvt_f32_f16_sdwa v11, v6 dst_sel:DWORD dst_unused:UNUSED_PAD src0_sel:WORD_1
	v_pk_fma_f32 v[0:1], v[4:5], v[2:3], v[0:1] op_sel_hi:[0,1,1]
	v_add_u32_e32 v3, 32, v13
	v_add_u32_e32 v17, 0xc00, v16
	v_and_or_b32 v3, v3, s5, v14
	global_store_dwordx2 v17, v[0:1], s[2:3]
	s_waitcnt lgkmcnt(0)
	v_pk_fma_f32 v[0:1], v[8:9], v[10:11], 0 op_sel_hi:[0,1,0]
	v_mad_u32_u24 v8, v3, s4, 0
	v_add_u32_e32 v3, v8, v15
	ds_read2st64_b32 v[4:5], v3 offset1:13
	v_cvt_f32_f16_e32 v2, v7
	v_cvt_f32_f16_sdwa v3, v7 dst_sel:DWORD dst_unused:UNUSED_PAD src0_sel:WORD_1
	v_add_u32_e32 v7, 0xc0, v8
	v_mov_b32_e32 v6, v9
	ds_read2st64_b32 v[8:9], v7 offset1:13
	s_waitcnt lgkmcnt(1)
	v_cvt_f32_f16_e32 v10, v4
	v_cvt_f32_f16_sdwa v11, v4 dst_sel:DWORD dst_unused:UNUSED_PAD src0_sel:WORD_1
	v_pk_fma_f32 v[0:1], v[6:7], v[2:3], v[0:1] op_sel_hi:[0,1,1]
	v_add_u32_e32 v3, 20, v12
	v_lshlrev_b32_e32 v4, 1, v3
	v_and_b32_e32 v3, 15, v3
	v_add_u32_e32 v17, 0x1200, v16
	v_and_or_b32 v3, v4, s5, v3
	global_store_dwordx2 v17, v[0:1], s[2:3]
	s_waitcnt lgkmcnt(0)
	v_pk_fma_f32 v[0:1], v[8:9], v[10:11], 0 op_sel_hi:[0,1,0]
	v_mad_u32_u24 v8, v3, s4, 0
	v_add_u32_e32 v3, v8, v15
	ds_read2st64_b32 v[6:7], v3 offset1:13
	v_cvt_f32_f16_e32 v2, v5
	v_cvt_f32_f16_sdwa v3, v5 dst_sel:DWORD dst_unused:UNUSED_PAD src0_sel:WORD_1
	v_add_u32_e32 v5, 0xc0, v8
	v_mov_b32_e32 v4, v9
	ds_read2st64_b32 v[8:9], v5 offset1:13
	s_waitcnt lgkmcnt(1)
	v_cvt_f32_f16_e32 v10, v6
	v_cvt_f32_f16_sdwa v11, v6 dst_sel:DWORD dst_unused:UNUSED_PAD src0_sel:WORD_1
	v_pk_fma_f32 v[0:1], v[4:5], v[2:3], v[0:1] op_sel_hi:[0,1,1]
	v_add_u32_e32 v3, 24, v12
	v_lshlrev_b32_e32 v4, 1, v3
	v_and_b32_e32 v3, 15, v3
	;; [unrolled: 20-line block ×3, first 2 shown]
	v_add_u32_e32 v13, 0x1e00, v16
	v_and_or_b32 v3, v4, s5, v3
	global_store_dwordx2 v13, v[0:1], s[2:3]
	s_waitcnt lgkmcnt(0)
	v_pk_fma_f32 v[0:1], v[8:9], v[10:11], 0 op_sel_hi:[0,1,0]
	v_mad_u32_u24 v8, v3, s4, 0
	v_add_u32_e32 v3, v8, v15
	ds_read2st64_b32 v[6:7], v3 offset1:13
	v_cvt_f32_f16_e32 v2, v5
	v_cvt_f32_f16_sdwa v3, v5 dst_sel:DWORD dst_unused:UNUSED_PAD src0_sel:WORD_1
	v_add_u32_e32 v5, 0xc0, v8
	v_mov_b32_e32 v4, v9
	ds_read2st64_b32 v[8:9], v5 offset1:13
	s_waitcnt lgkmcnt(1)
	v_cvt_f32_f16_e32 v10, v6
	v_cvt_f32_f16_sdwa v11, v6 dst_sel:DWORD dst_unused:UNUSED_PAD src0_sel:WORD_1
	v_add_u32_e32 v13, 0x2400, v16
	v_pk_fma_f32 v[0:1], v[4:5], v[2:3], v[0:1] op_sel_hi:[0,1,1]
	v_add_u32_e32 v12, v29, v100
	global_store_dwordx2 v13, v[0:1], s[2:3]
	v_lshlrev_b32_e32 v13, 1, v12
	v_and_b32_e32 v14, 15, v12
	v_and_or_b32 v6, v13, s5, v14
	s_waitcnt lgkmcnt(0)
	v_pk_fma_f32 v[0:1], v[8:9], v[10:11], 0 op_sel_hi:[0,1,0]
	v_mad_u32_u24 v8, v6, s4, 0
	v_lshlrev_b32_e32 v15, 2, v26
	v_cvt_f32_f16_e32 v2, v7
	v_cvt_f32_f16_sdwa v3, v7 dst_sel:DWORD dst_unused:UNUSED_PAD src0_sel:WORD_1
	v_add_u32_e32 v6, v8, v15
	v_add_u32_e32 v6, 0x80, v6
	ds_read2st64_b32 v[6:7], v6 offset1:13
	v_add_u32_e32 v5, 0x2a00, v16
	v_mov_b32_e32 v4, v9
	v_pk_fma_f32 v[0:1], v[4:5], v[2:3], v[0:1] op_sel_hi:[0,1,1]
	global_store_dwordx2 v5, v[0:1], s[2:3]
	v_add_u32_e32 v0, 0xc0, v8
	ds_read2st64_b32 v[0:1], v0 offset1:13
	s_waitcnt lgkmcnt(1)
	v_cvt_f32_f16_e32 v2, v6
	v_cvt_f32_f16_sdwa v3, v6 dst_sel:DWORD dst_unused:UNUSED_PAD src0_sel:WORD_1
	s_movk_i32 s5, 0x3fe0
	v_mul_u32_u24_e32 v4, 48, v12
	v_or_b32_e32 v4, v4, v26
	s_waitcnt lgkmcnt(0)
	v_pk_fma_f32 v[2:3], v[0:1], v[2:3], 0 op_sel_hi:[0,1,0]
	v_add_u32_e32 v0, 8, v12
	v_lshlrev_b32_e32 v5, 1, v0
	v_and_b32_e32 v0, 15, v0
	v_and_or_b32 v0, v5, s5, v0
	v_mad_u32_u24 v6, v0, s4, 0
	v_add_u32_e32 v0, v6, v15
	v_lshlrev_b32_e32 v16, 3, v4
	v_cvt_f32_f16_e32 v4, v7
	v_add_u32_e32 v0, 0x80, v0
	v_cvt_f32_f16_sdwa v5, v7 dst_sel:DWORD dst_unused:UNUSED_PAD src0_sel:WORD_1
	ds_read2st64_b32 v[8:9], v0 offset1:13
	v_mov_b32_e32 v0, v1
	v_add_u32_e32 v1, 0xc0, v6
	ds_read2st64_b32 v[6:7], v1 offset1:13
	v_pk_fma_f32 v[0:1], v[0:1], v[4:5], v[2:3] op_sel_hi:[0,1,1]
	v_add_u32_e32 v3, 32, v13
	v_and_or_b32 v3, v3, s5, v14
	s_waitcnt lgkmcnt(1)
	v_cvt_f32_f16_e32 v10, v8
	v_cvt_f32_f16_sdwa v11, v8 dst_sel:DWORD dst_unused:UNUSED_PAD src0_sel:WORD_1
	v_mad_u32_u24 v8, v3, s4, 0
	v_add_u32_e32 v3, v8, v15
	v_add_u32_e32 v3, 0x80, v3
	ds_read2st64_b32 v[4:5], v3 offset1:13
	v_cvt_f32_f16_e32 v2, v9
	v_cvt_f32_f16_sdwa v3, v9 dst_sel:DWORD dst_unused:UNUSED_PAD src0_sel:WORD_1
	global_store_dwordx2 v16, v[0:1], s[2:3] offset:256
	s_waitcnt lgkmcnt(1)
	v_pk_fma_f32 v[0:1], v[6:7], v[10:11], 0 op_sel_hi:[0,1,0]
	v_mov_b32_e32 v6, v7
	v_add_u32_e32 v7, 0xc0, v8
	v_pk_fma_f32 v[0:1], v[6:7], v[2:3], v[0:1] op_sel_hi:[0,1,1]
	s_waitcnt lgkmcnt(0)
	v_cvt_f32_f16_e32 v2, v5
	v_cvt_f32_f16_sdwa v3, v5 dst_sel:DWORD dst_unused:UNUSED_PAD src0_sel:WORD_1
	v_add_u32_e32 v5, 24, v12
	v_lshlrev_b32_e32 v6, 1, v5
	v_and_b32_e32 v5, 15, v5
	ds_read2st64_b32 v[8:9], v7 offset1:13
	v_and_or_b32 v5, v6, s5, v5
	v_cvt_f32_f16_e32 v10, v4
	v_cvt_f32_f16_sdwa v11, v4 dst_sel:DWORD dst_unused:UNUSED_PAD src0_sel:WORD_1
	v_mad_u32_u24 v5, v5, s4, 0
	v_add_u32_e32 v6, v5, v15
	v_add_u32_e32 v6, 0x80, v6
	;; [unrolled: 1-line block ×3, first 2 shown]
	ds_read2st64_b32 v[6:7], v6 offset1:13
	global_store_dwordx2 v17, v[0:1], s[2:3] offset:256
	s_waitcnt lgkmcnt(1)
	v_pk_fma_f32 v[0:1], v[8:9], v[10:11], 0 op_sel_hi:[0,1,0]
	v_mov_b32_e32 v4, v9
	v_add_u32_e32 v13, 0x1800, v16
	v_pk_fma_f32 v[0:1], v[4:5], v[2:3], v[0:1] op_sel_hi:[0,1,1]
	global_store_dwordx2 v13, v[0:1], s[2:3] offset:256
	v_add_u32_e32 v0, 0xc0, v5
	ds_read2st64_b32 v[0:1], v0 offset1:13
	s_waitcnt lgkmcnt(1)
	v_cvt_f32_f16_e32 v2, v6
	v_cvt_f32_f16_sdwa v3, v6 dst_sel:DWORD dst_unused:UNUSED_PAD src0_sel:WORD_1
	v_cvt_f32_f16_e32 v4, v7
	v_cvt_f32_f16_sdwa v5, v7 dst_sel:DWORD dst_unused:UNUSED_PAD src0_sel:WORD_1
	v_add_u32_e32 v6, 0x2400, v16
	s_waitcnt lgkmcnt(0)
	v_pk_fma_f32 v[2:3], v[0:1], v[2:3], 0 op_sel_hi:[0,1,0]
	v_mov_b32_e32 v0, v1
	v_pk_fma_f32 v[0:1], v[0:1], v[4:5], v[2:3] op_sel_hi:[0,1,1]
	global_store_dwordx2 v6, v[0:1], s[2:3] offset:256
.LBB14_331:
	s_or_b64 exec, exec, s[0:1]
	s_barrier
	s_endpgm
.LBB14_332:
                                        ; implicit-def: $vgpr4_vgpr5_vgpr6_vgpr7
                                        ; implicit-def: $vgpr0_vgpr1_vgpr2_vgpr3
                                        ; implicit-def: $vgpr32
                                        ; implicit-def: $vgpr25
	v_add_u32_e32 v35, 0x80, v19
	v_add_u32_e32 v34, 0x1a00, v21
	s_branch .LBB14_318
	.section	.rodata,"a",@progbits
	.p2align	6, 0x0
	.amdhsa_kernel _ZL18flash_attn_ext_f16ILi96ELi96ELi32ELi1ELb0ELb0EEvPKcS1_S1_S1_S1_PKiPfP15HIP_vector_typeIfLj2EEffffjfiS5_IjLj3EEiiiiiiiiiiiliiliiiiil
		.amdhsa_group_segment_fixed_size 0
		.amdhsa_private_segment_fixed_size 32
		.amdhsa_kernarg_size 464
		.amdhsa_user_sgpr_count 2
		.amdhsa_user_sgpr_dispatch_ptr 0
		.amdhsa_user_sgpr_queue_ptr 0
		.amdhsa_user_sgpr_kernarg_segment_ptr 1
		.amdhsa_user_sgpr_dispatch_id 0
		.amdhsa_user_sgpr_kernarg_preload_length 0
		.amdhsa_user_sgpr_kernarg_preload_offset 0
		.amdhsa_user_sgpr_private_segment_size 0
		.amdhsa_uses_dynamic_stack 0
		.amdhsa_enable_private_segment 1
		.amdhsa_system_sgpr_workgroup_id_x 1
		.amdhsa_system_sgpr_workgroup_id_y 0
		.amdhsa_system_sgpr_workgroup_id_z 0
		.amdhsa_system_sgpr_workgroup_info 0
		.amdhsa_system_vgpr_workitem_id 1
		.amdhsa_next_free_vgpr 239
		.amdhsa_next_free_sgpr 100
		.amdhsa_accum_offset 240
		.amdhsa_reserve_vcc 1
		.amdhsa_float_round_mode_32 0
		.amdhsa_float_round_mode_16_64 0
		.amdhsa_float_denorm_mode_32 3
		.amdhsa_float_denorm_mode_16_64 3
		.amdhsa_dx10_clamp 1
		.amdhsa_ieee_mode 1
		.amdhsa_fp16_overflow 0
		.amdhsa_tg_split 0
		.amdhsa_exception_fp_ieee_invalid_op 0
		.amdhsa_exception_fp_denorm_src 0
		.amdhsa_exception_fp_ieee_div_zero 0
		.amdhsa_exception_fp_ieee_overflow 0
		.amdhsa_exception_fp_ieee_underflow 0
		.amdhsa_exception_fp_ieee_inexact 0
		.amdhsa_exception_int_div_zero 0
	.end_amdhsa_kernel
	.section	.text._ZL18flash_attn_ext_f16ILi96ELi96ELi32ELi1ELb0ELb0EEvPKcS1_S1_S1_S1_PKiPfP15HIP_vector_typeIfLj2EEffffjfiS5_IjLj3EEiiiiiiiiiiiliiliiiiil,"axG",@progbits,_ZL18flash_attn_ext_f16ILi96ELi96ELi32ELi1ELb0ELb0EEvPKcS1_S1_S1_S1_PKiPfP15HIP_vector_typeIfLj2EEffffjfiS5_IjLj3EEiiiiiiiiiiiliiliiiiil,comdat
.Lfunc_end14:
	.size	_ZL18flash_attn_ext_f16ILi96ELi96ELi32ELi1ELb0ELb0EEvPKcS1_S1_S1_S1_PKiPfP15HIP_vector_typeIfLj2EEffffjfiS5_IjLj3EEiiiiiiiiiiiliiliiiiil, .Lfunc_end14-_ZL18flash_attn_ext_f16ILi96ELi96ELi32ELi1ELb0ELb0EEvPKcS1_S1_S1_S1_PKiPfP15HIP_vector_typeIfLj2EEffffjfiS5_IjLj3EEiiiiiiiiiiiliiliiiiil
                                        ; -- End function
	.section	.AMDGPU.csdata,"",@progbits
; Kernel info:
; codeLenInByte = 48824
; NumSgprs: 106
; NumVgprs: 239
; NumAgprs: 0
; TotalNumVgprs: 239
; ScratchSize: 32
; MemoryBound: 0
; FloatMode: 240
; IeeeMode: 1
; LDSByteSize: 0 bytes/workgroup (compile time only)
; SGPRBlocks: 13
; VGPRBlocks: 29
; NumSGPRsForWavesPerEU: 106
; NumVGPRsForWavesPerEU: 239
; AccumOffset: 240
; Occupancy: 2
; WaveLimiterHint : 1
; COMPUTE_PGM_RSRC2:SCRATCH_EN: 1
; COMPUTE_PGM_RSRC2:USER_SGPR: 2
; COMPUTE_PGM_RSRC2:TRAP_HANDLER: 0
; COMPUTE_PGM_RSRC2:TGID_X_EN: 1
; COMPUTE_PGM_RSRC2:TGID_Y_EN: 0
; COMPUTE_PGM_RSRC2:TGID_Z_EN: 0
; COMPUTE_PGM_RSRC2:TIDIG_COMP_CNT: 1
; COMPUTE_PGM_RSRC3_GFX90A:ACCUM_OFFSET: 59
; COMPUTE_PGM_RSRC3_GFX90A:TG_SPLIT: 0
	.section	.text._ZL18flash_attn_ext_f16ILi96ELi96ELi32ELi1ELb1ELb0EEvPKcS1_S1_S1_S1_PKiPfP15HIP_vector_typeIfLj2EEffffjfiS5_IjLj3EEiiiiiiiiiiiliiliiiiil,"axG",@progbits,_ZL18flash_attn_ext_f16ILi96ELi96ELi32ELi1ELb1ELb0EEvPKcS1_S1_S1_S1_PKiPfP15HIP_vector_typeIfLj2EEffffjfiS5_IjLj3EEiiiiiiiiiiiliiliiiiil,comdat
	.globl	_ZL18flash_attn_ext_f16ILi96ELi96ELi32ELi1ELb1ELb0EEvPKcS1_S1_S1_S1_PKiPfP15HIP_vector_typeIfLj2EEffffjfiS5_IjLj3EEiiiiiiiiiiiliiliiiiil ; -- Begin function _ZL18flash_attn_ext_f16ILi96ELi96ELi32ELi1ELb1ELb0EEvPKcS1_S1_S1_S1_PKiPfP15HIP_vector_typeIfLj2EEffffjfiS5_IjLj3EEiiiiiiiiiiiliiliiiiil
	.p2align	8
	.type	_ZL18flash_attn_ext_f16ILi96ELi96ELi32ELi1ELb1ELb0EEvPKcS1_S1_S1_S1_PKiPfP15HIP_vector_typeIfLj2EEffffjfiS5_IjLj3EEiiiiiiiiiiiliiliiiiil,@function
_ZL18flash_attn_ext_f16ILi96ELi96ELi32ELi1ELb1ELb0EEvPKcS1_S1_S1_S1_PKiPfP15HIP_vector_typeIfLj2EEffffjfiS5_IjLj3EEiiiiiiiiiiiliiliiiiil: ; @_ZL18flash_attn_ext_f16ILi96ELi96ELi32ELi1ELb1ELb0EEvPKcS1_S1_S1_S1_PKiPfP15HIP_vector_typeIfLj2EEffffjfiS5_IjLj3EEiiiiiiiiiiiliiliiiiil
; %bb.0:
	s_add_u32 s8, s0, 0xd0
	s_addc_u32 s9, s1, 0
	s_mov_b32 s32, 0
	s_getpc_b64 s[0:1]
	s_add_u32 s0, s0, _ZL14no_device_codePKciS0_iS0_@rel32@lo+4
	s_addc_u32 s1, s1, _ZL14no_device_codePKciS0_iS0_@rel32@hi+12
	s_swappc_b64 s[30:31], s[0:1]
	.section	.rodata,"a",@progbits
	.p2align	6, 0x0
	.amdhsa_kernel _ZL18flash_attn_ext_f16ILi96ELi96ELi32ELi1ELb1ELb0EEvPKcS1_S1_S1_S1_PKiPfP15HIP_vector_typeIfLj2EEffffjfiS5_IjLj3EEiiiiiiiiiiiliiliiiiil
		.amdhsa_group_segment_fixed_size 0
		.amdhsa_private_segment_fixed_size 16
		.amdhsa_kernarg_size 464
		.amdhsa_user_sgpr_count 2
		.amdhsa_user_sgpr_dispatch_ptr 0
		.amdhsa_user_sgpr_queue_ptr 0
		.amdhsa_user_sgpr_kernarg_segment_ptr 1
		.amdhsa_user_sgpr_dispatch_id 0
		.amdhsa_user_sgpr_kernarg_preload_length 0
		.amdhsa_user_sgpr_kernarg_preload_offset 0
		.amdhsa_user_sgpr_private_segment_size 0
		.amdhsa_uses_dynamic_stack 0
		.amdhsa_enable_private_segment 1
		.amdhsa_system_sgpr_workgroup_id_x 1
		.amdhsa_system_sgpr_workgroup_id_y 0
		.amdhsa_system_sgpr_workgroup_id_z 0
		.amdhsa_system_sgpr_workgroup_info 0
		.amdhsa_system_vgpr_workitem_id 0
		.amdhsa_next_free_vgpr 39
		.amdhsa_next_free_sgpr 34
		.amdhsa_accum_offset 40
		.amdhsa_reserve_vcc 1
		.amdhsa_float_round_mode_32 0
		.amdhsa_float_round_mode_16_64 0
		.amdhsa_float_denorm_mode_32 3
		.amdhsa_float_denorm_mode_16_64 3
		.amdhsa_dx10_clamp 1
		.amdhsa_ieee_mode 1
		.amdhsa_fp16_overflow 0
		.amdhsa_tg_split 0
		.amdhsa_exception_fp_ieee_invalid_op 0
		.amdhsa_exception_fp_denorm_src 0
		.amdhsa_exception_fp_ieee_div_zero 0
		.amdhsa_exception_fp_ieee_overflow 0
		.amdhsa_exception_fp_ieee_underflow 0
		.amdhsa_exception_fp_ieee_inexact 0
		.amdhsa_exception_int_div_zero 0
	.end_amdhsa_kernel
	.section	.text._ZL18flash_attn_ext_f16ILi96ELi96ELi32ELi1ELb1ELb0EEvPKcS1_S1_S1_S1_PKiPfP15HIP_vector_typeIfLj2EEffffjfiS5_IjLj3EEiiiiiiiiiiiliiliiiiil,"axG",@progbits,_ZL18flash_attn_ext_f16ILi96ELi96ELi32ELi1ELb1ELb0EEvPKcS1_S1_S1_S1_PKiPfP15HIP_vector_typeIfLj2EEffffjfiS5_IjLj3EEiiiiiiiiiiiliiliiiiil,comdat
.Lfunc_end15:
	.size	_ZL18flash_attn_ext_f16ILi96ELi96ELi32ELi1ELb1ELb0EEvPKcS1_S1_S1_S1_PKiPfP15HIP_vector_typeIfLj2EEffffjfiS5_IjLj3EEiiiiiiiiiiiliiliiiiil, .Lfunc_end15-_ZL18flash_attn_ext_f16ILi96ELi96ELi32ELi1ELb1ELb0EEvPKcS1_S1_S1_S1_PKiPfP15HIP_vector_typeIfLj2EEffffjfiS5_IjLj3EEiiiiiiiiiiiliiliiiiil
                                        ; -- End function
	.section	.AMDGPU.csdata,"",@progbits
; Kernel info:
; codeLenInByte = 40
; NumSgprs: 40
; NumVgprs: 39
; NumAgprs: 0
; TotalNumVgprs: 39
; ScratchSize: 16
; MemoryBound: 0
; FloatMode: 240
; IeeeMode: 1
; LDSByteSize: 0 bytes/workgroup (compile time only)
; SGPRBlocks: 4
; VGPRBlocks: 4
; NumSGPRsForWavesPerEU: 40
; NumVGPRsForWavesPerEU: 39
; AccumOffset: 40
; Occupancy: 8
; WaveLimiterHint : 1
; COMPUTE_PGM_RSRC2:SCRATCH_EN: 1
; COMPUTE_PGM_RSRC2:USER_SGPR: 2
; COMPUTE_PGM_RSRC2:TRAP_HANDLER: 0
; COMPUTE_PGM_RSRC2:TGID_X_EN: 1
; COMPUTE_PGM_RSRC2:TGID_Y_EN: 0
; COMPUTE_PGM_RSRC2:TGID_Z_EN: 0
; COMPUTE_PGM_RSRC2:TIDIG_COMP_CNT: 0
; COMPUTE_PGM_RSRC3_GFX90A:ACCUM_OFFSET: 9
; COMPUTE_PGM_RSRC3_GFX90A:TG_SPLIT: 0
	.section	.text._ZL33flash_attn_stream_k_fixup_uniformILi96ELi32ELi1EEvPfPK15HIP_vector_typeIfLj2EEiiiiiiS1_IjLj3EES5_S5_,"axG",@progbits,_ZL33flash_attn_stream_k_fixup_uniformILi96ELi32ELi1EEvPfPK15HIP_vector_typeIfLj2EEiiiiiiS1_IjLj3EES5_S5_,comdat
	.globl	_ZL33flash_attn_stream_k_fixup_uniformILi96ELi32ELi1EEvPfPK15HIP_vector_typeIfLj2EEiiiiiiS1_IjLj3EES5_S5_ ; -- Begin function _ZL33flash_attn_stream_k_fixup_uniformILi96ELi32ELi1EEvPfPK15HIP_vector_typeIfLj2EEiiiiiiS1_IjLj3EES5_S5_
	.p2align	8
	.type	_ZL33flash_attn_stream_k_fixup_uniformILi96ELi32ELi1EEvPfPK15HIP_vector_typeIfLj2EEiiiiiiS1_IjLj3EES5_S5_,@function
_ZL33flash_attn_stream_k_fixup_uniformILi96ELi32ELi1EEvPfPK15HIP_vector_typeIfLj2EEiiiiiiS1_IjLj3EES5_S5_: ; @_ZL33flash_attn_stream_k_fixup_uniformILi96ELi32ELi1EEvPfPK15HIP_vector_typeIfLj2EEiiiiiiS1_IjLj3EES5_S5_
; %bb.0:
	s_load_dwordx8 s[8:15], s[0:1], 0x1c
	s_load_dwordx2 s[6:7], s[0:1], 0x10
	s_load_dwordx4 s[16:19], s[0:1], 0x3c
	s_waitcnt lgkmcnt(0)
	s_mul_hi_u32 s5, s11, s2
	s_add_i32 s5, s2, s5
	s_lshr_b32 s5, s5, s12
	s_mul_i32 s11, s5, s13
	s_sub_i32 s12, s2, s11
	s_mul_hi_u32 s11, s12, s14
	s_add_i32 s11, s12, s11
	s_lshr_b32 s11, s11, s15
	s_mul_i32 s13, s11, s16
	s_sub_i32 s12, s12, s13
	;; [unrolled: 5-line block ×3, first 2 shown]
	s_lshl_b32 s12, s17, 5
	s_add_i32 s12, s12, s3
	s_cmp_lt_i32 s12, s6
	s_cselect_b64 s[12:13], -1, 0
	s_add_i32 s16, s16, s4
	s_cmp_lt_i32 s16, s9
	s_cselect_b64 s[14:15], -1, 0
	s_and_b64 s[12:13], s[12:13], s[14:15]
	s_andn2_b64 vcc, exec, s[12:13]
	s_cbranch_vccnz .LBB16_6
; %bb.1:
	s_load_dwordx4 s[12:15], s[0:1], 0x0
	s_mul_i32 s0, s5, s6
	s_mul_i32 s11, s11, s9
	s_add_i32 s0, s0, s3
	s_mul_i32 s1, s7, s17
	s_mul_i32 s0, s0, s7
	s_add_i32 s5, s16, s11
	s_mulk_i32 s1, 0xc00
	s_add_i32 s0, s5, s0
	s_mulk_i32 s0, 0x60
	v_or_b32_e32 v1, s1, v0
	v_add_u32_e32 v4, s0, v1
	s_waitcnt lgkmcnt(0)
	v_mov_b32_e32 v2, s12
	v_mov_b32_e32 v3, s13
	v_ashrrev_i32_e32 v5, 31, v4
	v_lshl_add_u64 v[2:3], v[4:5], 2, v[2:3]
	global_load_dword v7, v[2:3], off
	s_mul_i32 s6, s2, s10
	s_add_i32 s7, s6, s10
	s_add_i32 s3, s3, s4
	s_lshl_b32 s0, s7, 5
	s_add_i32 s0, s3, s0
	s_sub_i32 s0, s0, 32
	s_ashr_i32 s1, s0, 31
	s_lshl_b64 s[0:1], s[0:1], 3
	s_add_u32 s0, s14, s0
	s_addc_u32 s1, s15, s1
	s_load_dword s9, s[0:1], 0x4
	s_add_i32 s4, s7, -2
	s_cmp_lt_i32 s4, s6
	s_cbranch_scc1 .LBB16_4
; %bb.2:
	s_lshl_b32 s4, s8, 7
	s_ashr_i32 s5, s4, 31
	s_lshl_b64 s[4:5], s[4:5], 2
	s_add_u32 s4, s14, s4
	s_addc_u32 s5, s15, s5
	s_load_dword s0, s[0:1], 0x0
	s_add_i32 s2, s2, 1
	s_mul_i32 s10, s10, s2
	s_mul_i32 s1, s3, 0x60
	s_lshl_b32 s2, s10, 5
	s_mulk_i32 s10, 0xc00
	s_add_i32 s2, s3, s2
	s_lshl_b32 s3, s8, 5
	s_add_i32 s1, s1, s10
	s_add_i32 s2, s2, s3
	v_add_u32_e32 v0, s1, v0
	s_add_i32 s7, s7, -1
	s_sub_i32 s2, s2, 64
	v_add_u32_e32 v0, 0xffffe800, v0
	s_waitcnt lgkmcnt(0)
	v_mov_b32_e32 v6, s9
	v_mov_b32_e32 v5, s0
	s_mov_b32 s8, 0x3fb8aa3b
	s_mov_b32 s9, 0xc2ce8ed0
	;; [unrolled: 1-line block ×3, first 2 shown]
	v_mov_b32_e32 v4, 0x7f800000
	s_mov_b32 s11, 0xc1a00000
.LBB16_3:                               ; =>This Inner Loop Header: Depth=1
	v_ashrrev_i32_e32 v1, 31, v0
	v_lshl_add_u64 v[8:9], v[0:1], 2, s[4:5]
	global_load_dword v1, v[8:9], off
	s_ashr_i32 s3, s2, 31
	s_lshl_b64 s[0:1], s[2:3], 3
	s_add_u32 s0, s14, s0
	s_addc_u32 s1, s15, s1
	s_load_dwordx2 s[12:13], s[0:1], 0x0
	s_waitcnt vmcnt(1)
	v_mov_b32_e32 v8, v7
	v_max_f32_e32 v7, v5, v5
	v_mov_b32_e32 v9, v6
	s_add_i32 s7, s7, -1
	s_waitcnt lgkmcnt(0)
	v_max_f32_e64 v6, s12, s12
	v_max_f32_e32 v6, v7, v6
	v_sub_f32_e32 v10, s12, v6
	v_sub_f32_e32 v7, v5, v6
	v_mul_f32_e32 v11, 0x3fb8aa3b, v10
	v_mov_b32_e32 v5, v6
	v_mul_f32_e32 v6, 0x3fb8aa3b, v7
	v_fma_f32 v14, v10, s8, -v11
	v_rndne_f32_e32 v15, v11
	v_fma_f32 v12, v7, s8, -v6
	v_rndne_f32_e32 v13, v6
	v_fmac_f32_e32 v14, 0x32a5705f, v10
	v_sub_f32_e32 v11, v11, v15
	v_fmac_f32_e32 v12, 0x32a5705f, v7
	v_sub_f32_e32 v6, v6, v13
	v_add_f32_e32 v11, v11, v14
	v_cvt_i32_f32_e32 v15, v15
	v_add_f32_e32 v6, v6, v12
	v_exp_f32_e32 v11, v11
	v_cvt_i32_f32_e32 v13, v13
	v_exp_f32_e32 v6, v6
	v_cmp_ngt_f32_e32 vcc, s9, v10
	v_ldexp_f32 v11, v11, v15
	v_cmp_ngt_f32_e64 s[0:1], s9, v7
	v_ldexp_f32 v6, v6, v13
	v_cndmask_b32_e32 v11, 0, v11, vcc
	v_cmp_nlt_f32_e32 vcc, s10, v10
	v_cndmask_b32_e64 v6, 0, v6, s[0:1]
	v_cmp_nlt_f32_e64 s[0:1], s10, v7
	v_cndmask_b32_e32 v11, v4, v11, vcc
	v_cmp_le_f32_e32 vcc, s11, v10
	v_cndmask_b32_e64 v6, v4, v6, s[0:1]
	v_cmp_le_f32_e64 s[0:1], s11, v7
	v_cndmask_b32_e32 v7, 0, v11, vcc
	s_sub_i32 s2, s2, 32
	v_cndmask_b32_e64 v10, 0, v6, s[0:1]
	v_mul_f32_e32 v6, s13, v7
	v_add_u32_e32 v0, 0xfffff400, v0
	s_cmp_le_i32 s7, s6
	v_fmac_f32_e32 v6, v9, v10
	s_waitcnt vmcnt(0)
	v_mul_f32_e32 v7, v1, v7
	v_fmac_f32_e32 v7, v8, v10
	s_cbranch_scc0 .LBB16_3
	s_branch .LBB16_5
.LBB16_4:
	s_waitcnt lgkmcnt(0)
	v_mov_b32_e32 v6, s9
.LBB16_5:
	s_waitcnt vmcnt(0)
	v_div_scale_f32 v0, s[0:1], v6, v6, v7
	v_rcp_f32_e32 v1, v0
	v_div_scale_f32 v4, vcc, v7, v6, v7
	v_fma_f32 v5, -v0, v1, 1.0
	v_fmac_f32_e32 v1, v5, v1
	v_mul_f32_e32 v5, v4, v1
	v_fma_f32 v8, -v0, v5, v4
	v_fmac_f32_e32 v5, v8, v1
	v_fma_f32 v0, -v0, v5, v4
	v_div_fmas_f32 v0, v0, v1, v5
	v_div_fixup_f32 v0, v0, v6, v7
	global_store_dword v[2:3], v0, off
.LBB16_6:
	s_endpgm
	.section	.rodata,"a",@progbits
	.p2align	6, 0x0
	.amdhsa_kernel _ZL33flash_attn_stream_k_fixup_uniformILi96ELi32ELi1EEvPfPK15HIP_vector_typeIfLj2EEiiiiiiS1_IjLj3EES5_S5_
		.amdhsa_group_segment_fixed_size 0
		.amdhsa_private_segment_fixed_size 0
		.amdhsa_kernarg_size 76
		.amdhsa_user_sgpr_count 2
		.amdhsa_user_sgpr_dispatch_ptr 0
		.amdhsa_user_sgpr_queue_ptr 0
		.amdhsa_user_sgpr_kernarg_segment_ptr 1
		.amdhsa_user_sgpr_dispatch_id 0
		.amdhsa_user_sgpr_kernarg_preload_length 0
		.amdhsa_user_sgpr_kernarg_preload_offset 0
		.amdhsa_user_sgpr_private_segment_size 0
		.amdhsa_uses_dynamic_stack 0
		.amdhsa_enable_private_segment 0
		.amdhsa_system_sgpr_workgroup_id_x 1
		.amdhsa_system_sgpr_workgroup_id_y 1
		.amdhsa_system_sgpr_workgroup_id_z 1
		.amdhsa_system_sgpr_workgroup_info 0
		.amdhsa_system_vgpr_workitem_id 0
		.amdhsa_next_free_vgpr 16
		.amdhsa_next_free_sgpr 20
		.amdhsa_accum_offset 16
		.amdhsa_reserve_vcc 1
		.amdhsa_float_round_mode_32 0
		.amdhsa_float_round_mode_16_64 0
		.amdhsa_float_denorm_mode_32 3
		.amdhsa_float_denorm_mode_16_64 3
		.amdhsa_dx10_clamp 1
		.amdhsa_ieee_mode 1
		.amdhsa_fp16_overflow 0
		.amdhsa_tg_split 0
		.amdhsa_exception_fp_ieee_invalid_op 0
		.amdhsa_exception_fp_denorm_src 0
		.amdhsa_exception_fp_ieee_div_zero 0
		.amdhsa_exception_fp_ieee_overflow 0
		.amdhsa_exception_fp_ieee_underflow 0
		.amdhsa_exception_fp_ieee_inexact 0
		.amdhsa_exception_int_div_zero 0
	.end_amdhsa_kernel
	.section	.text._ZL33flash_attn_stream_k_fixup_uniformILi96ELi32ELi1EEvPfPK15HIP_vector_typeIfLj2EEiiiiiiS1_IjLj3EES5_S5_,"axG",@progbits,_ZL33flash_attn_stream_k_fixup_uniformILi96ELi32ELi1EEvPfPK15HIP_vector_typeIfLj2EEiiiiiiS1_IjLj3EES5_S5_,comdat
.Lfunc_end16:
	.size	_ZL33flash_attn_stream_k_fixup_uniformILi96ELi32ELi1EEvPfPK15HIP_vector_typeIfLj2EEiiiiiiS1_IjLj3EES5_S5_, .Lfunc_end16-_ZL33flash_attn_stream_k_fixup_uniformILi96ELi32ELi1EEvPfPK15HIP_vector_typeIfLj2EEiiiiiiS1_IjLj3EES5_S5_
                                        ; -- End function
	.section	.AMDGPU.csdata,"",@progbits
; Kernel info:
; codeLenInByte = 820
; NumSgprs: 26
; NumVgprs: 16
; NumAgprs: 0
; TotalNumVgprs: 16
; ScratchSize: 0
; MemoryBound: 0
; FloatMode: 240
; IeeeMode: 1
; LDSByteSize: 0 bytes/workgroup (compile time only)
; SGPRBlocks: 3
; VGPRBlocks: 1
; NumSGPRsForWavesPerEU: 26
; NumVGPRsForWavesPerEU: 16
; AccumOffset: 16
; Occupancy: 8
; WaveLimiterHint : 0
; COMPUTE_PGM_RSRC2:SCRATCH_EN: 0
; COMPUTE_PGM_RSRC2:USER_SGPR: 2
; COMPUTE_PGM_RSRC2:TRAP_HANDLER: 0
; COMPUTE_PGM_RSRC2:TGID_X_EN: 1
; COMPUTE_PGM_RSRC2:TGID_Y_EN: 1
; COMPUTE_PGM_RSRC2:TGID_Z_EN: 1
; COMPUTE_PGM_RSRC2:TIDIG_COMP_CNT: 0
; COMPUTE_PGM_RSRC3_GFX90A:ACCUM_OFFSET: 3
; COMPUTE_PGM_RSRC3_GFX90A:TG_SPLIT: 0
	.section	.text._ZL33flash_attn_stream_k_fixup_generalILi96ELi32ELi1EEvPfPK15HIP_vector_typeIfLj2EEiiiiS1_IjLj3EES5_S5_S5_,"axG",@progbits,_ZL33flash_attn_stream_k_fixup_generalILi96ELi32ELi1EEvPfPK15HIP_vector_typeIfLj2EEiiiiS1_IjLj3EES5_S5_S5_,comdat
	.globl	_ZL33flash_attn_stream_k_fixup_generalILi96ELi32ELi1EEvPfPK15HIP_vector_typeIfLj2EEiiiiS1_IjLj3EES5_S5_S5_ ; -- Begin function _ZL33flash_attn_stream_k_fixup_generalILi96ELi32ELi1EEvPfPK15HIP_vector_typeIfLj2EEiiiiS1_IjLj3EES5_S5_S5_
	.p2align	8
	.type	_ZL33flash_attn_stream_k_fixup_generalILi96ELi32ELi1EEvPfPK15HIP_vector_typeIfLj2EEiiiiS1_IjLj3EES5_S5_S5_,@function
_ZL33flash_attn_stream_k_fixup_generalILi96ELi32ELi1EEvPfPK15HIP_vector_typeIfLj2EEiiiiS1_IjLj3EES5_S5_S5_: ; @_ZL33flash_attn_stream_k_fixup_generalILi96ELi32ELi1EEvPfPK15HIP_vector_typeIfLj2EEiiiiS1_IjLj3EES5_S5_S5_
; %bb.0:
	s_load_dwordx4 s[12:15], s[0:1], 0x10
	s_load_dword s22, s[0:1], 0x50
	s_mov_b32 s8, 0
	s_waitcnt lgkmcnt(0)
	s_mul_hi_i32 s9, s15, s2
	s_cmp_lg_u64 s[8:9], 0
	s_mul_i32 s5, s15, s2
	s_cbranch_scc0 .LBB17_21
; %bb.1:
	v_cvt_f32_u32_e32 v1, s22
	v_cvt_f32_ubyte0_e32 v2, 0
	s_sub_u32 s8, 0, s22
	s_subb_u32 s10, 0, 0
	v_fmamk_f32 v1, v2, 0x4f800000, v1
	v_rcp_f32_e32 v1, v1
	s_nop 0
	v_mul_f32_e32 v1, 0x5f7ffffc, v1
	v_mul_f32_e32 v2, 0x2f800000, v1
	v_trunc_f32_e32 v2, v2
	v_fmamk_f32 v1, v2, 0xcf800000, v1
	v_cvt_u32_f32_e32 v2, v2
	v_cvt_u32_f32_e32 v1, v1
	v_readfirstlane_b32 s11, v2
	v_readfirstlane_b32 s16, v1
	s_mul_i32 s17, s8, s11
	s_mul_hi_u32 s19, s8, s16
	s_mul_i32 s18, s10, s16
	s_add_i32 s17, s19, s17
	s_add_i32 s17, s17, s18
	s_mul_i32 s20, s8, s16
	s_mul_hi_u32 s18, s16, s17
	s_mul_i32 s19, s16, s17
	s_mul_hi_u32 s16, s16, s20
	s_add_u32 s16, s16, s19
	s_addc_u32 s18, 0, s18
	s_mul_hi_u32 s21, s11, s20
	s_mul_i32 s20, s11, s20
	s_add_u32 s16, s16, s20
	s_mul_hi_u32 s19, s11, s17
	s_addc_u32 s16, s18, s21
	s_addc_u32 s18, s19, 0
	s_mul_i32 s17, s11, s17
	s_add_u32 s16, s16, s17
	s_addc_u32 s17, 0, s18
	v_add_co_u32_e32 v1, vcc, s16, v1
	s_cmp_lg_u64 vcc, 0
	s_addc_u32 s11, s11, s17
	v_readfirstlane_b32 s17, v1
	s_mul_i32 s16, s8, s11
	s_mul_hi_u32 s18, s8, s17
	s_add_i32 s16, s18, s16
	s_mul_i32 s10, s10, s17
	s_add_i32 s16, s16, s10
	s_mul_i32 s8, s8, s17
	s_mul_hi_u32 s18, s11, s8
	s_mul_i32 s19, s11, s8
	s_mul_i32 s21, s17, s16
	s_mul_hi_u32 s8, s17, s8
	s_mul_hi_u32 s20, s17, s16
	s_add_u32 s8, s8, s21
	s_addc_u32 s17, 0, s20
	s_add_u32 s8, s8, s19
	s_mul_hi_u32 s10, s11, s16
	s_addc_u32 s8, s17, s18
	s_addc_u32 s10, s10, 0
	s_mul_i32 s16, s11, s16
	s_add_u32 s8, s8, s16
	s_addc_u32 s10, 0, s10
	v_add_co_u32_e32 v1, vcc, s8, v1
	s_cmp_lg_u64 vcc, 0
	s_addc_u32 s16, s11, s10
	s_ashr_i32 s10, s9, 31
	s_add_u32 s8, s5, s10
	s_mov_b32 s11, s10
	s_addc_u32 s9, s9, s10
	s_xor_b64 s[8:9], s[8:9], s[10:11]
	v_readfirstlane_b32 s19, v1
	s_mul_i32 s18, s8, s16
	s_mul_hi_u32 s20, s8, s19
	s_mul_hi_u32 s17, s8, s16
	s_add_u32 s18, s20, s18
	s_addc_u32 s17, 0, s17
	s_mul_hi_u32 s21, s9, s19
	s_mul_i32 s19, s9, s19
	s_add_u32 s18, s18, s19
	s_mul_hi_u32 s20, s9, s16
	s_addc_u32 s17, s17, s21
	s_addc_u32 s18, s20, 0
	s_mul_i32 s16, s9, s16
	s_add_u32 s16, s17, s16
	s_addc_u32 s17, 0, s18
	s_add_u32 s18, s16, 1
	s_addc_u32 s19, s17, 0
	s_add_u32 s20, s16, 2
	s_mul_i32 s23, s22, s17
	s_mul_hi_u32 s24, s22, s16
	s_addc_u32 s21, s17, 0
	s_add_i32 s24, s24, s23
	s_mul_i32 s23, s22, s16
	v_mov_b32_e32 v1, s23
	v_sub_co_u32_e32 v1, vcc, s8, v1
	s_cmp_lg_u64 vcc, 0
	s_subb_u32 s8, s9, s24
	v_subrev_co_u32_e32 v2, vcc, s22, v1
	s_cmp_lg_u64 vcc, 0
	s_subb_u32 s9, s8, 0
	v_readfirstlane_b32 s23, v2
	s_cmp_ge_u32 s23, s22
	s_cselect_b32 s23, -1, 0
	s_cmp_eq_u32 s9, 0
	s_cselect_b32 s9, s23, -1
	s_cmp_lg_u32 s9, 0
	s_cselect_b32 s9, s21, s19
	v_readfirstlane_b32 s19, v1
	s_cselect_b32 s18, s20, s18
	s_cmp_ge_u32 s19, s22
	s_cselect_b32 s19, -1, 0
	s_cmp_eq_u32 s8, 0
	s_cselect_b32 s8, s19, -1
	s_cmp_lg_u32 s8, 0
	s_cselect_b32 s9, s9, s17
	s_cselect_b32 s8, s18, s16
	s_xor_b64 s[8:9], s[8:9], s[10:11]
	s_sub_u32 s20, s8, s10
	s_load_dwordx4 s[16:19], s[0:1], 0x44
	s_cbranch_execnz .LBB17_3
.LBB17_2:
	v_cvt_f32_u32_e32 v1, s22
	s_sub_i32 s6, 0, s22
	v_rcp_iflag_f32_e32 v1, v1
	s_nop 0
	v_mul_f32_e32 v1, 0x4f7ffffe, v1
	v_cvt_u32_f32_e32 v1, v1
	s_nop 0
	v_readfirstlane_b32 s7, v1
	s_mul_i32 s6, s6, s7
	s_mul_hi_u32 s6, s7, s6
	s_add_i32 s7, s7, s6
	s_mul_hi_u32 s6, s5, s7
	s_mul_i32 s8, s6, s22
	s_sub_i32 s5, s5, s8
	s_add_i32 s7, s6, 1
	s_sub_i32 s8, s5, s22
	s_cmp_ge_u32 s5, s22
	s_cselect_b32 s6, s7, s6
	s_cselect_b32 s5, s8, s5
	s_add_i32 s7, s6, 1
	s_cmp_ge_u32 s5, s22
	s_cselect_b32 s20, s7, s6
.LBB17_3:
	s_add_i32 s5, s2, 1
	s_mul_hi_i32 s9, s15, s5
	s_mov_b32 s8, 0
	s_cmp_lg_u64 s[8:9], 0
	s_mul_i32 s5, s15, s5
	s_cbranch_scc0 .LBB17_22
; %bb.4:
	v_cvt_f32_u32_e32 v1, s22
	v_cvt_f32_ubyte0_e32 v2, 0
	s_sub_u32 s8, 0, s22
	s_subb_u32 s10, 0, 0
	v_fmamk_f32 v1, v2, 0x4f800000, v1
	v_rcp_f32_e32 v1, v1
	s_nop 0
	v_mul_f32_e32 v1, 0x5f7ffffc, v1
	v_mul_f32_e32 v2, 0x2f800000, v1
	v_trunc_f32_e32 v2, v2
	v_fmamk_f32 v1, v2, 0xcf800000, v1
	v_cvt_u32_f32_e32 v2, v2
	v_cvt_u32_f32_e32 v1, v1
	v_readfirstlane_b32 s11, v2
	s_waitcnt lgkmcnt(0)
	v_readfirstlane_b32 s19, v1
	s_mul_i32 s21, s8, s11
	s_mul_hi_u32 s24, s8, s19
	s_mul_i32 s23, s10, s19
	s_add_i32 s21, s24, s21
	s_add_i32 s21, s21, s23
	s_mul_i32 s25, s8, s19
	s_mul_hi_u32 s23, s19, s21
	s_mul_i32 s24, s19, s21
	s_mul_hi_u32 s19, s19, s25
	s_add_u32 s19, s19, s24
	s_addc_u32 s23, 0, s23
	s_mul_hi_u32 s26, s11, s25
	s_mul_i32 s25, s11, s25
	s_add_u32 s19, s19, s25
	s_mul_hi_u32 s24, s11, s21
	s_addc_u32 s19, s23, s26
	s_addc_u32 s23, s24, 0
	s_mul_i32 s21, s11, s21
	s_add_u32 s19, s19, s21
	s_addc_u32 s21, 0, s23
	v_add_co_u32_e32 v1, vcc, s19, v1
	s_cmp_lg_u64 vcc, 0
	s_addc_u32 s11, s11, s21
	v_readfirstlane_b32 s21, v1
	s_mul_i32 s19, s8, s11
	s_mul_hi_u32 s23, s8, s21
	s_add_i32 s19, s23, s19
	s_mul_i32 s10, s10, s21
	s_add_i32 s19, s19, s10
	s_mul_i32 s8, s8, s21
	s_mul_hi_u32 s23, s11, s8
	s_mul_i32 s24, s11, s8
	s_mul_i32 s26, s21, s19
	s_mul_hi_u32 s8, s21, s8
	s_mul_hi_u32 s25, s21, s19
	s_add_u32 s8, s8, s26
	s_addc_u32 s21, 0, s25
	s_add_u32 s8, s8, s24
	s_mul_hi_u32 s10, s11, s19
	s_addc_u32 s8, s21, s23
	s_addc_u32 s10, s10, 0
	s_mul_i32 s19, s11, s19
	s_add_u32 s8, s8, s19
	s_addc_u32 s10, 0, s10
	v_add_co_u32_e32 v1, vcc, s8, v1
	s_cmp_lg_u64 vcc, 0
	s_addc_u32 s19, s11, s10
	s_ashr_i32 s10, s9, 31
	s_add_u32 s8, s5, s10
	s_mov_b32 s11, s10
	s_addc_u32 s9, s9, s10
	s_xor_b64 s[8:9], s[8:9], s[10:11]
	v_readfirstlane_b32 s23, v1
	s_mul_i32 s21, s8, s19
	s_mul_hi_u32 s24, s8, s23
	s_mul_hi_u32 s11, s8, s19
	s_add_u32 s21, s24, s21
	s_addc_u32 s11, 0, s11
	s_mul_hi_u32 s25, s9, s23
	s_mul_i32 s23, s9, s23
	s_add_u32 s21, s21, s23
	s_mul_hi_u32 s24, s9, s19
	s_addc_u32 s11, s11, s25
	s_addc_u32 s21, s24, 0
	s_mul_i32 s19, s9, s19
	s_add_u32 s11, s11, s19
	s_addc_u32 s19, 0, s21
	s_mul_i32 s19, s22, s19
	s_mul_hi_u32 s24, s22, s11
	s_add_i32 s24, s24, s19
	s_mul_i32 s19, s22, s11
	v_mov_b32_e32 v1, s19
	s_add_u32 s21, s11, 1
	s_add_u32 s23, s11, 2
	v_sub_co_u32_e32 v1, vcc, s8, v1
	s_cmp_lg_u64 vcc, 0
	s_subb_u32 s8, s9, s24
	v_subrev_co_u32_e32 v2, vcc, s22, v1
	s_cmp_lg_u64 vcc, 0
	s_subb_u32 s9, s8, 0
	v_cmp_le_u32_e32 vcc, s22, v2
	s_cmp_eq_u32 s9, 0
	v_mov_b32_e32 v3, s21
	v_cndmask_b32_e64 v2, 0, -1, vcc
	s_cselect_b64 vcc, -1, 0
	v_cndmask_b32_e32 v2, -1, v2, vcc
	v_mov_b32_e32 v4, s23
	v_cmp_ne_u32_e32 vcc, 0, v2
	s_cmp_eq_u32 s8, 0
	s_nop 0
	v_cndmask_b32_e32 v2, v3, v4, vcc
	v_cmp_le_u32_e32 vcc, s22, v1
	v_mov_b32_e32 v3, s11
	s_nop 0
	v_cndmask_b32_e64 v1, 0, -1, vcc
	s_cselect_b64 vcc, -1, 0
	v_cndmask_b32_e32 v1, -1, v1, vcc
	v_cmp_ne_u32_e32 vcc, 0, v1
	s_nop 1
	v_cndmask_b32_e32 v1, v3, v2, vcc
	v_xor_b32_e32 v1, s10, v1
	v_subrev_co_u32_e32 v2, vcc, s10, v1
	s_cbranch_execnz .LBB17_6
.LBB17_5:
	v_cvt_f32_u32_e32 v1, s22
	s_sub_i32 s6, 0, s22
	s_mov_b32 s7, 0
	v_rcp_iflag_f32_e32 v1, v1
	s_nop 0
	v_mul_f32_e32 v1, 0x4f7ffffe, v1
	v_cvt_u32_f32_e32 v1, v1
	s_nop 0
	v_readfirstlane_b32 s8, v1
	s_mul_i32 s6, s6, s8
	s_mul_hi_u32 s6, s8, s6
	s_add_i32 s8, s8, s6
	s_mul_hi_u32 s6, s5, s8
	s_mul_i32 s9, s6, s22
	s_sub_i32 s5, s5, s9
	s_add_i32 s8, s6, 1
	s_sub_i32 s9, s5, s22
	s_cmp_ge_u32 s5, s22
	s_cselect_b32 s6, s8, s6
	s_cselect_b32 s5, s9, s5
	s_add_i32 s8, s6, 1
	s_cmp_ge_u32 s5, s22
	s_cselect_b32 s6, s8, s6
	v_mov_b64_e32 v[2:3], s[6:7]
.LBB17_6:
	s_waitcnt lgkmcnt(0)
	s_mul_hi_u32 s5, s20, s16
	s_add_i32 s5, s5, s20
	v_mul_hi_u32 v1, v2, s16
	s_lshr_b32 s19, s5, s17
	v_add_u32_e32 v1, v1, v2
	s_mul_i32 s5, s19, s18
	v_lshrrev_b32_e32 v1, s17, v1
	s_cmp_eq_u32 s5, s20
	v_cmp_eq_u32_e64 s[6:7], s19, v1
	v_mul_lo_u32 v1, v1, s18
	v_cmp_eq_u32_e32 vcc, s20, v2
	s_cselect_b64 s[10:11], -1, 0
	v_cmp_ne_u32_e64 s[8:9], v1, v2
	s_and_b64 s[6:7], s[6:7], s[8:9]
	s_or_b64 s[8:9], vcc, s[10:11]
	s_or_b64 s[6:7], s[8:9], s[6:7]
	s_and_b64 vcc, exec, s[6:7]
	s_cbranch_vccnz .LBB17_24
; %bb.7:
	s_load_dwordx8 s[24:31], s[0:1], 0x20
	s_load_dword s5, s[0:1], 0x40
	s_waitcnt lgkmcnt(0)
	s_mul_hi_u32 s6, s20, s24
	s_add_i32 s6, s6, s20
	s_lshr_b32 s7, s6, s25
	s_mul_i32 s6, s7, s26
	s_sub_i32 s6, s20, s6
	s_mul_hi_u32 s8, s6, s27
	s_add_i32 s8, s6, s8
	s_lshr_b32 s23, s8, s28
	s_mul_i32 s8, s23, s29
	s_sub_i32 s6, s6, s8
	;; [unrolled: 5-line block ×3, first 2 shown]
	s_mul_hi_u32 s6, s5, s16
	s_add_i32 s5, s5, s6
	s_lshr_b32 s24, s5, s17
	s_lshl_b32 s5, s24, 5
	s_add_i32 s5, s5, s3
	s_cmp_lt_i32 s5, s12
	s_cselect_b64 s[8:9], -1, 0
	s_add_i32 s25, s25, s4
	s_cmp_lt_i32 s25, s14
	s_cselect_b64 s[10:11], -1, 0
	s_and_b64 s[8:9], s[8:9], s[10:11]
	s_andn2_b64 vcc, exec, s[8:9]
	s_mov_b32 s6, 0
	s_cbranch_vccnz .LBB17_24
; %bb.8:
	s_load_dwordx4 s[8:11], s[0:1], 0x0
	s_lshl_b32 s0, s22, 7
	s_mov_b32 s1, s6
	s_add_i32 s21, s3, s4
	s_lshl_b64 s[0:1], s[0:1], 2
	s_waitcnt lgkmcnt(0)
	s_add_u32 s4, s10, s0
	s_mul_i32 s0, s7, s12
	s_addc_u32 s5, s11, s1
	s_mul_i32 s23, s23, s14
	s_add_i32 s0, s0, s3
	s_mul_i32 s0, s0, s13
	s_add_i32 s3, s25, s23
	;; [unrolled: 2-line block ×3, first 2 shown]
	s_mulk_i32 s1, 0xc00
	s_mulk_i32 s0, 0x60
	s_add_i32 s1, s1, s0
	v_add_u32_e32 v4, s1, v0
	v_mov_b32_e32 v2, s8
	v_mov_b32_e32 v3, s9
	v_ashrrev_i32_e32 v5, 31, v4
	v_lshl_add_u64 v[2:3], v[4:5], 2, v[2:3]
	global_load_dword v5, v[2:3], off
	s_lshl_b32 s0, s2, 5
	s_add_i32 s0, s0, s21
	s_ashr_i32 s1, s0, 31
	s_lshl_b64 s[0:1], s[0:1], 3
	s_add_u32 s0, s10, s0
	s_addc_u32 s1, s11, s1
	s_add_i32 s12, s2, -1
	s_mul_i32 s2, s21, 0x60
	v_add_u32_e32 v4, s2, v0
	v_cvt_f32_u32_e32 v0, s22
	v_cvt_f32_ubyte0_e32 v1, 0
	s_load_dwordx2 s[0:1], s[0:1], 0x0
	v_mov_b32_e32 v8, s20
	v_fmac_f32_e32 v0, 0x4f800000, v1
	v_rcp_f32_e32 v0, v0
	v_cvt_f32_u32_e32 v1, s22
	s_waitcnt lgkmcnt(0)
	v_mov_b32_e32 v6, s1
	v_mov_b32_e32 v7, s0
	v_mul_f32_e32 v0, 0x5f7ffffc, v0
	v_rcp_iflag_f32_e32 v1, v1
	v_mul_f32_e32 v9, 0x2f800000, v0
	v_trunc_f32_e32 v10, v9
	v_fmac_f32_e32 v0, 0xcf800000, v10
	v_cvt_u32_f32_e32 v9, v0
	v_mul_f32_e32 v0, 0x4f7ffffe, v1
	v_cvt_u32_f32_e32 v10, v10
	v_cvt_u32_f32_e32 v11, v0
	s_mov_b32 s8, 0x3fb8aa3b
	s_mov_b32 s9, 0xc2ce8ed0
	;; [unrolled: 1-line block ×4, first 2 shown]
	v_mov_b32_e32 v12, 0x7f800000
	s_mul_hi_i32 s7, s12, s15
	s_cmp_lg_u64 s[6:7], 0
	s_mul_i32 s2, s12, s15
	s_cbranch_scc0 .LBB17_15
.LBB17_9:
	s_sub_u32 s0, 0, s22
	v_readfirstlane_b32 s3, v9
	v_readfirstlane_b32 s24, v10
	s_subb_u32 s1, 0, 0
	s_mul_hi_u32 s23, s0, s3
	s_mul_i32 s25, s0, s24
	s_mul_i32 s20, s1, s3
	s_add_i32 s23, s23, s25
	s_add_i32 s23, s23, s20
	s_mul_i32 s26, s0, s3
	s_mul_hi_u32 s20, s3, s23
	s_mul_i32 s25, s3, s23
	s_mul_hi_u32 s3, s3, s26
	s_add_u32 s3, s3, s25
	s_addc_u32 s20, 0, s20
	s_mul_hi_u32 s27, s24, s26
	s_mul_i32 s26, s24, s26
	s_add_u32 s3, s3, s26
	s_mul_hi_u32 s25, s24, s23
	s_addc_u32 s3, s20, s27
	s_addc_u32 s20, s25, 0
	s_mul_i32 s23, s24, s23
	s_add_u32 s3, s3, s23
	s_addc_u32 s20, 0, s20
	v_add_co_u32_e32 v0, vcc, s3, v9
	s_cmp_lg_u64 vcc, 0
	s_addc_u32 s3, s24, s20
	v_readfirstlane_b32 s23, v0
	s_mul_i32 s20, s0, s3
	s_mul_hi_u32 s24, s0, s23
	s_add_i32 s20, s24, s20
	s_mul_i32 s1, s1, s23
	s_add_i32 s20, s20, s1
	s_mul_i32 s0, s0, s23
	s_mul_hi_u32 s24, s3, s0
	s_mul_i32 s25, s3, s0
	s_mul_i32 s27, s23, s20
	s_mul_hi_u32 s0, s23, s0
	s_mul_hi_u32 s26, s23, s20
	s_add_u32 s0, s0, s27
	s_addc_u32 s23, 0, s26
	s_add_u32 s0, s0, s25
	s_mul_hi_u32 s1, s3, s20
	s_addc_u32 s0, s23, s24
	s_addc_u32 s1, s1, 0
	s_mul_i32 s20, s3, s20
	s_add_u32 s0, s0, s20
	s_addc_u32 s1, 0, s1
	v_add_co_u32_e32 v0, vcc, s0, v0
	s_cmp_lg_u64 vcc, 0
	s_addc_u32 s3, s3, s1
	s_ashr_i32 s0, s7, 31
	s_add_u32 s24, s2, s0
	s_mov_b32 s1, s0
	s_addc_u32 s25, s7, s0
	s_xor_b64 s[24:25], s[24:25], s[0:1]
	v_readfirstlane_b32 s20, v0
	s_mul_i32 s7, s24, s3
	s_mul_hi_u32 s23, s24, s20
	s_mul_hi_u32 s1, s24, s3
	s_add_u32 s7, s23, s7
	s_addc_u32 s1, 0, s1
	s_mul_hi_u32 s26, s25, s20
	s_mul_i32 s20, s25, s20
	s_add_u32 s7, s7, s20
	s_mul_hi_u32 s23, s25, s3
	s_addc_u32 s1, s1, s26
	s_addc_u32 s7, s23, 0
	s_mul_i32 s3, s25, s3
	s_add_u32 s1, s1, s3
	s_addc_u32 s3, 0, s7
	s_mul_i32 s3, s22, s3
	s_mul_hi_u32 s23, s22, s1
	s_add_i32 s23, s23, s3
	s_mul_i32 s3, s22, s1
	v_mov_b32_e32 v0, s3
	s_add_u32 s7, s1, 1
	s_add_u32 s20, s1, 2
	v_sub_co_u32_e32 v0, vcc, s24, v0
	s_cmp_lg_u64 vcc, 0
	s_subb_u32 s3, s25, s23
	v_subrev_co_u32_e32 v1, vcc, s22, v0
	s_cmp_lg_u64 vcc, 0
	s_subb_u32 s23, s3, 0
	v_cmp_le_u32_e32 vcc, s22, v1
	s_cmp_eq_u32 s23, 0
	v_mov_b32_e32 v13, s7
	v_cndmask_b32_e64 v1, 0, -1, vcc
	s_cselect_b64 vcc, -1, 0
	v_cndmask_b32_e32 v1, -1, v1, vcc
	v_mov_b32_e32 v14, s20
	v_cmp_ne_u32_e32 vcc, 0, v1
	s_cmp_eq_u32 s3, 0
	s_nop 0
	v_cndmask_b32_e32 v1, v13, v14, vcc
	v_cmp_le_u32_e32 vcc, s22, v0
	v_mov_b32_e32 v13, s1
	s_nop 0
	v_cndmask_b32_e64 v0, 0, -1, vcc
	s_cselect_b64 vcc, -1, 0
	v_cndmask_b32_e32 v0, -1, v0, vcc
	v_cmp_ne_u32_e32 vcc, 0, v0
	s_nop 1
	v_cndmask_b32_e32 v0, v13, v1, vcc
	v_xor_b32_e32 v0, s0, v0
	v_subrev_co_u32_e32 v0, vcc, s0, v0
	s_cbranch_execnz .LBB17_11
.LBB17_10:
	s_sub_i32 s0, 0, s22
	v_mul_lo_u32 v0, s0, v11
	v_mul_hi_u32 v0, v11, v0
	v_add_u32_e32 v0, v11, v0
	v_mul_hi_u32 v0, s2, v0
	v_mul_lo_u32 v13, v0, s22
	v_sub_u32_e32 v13, s2, v13
	v_add_u32_e32 v1, 1, v0
	v_subrev_u32_e32 v14, s22, v13
	v_cmp_le_u32_e32 vcc, s22, v13
	s_nop 1
	v_cndmask_b32_e32 v13, v13, v14, vcc
	v_cndmask_b32_e32 v0, v0, v1, vcc
	v_add_u32_e32 v1, 1, v0
	v_cmp_le_u32_e32 vcc, s22, v13
	s_nop 1
	v_cndmask_b32_e32 v0, v0, v1, vcc
.LBB17_11:
	v_cmp_ne_u32_e32 vcc, v8, v0
	s_cbranch_vccz .LBB17_14
; %bb.12:
	s_add_i32 s0, s12, s22
	s_lshl_b32 s0, s0, 5
	v_mul_hi_u32 v1, v0, s16
	s_add_i32 s0, s0, s21
	s_mov_b32 s1, s6
	v_add_u32_e32 v1, v1, v0
	s_lshl_b64 s[0:1], s[0:1], 3
	v_lshrrev_b32_e32 v1, s17, v1
	s_add_u32 s2, s10, s0
	v_mul_lo_u32 v13, v1, s18
	s_addc_u32 s3, s11, s1
	v_cmp_eq_u32_e32 vcc, v13, v0
	v_cmp_gt_u32_e64 s[0:1], s19, v1
	s_or_b64 s[0:1], s[0:1], vcc
	s_and_b64 vcc, exec, s[0:1]
	s_cbranch_vccnz .LBB17_16
; %bb.13:
	s_add_i32 s7, s12, -1
	s_mov_b64 s[0:1], 0
	s_branch .LBB17_17
.LBB17_14:
                                        ; implicit-def: $sgpr0_sgpr1
                                        ; implicit-def: $vgpr14
                                        ; implicit-def: $vgpr1
                                        ; implicit-def: $vgpr13
                                        ; implicit-def: $sgpr7
                                        ; implicit-def: $vgpr0
	s_branch .LBB17_18
.LBB17_15:
                                        ; implicit-def: $vgpr0_vgpr1
	s_branch .LBB17_10
.LBB17_16:
	s_mov_b64 s[0:1], -1
	s_mov_b32 s7, s12
	v_mov_b32_e32 v0, v8
.LBB17_17:
	s_mul_i32 s20, s12, 0xc00
	v_add_u32_e32 v14, s20, v4
	v_ashrrev_i32_e32 v15, 31, v14
	v_lshl_add_u64 v[14:15], v[14:15], 2, s[4:5]
	global_load_dword v14, v[14:15], off
	s_load_dwordx2 s[2:3], s[2:3], 0x0
	v_max_f32_e32 v1, v7, v7
	s_waitcnt lgkmcnt(0)
	v_max_f32_e64 v13, s2, s2
	v_max_f32_e32 v1, v1, v13
	v_sub_f32_e32 v13, v7, v1
	v_sub_f32_e32 v15, s2, v1
	v_mul_f32_e32 v16, 0x3fb8aa3b, v13
	v_mul_f32_e32 v17, 0x3fb8aa3b, v15
	v_fma_f32 v18, v13, s8, -v16
	v_rndne_f32_e32 v19, v16
	v_fma_f32 v20, v15, s8, -v17
	v_rndne_f32_e32 v21, v17
	v_fmac_f32_e32 v18, 0x32a5705f, v13
	v_sub_f32_e32 v16, v16, v19
	v_fmac_f32_e32 v20, 0x32a5705f, v15
	v_sub_f32_e32 v17, v17, v21
	v_add_f32_e32 v16, v16, v18
	v_cvt_i32_f32_e32 v19, v19
	v_add_f32_e32 v17, v17, v20
	v_exp_f32_e32 v16, v16
	v_cvt_i32_f32_e32 v21, v21
	v_exp_f32_e32 v17, v17
	v_cmp_ngt_f32_e32 vcc, s9, v13
	v_ldexp_f32 v16, v16, v19
	v_ldexp_f32 v17, v17, v21
	v_cndmask_b32_e32 v16, 0, v16, vcc
	v_cmp_ngt_f32_e32 vcc, s9, v15
	s_nop 1
	v_cndmask_b32_e32 v17, 0, v17, vcc
	v_cmp_nlt_f32_e32 vcc, s13, v13
	s_nop 1
	v_cndmask_b32_e32 v16, v12, v16, vcc
	v_cmp_nlt_f32_e32 vcc, s13, v15
	s_nop 1
	v_cndmask_b32_e32 v17, v12, v17, vcc
	v_cmp_le_f32_e32 vcc, s14, v13
	s_nop 1
	v_cndmask_b32_e32 v16, 0, v16, vcc
	v_cmp_le_f32_e32 vcc, s14, v15
	s_nop 1
	v_cndmask_b32_e32 v15, 0, v17, vcc
	v_mul_f32_e32 v13, s3, v15
	v_fmac_f32_e32 v13, v6, v16
	s_waitcnt vmcnt(0)
	v_mul_f32_e32 v14, v14, v15
	v_fmac_f32_e32 v14, v5, v16
	s_cbranch_execnz .LBB17_19
.LBB17_18:
	s_add_i32 s7, s12, -1
	s_mov_b64 s[0:1], 0
	v_mov_b32_e32 v0, v8
	v_mov_b32_e32 v13, v6
	;; [unrolled: 1-line block ×3, first 2 shown]
	s_waitcnt vmcnt(0)
	v_mov_b32_e32 v14, v5
.LBB17_19:
	s_andn2_b64 vcc, exec, s[0:1]
	s_cbranch_vccz .LBB17_23
; %bb.20:
	v_mov_b32_e32 v8, v0
	s_mov_b32 s12, s7
	v_mov_b32_e32 v6, v13
	v_mov_b32_e32 v7, v1
	s_waitcnt vmcnt(0)
	v_mov_b32_e32 v5, v14
	s_mul_hi_i32 s7, s12, s15
	s_cmp_lg_u64 s[6:7], 0
	s_mul_i32 s2, s12, s15
	s_cbranch_scc1 .LBB17_9
	s_branch .LBB17_15
.LBB17_21:
                                        ; implicit-def: $sgpr20_sgpr21
	s_load_dwordx4 s[16:19], s[0:1], 0x44
	s_branch .LBB17_2
.LBB17_22:
                                        ; implicit-def: $vgpr2_vgpr3
	s_branch .LBB17_5
.LBB17_23:
	v_div_scale_f32 v0, s[0:1], v13, v13, v14
	v_rcp_f32_e32 v1, v0
	v_div_scale_f32 v4, vcc, v14, v13, v14
	s_waitcnt vmcnt(0)
	v_fma_f32 v5, -v0, v1, 1.0
	v_fmac_f32_e32 v1, v5, v1
	v_mul_f32_e32 v5, v4, v1
	v_fma_f32 v6, -v0, v5, v4
	v_fmac_f32_e32 v5, v6, v1
	v_fma_f32 v0, -v0, v5, v4
	v_div_fmas_f32 v0, v0, v1, v5
	v_div_fixup_f32 v0, v0, v13, v14
	global_store_dword v[2:3], v0, off
.LBB17_24:
	s_endpgm
	.section	.rodata,"a",@progbits
	.p2align	6, 0x0
	.amdhsa_kernel _ZL33flash_attn_stream_k_fixup_generalILi96ELi32ELi1EEvPfPK15HIP_vector_typeIfLj2EEiiiiS1_IjLj3EES5_S5_S5_
		.amdhsa_group_segment_fixed_size 0
		.amdhsa_private_segment_fixed_size 0
		.amdhsa_kernarg_size 336
		.amdhsa_user_sgpr_count 2
		.amdhsa_user_sgpr_dispatch_ptr 0
		.amdhsa_user_sgpr_queue_ptr 0
		.amdhsa_user_sgpr_kernarg_segment_ptr 1
		.amdhsa_user_sgpr_dispatch_id 0
		.amdhsa_user_sgpr_kernarg_preload_length 0
		.amdhsa_user_sgpr_kernarg_preload_offset 0
		.amdhsa_user_sgpr_private_segment_size 0
		.amdhsa_uses_dynamic_stack 0
		.amdhsa_enable_private_segment 0
		.amdhsa_system_sgpr_workgroup_id_x 1
		.amdhsa_system_sgpr_workgroup_id_y 1
		.amdhsa_system_sgpr_workgroup_id_z 1
		.amdhsa_system_sgpr_workgroup_info 0
		.amdhsa_system_vgpr_workitem_id 0
		.amdhsa_next_free_vgpr 22
		.amdhsa_next_free_sgpr 32
		.amdhsa_accum_offset 24
		.amdhsa_reserve_vcc 1
		.amdhsa_float_round_mode_32 0
		.amdhsa_float_round_mode_16_64 0
		.amdhsa_float_denorm_mode_32 3
		.amdhsa_float_denorm_mode_16_64 3
		.amdhsa_dx10_clamp 1
		.amdhsa_ieee_mode 1
		.amdhsa_fp16_overflow 0
		.amdhsa_tg_split 0
		.amdhsa_exception_fp_ieee_invalid_op 0
		.amdhsa_exception_fp_denorm_src 0
		.amdhsa_exception_fp_ieee_div_zero 0
		.amdhsa_exception_fp_ieee_overflow 0
		.amdhsa_exception_fp_ieee_underflow 0
		.amdhsa_exception_fp_ieee_inexact 0
		.amdhsa_exception_int_div_zero 0
	.end_amdhsa_kernel
	.section	.text._ZL33flash_attn_stream_k_fixup_generalILi96ELi32ELi1EEvPfPK15HIP_vector_typeIfLj2EEiiiiS1_IjLj3EES5_S5_S5_,"axG",@progbits,_ZL33flash_attn_stream_k_fixup_generalILi96ELi32ELi1EEvPfPK15HIP_vector_typeIfLj2EEiiiiS1_IjLj3EES5_S5_S5_,comdat
.Lfunc_end17:
	.size	_ZL33flash_attn_stream_k_fixup_generalILi96ELi32ELi1EEvPfPK15HIP_vector_typeIfLj2EEiiiiS1_IjLj3EES5_S5_S5_, .Lfunc_end17-_ZL33flash_attn_stream_k_fixup_generalILi96ELi32ELi1EEvPfPK15HIP_vector_typeIfLj2EEiiiiS1_IjLj3EES5_S5_S5_
                                        ; -- End function
	.section	.AMDGPU.csdata,"",@progbits
; Kernel info:
; codeLenInByte = 2860
; NumSgprs: 38
; NumVgprs: 22
; NumAgprs: 0
; TotalNumVgprs: 22
; ScratchSize: 0
; MemoryBound: 0
; FloatMode: 240
; IeeeMode: 1
; LDSByteSize: 0 bytes/workgroup (compile time only)
; SGPRBlocks: 4
; VGPRBlocks: 2
; NumSGPRsForWavesPerEU: 38
; NumVGPRsForWavesPerEU: 22
; AccumOffset: 24
; Occupancy: 8
; WaveLimiterHint : 0
; COMPUTE_PGM_RSRC2:SCRATCH_EN: 0
; COMPUTE_PGM_RSRC2:USER_SGPR: 2
; COMPUTE_PGM_RSRC2:TRAP_HANDLER: 0
; COMPUTE_PGM_RSRC2:TGID_X_EN: 1
; COMPUTE_PGM_RSRC2:TGID_Y_EN: 1
; COMPUTE_PGM_RSRC2:TGID_Z_EN: 1
; COMPUTE_PGM_RSRC2:TIDIG_COMP_CNT: 0
; COMPUTE_PGM_RSRC3_GFX90A:ACCUM_OFFSET: 5
; COMPUTE_PGM_RSRC3_GFX90A:TG_SPLIT: 0
	.section	.text._ZL26flash_attn_combine_resultsILi96EEvPKfPK15HIP_vector_typeIfLj2EEPfi,"axG",@progbits,_ZL26flash_attn_combine_resultsILi96EEvPKfPK15HIP_vector_typeIfLj2EEPfi,comdat
	.globl	_ZL26flash_attn_combine_resultsILi96EEvPKfPK15HIP_vector_typeIfLj2EEPfi ; -- Begin function _ZL26flash_attn_combine_resultsILi96EEvPKfPK15HIP_vector_typeIfLj2EEPfi
	.p2align	8
	.type	_ZL26flash_attn_combine_resultsILi96EEvPKfPK15HIP_vector_typeIfLj2EEPfi,@function
_ZL26flash_attn_combine_resultsILi96EEvPKfPK15HIP_vector_typeIfLj2EEPfi: ; @_ZL26flash_attn_combine_resultsILi96EEvPKfPK15HIP_vector_typeIfLj2EEPfi
; %bb.0:
	s_load_dwordx2 s[6:7], s[0:1], 0x20
	s_load_dword s25, s[0:1], 0x18
	s_load_dwordx4 s[16:19], s[0:1], 0x0
	s_load_dwordx2 s[14:15], s[0:1], 0x10
	s_waitcnt lgkmcnt(0)
	s_mul_i32 s0, s6, s4
	s_add_i32 s0, s0, s2
	s_mul_i32 s24, s0, s7
	s_add_i32 s24, s24, s3
	s_lshl_b32 s12, s25, 1
	s_mul_i32 s0, s24, s25
	v_cmp_gt_i32_e32 vcc, s12, v0
	s_and_saveexec_b64 s[2:3], vcc
	s_cbranch_execz .LBB18_13
; %bb.1:
	v_xad_u32 v1, v0, -1, s12
	s_movk_i32 s4, 0x5f
	s_ashr_i32 s1, s0, 31
	v_cmp_lt_u32_e32 vcc, s4, v1
	s_mov_b64 s[6:7], -1
	v_mov_b32_e32 v2, v0
	s_and_saveexec_b64 s[4:5], vcc
	s_cbranch_execz .LBB18_10
; %bb.2:
	s_mov_b32 s6, 0xaaaaaaab
	v_mul_hi_u32 v1, v1, s6
	v_lshrrev_b32_e32 v6, 6, v1
	s_lshl_b64 s[6:7], s[0:1], 3
	v_add_u32_e32 v2, -1, v6
	s_add_u32 s6, s18, s6
	v_add_u32_e32 v1, 0x60, v0
	v_lshrrev_b32_e32 v3, 1, v2
	s_addc_u32 s7, s19, s7
	v_add_u32_e32 v7, 1, v3
	v_cmp_lt_u32_e32 vcc, 13, v2
	v_mov_b32_e32 v4, 0
	v_mov_b64_e32 v[2:3], v[0:1]
	s_and_saveexec_b64 s[8:9], vcc
	s_cbranch_execz .LBB18_6
; %bb.3:
	v_and_b32_e32 v8, -8, v7
	s_mov_b32 s13, 0
	v_lshl_add_u32 v9, v0, 2, 0
	s_mov_b64 s[10:11], 0
	v_mov_b32_e32 v5, 0
	v_mov_b64_e32 v[2:3], v[0:1]
.LBB18_4:                               ; =>This Inner Loop Header: Depth=1
	v_mov_b32_e32 v4, v2
	v_lshl_add_u64 v[24:25], v[4:5], 2, s[6:7]
	v_mov_b32_e32 v4, v3
	v_lshl_add_u64 v[26:27], v[4:5], 2, s[6:7]
	v_add_u32_e32 v4, 0xc0, v2
	v_add_u32_e32 v10, 0xc0, v3
	v_mov_b32_e32 v11, v5
	global_load_dword v1, v[24:25], off
	global_load_dword v28, v[26:27], off
	v_lshl_add_u64 v[24:25], v[4:5], 2, s[6:7]
	v_add_u32_e32 v4, 0x180, v2
	v_lshl_add_u64 v[10:11], v[10:11], 2, s[6:7]
	v_lshl_add_u64 v[26:27], v[4:5], 2, s[6:7]
	v_add_u32_e32 v4, 0x240, v2
	v_add_u32_e32 v12, 0x180, v3
	v_mov_b32_e32 v13, v5
	v_add_u32_e32 v14, 0x240, v3
	v_mov_b32_e32 v15, v5
	global_load_dword v29, v[24:25], off
	global_load_dword v30, v[10:11], off
	v_lshl_add_u64 v[10:11], v[4:5], 2, s[6:7]
	v_add_u32_e32 v4, 0x300, v2
	v_lshl_add_u64 v[12:13], v[12:13], 2, s[6:7]
	v_lshl_add_u64 v[14:15], v[14:15], 2, s[6:7]
	global_load_dword v24, v[26:27], off
	global_load_dword v25, v[12:13], off
	;; [unrolled: 1-line block ×4, first 2 shown]
	v_lshl_add_u64 v[10:11], v[4:5], 2, s[6:7]
	v_add_u32_e32 v4, 0x3c0, v2
	v_add_u32_e32 v16, 0x300, v3
	v_mov_b32_e32 v17, v5
	v_add_u32_e32 v18, 0x3c0, v3
	v_mov_b32_e32 v19, v5
	v_lshl_add_u64 v[12:13], v[4:5], 2, s[6:7]
	v_add_u32_e32 v4, 0x480, v2
	v_add_u32_e32 v20, 0x480, v3
	v_mov_b32_e32 v21, v5
	v_add_u32_e32 v22, 0x540, v3
	v_mov_b32_e32 v23, v5
	v_lshl_add_u64 v[16:17], v[16:17], 2, s[6:7]
	v_lshl_add_u64 v[18:19], v[18:19], 2, s[6:7]
	global_load_dword v14, v[10:11], off
	global_load_dword v15, v[16:17], off
	v_lshl_add_u64 v[10:11], v[4:5], 2, s[6:7]
	v_add_u32_e32 v4, 0x540, v2
	v_lshl_add_u64 v[20:21], v[20:21], 2, s[6:7]
	v_lshl_add_u64 v[22:23], v[22:23], 2, s[6:7]
	global_load_dword v16, v[12:13], off
	global_load_dword v17, v[18:19], off
	v_lshl_add_u64 v[12:13], v[4:5], 2, s[6:7]
	global_load_dword v18, v[10:11], off
	global_load_dword v19, v[20:21], off
	;; [unrolled: 1-line block ×4, first 2 shown]
	v_add_u32_e32 v8, -8, v8
	s_add_i32 s13, s13, 16
	v_cmp_eq_u32_e32 vcc, 0, v8
	v_add_u32_e32 v10, 0x200, v9
	v_add_u32_e32 v11, 0x400, v9
	;; [unrolled: 1-line block ×8, first 2 shown]
	v_mov_b32_e32 v4, s13
	s_or_b64 s[10:11], vcc, s[10:11]
	v_add_u32_e32 v2, 0x600, v2
	s_waitcnt vmcnt(14)
	ds_write2_b32 v9, v1, v28 offset1:96
	v_add_u32_e32 v9, 0x1800, v9
	s_waitcnt vmcnt(12)
	ds_write2_b32 v10, v29, v30 offset0:64 offset1:160
	s_waitcnt vmcnt(10)
	ds_write2_b32 v11, v24, v25 offset0:128 offset1:224
	;; [unrolled: 2-line block ×3, first 2 shown]
	s_waitcnt vmcnt(6)
	ds_write2_b32 v13, v14, v15 offset1:96
	s_waitcnt vmcnt(4)
	ds_write2_b32 v20, v16, v17 offset0:64 offset1:160
	s_waitcnt vmcnt(2)
	ds_write2_b32 v21, v18, v19 offset0:128 offset1:224
	;; [unrolled: 2-line block ×3, first 2 shown]
	s_andn2_b64 exec, exec, s[10:11]
	s_cbranch_execnz .LBB18_4
; %bb.5:
	s_or_b64 exec, exec, s[10:11]
.LBB18_6:
	s_or_b64 exec, exec, s[8:9]
	v_and_b32_e32 v1, 7, v7
	v_cmp_ne_u32_e32 vcc, 0, v1
	s_and_saveexec_b64 s[8:9], vcc
	s_cbranch_execz .LBB18_9
; %bb.7:
	s_movk_i32 s10, 0x180
	v_mul_lo_u32 v4, v4, s10
	v_lshlrev_b32_e32 v5, 2, v0
	v_add3_u32 v7, v4, v5, 0
	s_mov_b64 s[10:11], 0
	v_mov_b32_e32 v5, 0
.LBB18_8:                               ; =>This Inner Loop Header: Depth=1
	v_mov_b32_e32 v4, v2
	v_lshl_add_u64 v[8:9], v[4:5], 2, s[6:7]
	v_mov_b32_e32 v4, v3
	v_lshl_add_u64 v[10:11], v[4:5], 2, s[6:7]
	global_load_dword v4, v[8:9], off
	global_load_dword v12, v[10:11], off
	v_add_u32_e32 v1, -1, v1
	v_cmp_eq_u32_e32 vcc, 0, v1
	v_add_u32_e32 v2, 0xc0, v2
	v_add_u32_e32 v3, 0xc0, v3
	s_or_b64 s[10:11], vcc, s[10:11]
	s_waitcnt vmcnt(0)
	ds_write2_b32 v7, v4, v12 offset1:96
	v_add_u32_e32 v7, 0x300, v7
	s_andn2_b64 exec, exec, s[10:11]
	s_cbranch_execnz .LBB18_8
.LBB18_9:
	s_or_b64 exec, exec, s[8:9]
	v_add_u32_e32 v1, 1, v6
	v_and_b32_e32 v4, 0x7fffffe, v1
	s_movk_i32 s6, 0x60
	v_mad_u64_u32 v[2:3], s[6:7], v4, s6, v[0:1]
	v_cmp_ne_u32_e32 vcc, v1, v4
	s_orn2_b64 s[6:7], vcc, exec
.LBB18_10:
	s_or_b64 exec, exec, s[4:5]
	s_and_b64 exec, exec, s[6:7]
	s_cbranch_execz .LBB18_13
; %bb.11:
	s_lshl_b64 s[4:5], s[0:1], 3
	s_add_u32 s4, s18, s4
	v_mov_b32_e32 v3, 0
	s_addc_u32 s5, s19, s5
	v_lshl_add_u64 v[4:5], v[2:3], 2, s[4:5]
	v_lshl_add_u32 v1, v2, 2, 0
	s_mov_b64 s[4:5], 0
	s_mov_b64 s[6:7], 0x180
.LBB18_12:                              ; =>This Inner Loop Header: Depth=1
	global_load_dword v3, v[4:5], off
	v_add_u32_e32 v2, 0x60, v2
	v_cmp_le_i32_e32 vcc, s12, v2
	v_lshl_add_u64 v[4:5], v[4:5], 0, s[6:7]
	s_or_b64 s[4:5], vcc, s[4:5]
	s_waitcnt vmcnt(0)
	ds_write_b32 v1, v3
	v_add_u32_e32 v1, 0x180, v1
	s_andn2_b64 exec, exec, s[4:5]
	s_cbranch_execnz .LBB18_12
.LBB18_13:
	s_or_b64 exec, exec, s[2:3]
	v_mov_b32_e32 v1, 0
	s_waitcnt lgkmcnt(0)
	s_barrier
	ds_read_b32 v1, v1
	s_cmp_lt_i32 s25, 2
	s_cbranch_scc1 .LBB18_21
; %bb.14:
	s_add_i32 s1, s25, -1
	s_add_i32 s2, s25, -2
	s_cmp_lt_u32 s2, 7
	s_cbranch_scc1 .LBB18_18
; %bb.15:
	s_mov_b32 s4, 0
	s_add_i32 s2, 0, 8
	s_and_b32 s3, s1, -8
.LBB18_16:                              ; =>This Inner Loop Header: Depth=1
	v_mov_b32_e32 v8, s2
	ds_read2_b32 v[2:3], v8 offset1:2
	ds_read2_b32 v[4:5], v8 offset0:4 offset1:6
	ds_read2_b32 v[6:7], v8 offset0:8 offset1:10
	;; [unrolled: 1-line block ×3, first 2 shown]
	s_mov_b32 s5, s4
	s_waitcnt lgkmcnt(3)
	v_max3_f32 v1, v1, v2, v3
	s_waitcnt lgkmcnt(2)
	v_max3_f32 v1, v1, v4, v5
	s_add_i32 s2, s2, 64
	s_add_i32 s4, s4, 8
	s_waitcnt lgkmcnt(1)
	v_max3_f32 v1, v1, v6, v7
	s_cmp_eq_u32 s3, s4
	s_waitcnt lgkmcnt(0)
	v_max3_f32 v1, v1, v8, v9
	s_cbranch_scc0 .LBB18_16
; %bb.17:
	s_add_i32 s2, s5, 9
	s_and_b32 s1, s1, 7
	s_cmp_eq_u32 s1, 0
	s_cbranch_scc0 .LBB18_19
	s_branch .LBB18_21
.LBB18_18:
	s_mov_b32 s2, 1
	s_and_b32 s1, s1, 7
	s_cmp_eq_u32 s1, 0
	s_cbranch_scc1 .LBB18_21
.LBB18_19:
	s_lshl_b32 s2, s2, 3
	s_add_i32 s2, s2, 0
.LBB18_20:                              ; =>This Inner Loop Header: Depth=1
	v_mov_b32_e32 v2, s2
	ds_read_b32 v2, v2
	s_waitcnt lgkmcnt(1)
	v_max_f32_e32 v1, v1, v1
	s_add_i32 s2, s2, 8
	s_add_i32 s1, s1, -1
	s_cmp_lg_u32 s1, 0
	s_waitcnt lgkmcnt(0)
	v_max_f32_e32 v2, v2, v2
	v_max_f32_e32 v1, v1, v2
	s_cbranch_scc1 .LBB18_20
.LBB18_21:
	s_cmp_lt_i32 s25, 1
	s_cbranch_scc1 .LBB18_26
; %bb.22:
	s_mul_i32 s18, s0, 0x60
	s_ashr_i32 s19, s18, 31
	s_cmp_lt_u32 s25, 8
	v_mov_b32_e32 v8, 0
	s_cbranch_scc1 .LBB18_27
; %bb.23:
	s_lshl_b64 s[0:1], s[18:19], 2
	s_add_u32 s20, s16, s0
	s_addc_u32 s21, s17, s1
	v_lshlrev_b32_e32 v2, 2, v0
	v_mov_b32_e32 v3, 0
	v_lshl_add_u64 v[4:5], s[20:21], 0, v[2:3]
	s_mov_b64 s[0:1], 0x180
	s_and_b32 s26, s25, 0x7ffffff8
	v_lshl_add_u64 v[4:5], v[4:5], 0, s[0:1]
	v_or_b32_e32 v6, 0x180, v0
	s_mov_b32 s27, 0
	s_mov_b32 s28, 0x3fb8aa3b
	;; [unrolled: 1-line block ×4, first 2 shown]
	v_mov_b32_e32 v10, 0x7f800000
	s_mov_b64 s[22:23], 0xc00
	s_mov_b32 s31, 0
	v_mov_b32_e32 v9, 0
	v_mov_b32_e32 v8, 0
.LBB18_24:                              ; =>This Inner Loop Header: Depth=1
	v_add_u32_e32 v2, 0xfffffe80, v6
	v_mov_b32_e32 v11, s27
	v_mov_b32_e32 v7, v3
	v_lshl_add_u64 v[28:29], v[2:3], 2, s[20:21]
	global_load_dword v34, v[4:5], off
	ds_read2_b64 v[12:15], v11 offset1:1
	ds_read2_b64 v[16:19], v11 offset0:2 offset1:3
	v_add_u32_e32 v2, 0xffffff40, v6
	v_lshl_add_u64 v[30:31], v[6:7], 2, s[20:21]
	ds_read2_b64 v[20:23], v11 offset0:4 offset1:5
	ds_read2_b64 v[24:27], v11 offset0:6 offset1:7
	global_load_dword v7, v[28:29], off
	v_lshl_add_u64 v[32:33], v[2:3], 2, s[20:21]
	global_load_dword v11, v[32:33], off
	v_add_u32_e32 v2, 0xffffffa0, v6
	v_lshl_add_u64 v[28:29], v[2:3], 2, s[20:21]
	v_add_u32_e32 v2, 0x60, v6
	v_lshl_add_u64 v[32:33], v[2:3], 2, s[20:21]
	v_add_u32_e32 v2, 0xc0, v6
	global_load_dword v35, v[28:29], off
	global_load_dword v36, v[30:31], off
	v_lshl_add_u64 v[28:29], v[2:3], 2, s[20:21]
	v_add_u32_e32 v2, 0x120, v6
	global_load_dword v32, v[32:33], off
	v_lshl_add_u64 v[30:31], v[2:3], 2, s[20:21]
	global_load_dword v30, v[30:31], off
	s_waitcnt lgkmcnt(3)
	v_sub_f32_e32 v12, v12, v1
	global_load_dword v2, v[28:29], off
	v_sub_f32_e32 v14, v14, v1
	v_mul_f32_e32 v28, 0x3fb8aa3b, v12
	v_mul_f32_e32 v29, 0x3fb8aa3b, v14
	s_waitcnt lgkmcnt(2)
	v_sub_f32_e32 v16, v16, v1
	v_sub_f32_e32 v18, v18, v1
	s_waitcnt lgkmcnt(1)
	v_sub_f32_e32 v20, v20, v1
	v_sub_f32_e32 v22, v22, v1
	v_fma_f32 v31, v12, s28, -v28
	v_rndne_f32_e32 v42, v28
	v_fma_f32 v43, v14, s28, -v29
	v_rndne_f32_e32 v44, v29
	v_mul_f32_e32 v33, 0x3fb8aa3b, v16
	v_mul_f32_e32 v37, 0x3fb8aa3b, v18
	;; [unrolled: 1-line block ×4, first 2 shown]
	v_fmac_f32_e32 v31, 0x32a5705f, v12
	v_sub_f32_e32 v28, v28, v42
	v_fmac_f32_e32 v43, 0x32a5705f, v14
	v_sub_f32_e32 v29, v29, v44
	s_waitcnt lgkmcnt(0)
	v_sub_f32_e32 v24, v24, v1
	v_sub_f32_e32 v26, v26, v1
	v_fma_f32 v45, v16, s28, -v33
	v_rndne_f32_e32 v46, v33
	v_fma_f32 v47, v18, s28, -v37
	v_rndne_f32_e32 v48, v37
	;; [unrolled: 2-line block ×3, first 2 shown]
	v_add_f32_e32 v28, v28, v31
	v_fma_f32 v31, v22, s28, -v39
	v_add_f32_e32 v29, v29, v43
	v_rndne_f32_e32 v43, v39
	v_mul_f32_e32 v40, 0x3fb8aa3b, v24
	v_mul_f32_e32 v41, 0x3fb8aa3b, v26
	v_fmac_f32_e32 v45, 0x32a5705f, v16
	v_sub_f32_e32 v33, v33, v46
	v_fmac_f32_e32 v47, 0x32a5705f, v18
	v_sub_f32_e32 v37, v37, v48
	;; [unrolled: 2-line block ×4, first 2 shown]
	v_add_f32_e32 v33, v33, v45
	v_fma_f32 v45, v24, s28, -v40
	v_add_f32_e32 v37, v37, v47
	v_rndne_f32_e32 v47, v40
	v_add_f32_e32 v38, v38, v49
	v_fma_f32 v49, v26, s28, -v41
	v_add_f32_e32 v31, v39, v31
	v_rndne_f32_e32 v39, v41
	v_cvt_i32_f32_e32 v42, v42
	v_fmac_f32_e32 v45, 0x32a5705f, v24
	v_sub_f32_e32 v40, v40, v47
	v_fmac_f32_e32 v49, 0x32a5705f, v26
	v_sub_f32_e32 v41, v41, v39
	v_exp_f32_e32 v28, v28
	v_cvt_i32_f32_e32 v44, v44
	v_add_f32_e32 v40, v40, v45
	v_add_f32_e32 v41, v41, v49
	v_exp_f32_e32 v29, v29
	v_cvt_i32_f32_e32 v46, v46
	v_cvt_i32_f32_e32 v48, v48
	v_cvt_i32_f32_e32 v50, v50
	v_cvt_i32_f32_e32 v43, v43
	v_cvt_i32_f32_e32 v47, v47
	v_cvt_i32_f32_e32 v39, v39
	v_exp_f32_e32 v33, v33
	v_exp_f32_e32 v37, v37
	;; [unrolled: 1-line block ×6, first 2 shown]
	v_ldexp_f32 v28, v28, v42
	v_cmp_ngt_f32_e64 s[12:13], s29, v12
	v_ldexp_f32 v29, v29, v44
	v_cmp_ngt_f32_e32 vcc, s29, v14
	v_cndmask_b32_e64 v28, 0, v28, s[12:13]
	v_cmp_nlt_f32_e64 s[12:13], s30, v12
	v_ldexp_f32 v33, v33, v46
	v_cmp_ngt_f32_e64 s[0:1], s29, v16
	v_ldexp_f32 v37, v37, v48
	v_cmp_ngt_f32_e64 s[2:3], s29, v18
	;; [unrolled: 2-line block ×6, first 2 shown]
	v_cndmask_b32_e32 v29, 0, v29, vcc
	v_cmp_nlt_f32_e32 vcc, s30, v14
	v_cndmask_b32_e64 v12, v10, v28, s[12:13]
	v_cndmask_b32_e64 v14, 0, v33, s[0:1]
	v_cmp_nlt_f32_e64 s[0:1], s30, v16
	v_cndmask_b32_e64 v16, 0, v37, s[2:3]
	v_cmp_nlt_f32_e64 s[2:3], s30, v18
	;; [unrolled: 2-line block ×6, first 2 shown]
	v_cndmask_b32_e32 v26, v10, v29, vcc
	v_fmac_f32_e32 v9, v12, v13
	s_waitcnt vmcnt(6)
	v_fmac_f32_e32 v8, v7, v12
	v_cndmask_b32_e64 v14, v10, v14, s[0:1]
	v_fmac_f32_e32 v9, v26, v15
	v_fmac_f32_e32 v8, v34, v26
	v_cndmask_b32_e64 v16, v10, v16, s[2:3]
	v_fmac_f32_e32 v9, v14, v17
	s_waitcnt vmcnt(5)
	v_fmac_f32_e32 v8, v11, v14
	v_cndmask_b32_e64 v18, v10, v18, s[4:5]
	v_fmac_f32_e32 v9, v16, v19
	s_waitcnt vmcnt(4)
	;; [unrolled: 4-line block ×4, first 2 shown]
	v_fmac_f32_e32 v8, v32, v20
	s_add_i32 s31, s31, 8
	s_add_i32 s27, s27, 64
	v_cndmask_b32_e64 v24, v10, v24, s[10:11]
	v_fmac_f32_e32 v9, v22, v25
	s_waitcnt vmcnt(0)
	v_fmac_f32_e32 v8, v2, v22
	v_lshl_add_u64 v[4:5], v[4:5], 0, s[22:23]
	s_cmp_eq_u32 s26, s31
	v_add_u32_e32 v6, 0x300, v6
	v_fmac_f32_e32 v9, v24, v27
	v_fmac_f32_e32 v8, v30, v24
	s_cbranch_scc0 .LBB18_24
; %bb.25:
	s_and_b32 s2, s25, 7
	s_cmp_eq_u32 s2, 0
	s_cbranch_scc0 .LBB18_28
	s_branch .LBB18_30
.LBB18_26:
	s_waitcnt lgkmcnt(0)
	v_mov_b32_e32 v1, 0x7fc00000
	s_branch .LBB18_31
.LBB18_27:
	s_mov_b32 s26, 0
	v_mov_b32_e32 v9, 0
	s_and_b32 s2, s25, 7
	s_cmp_eq_u32 s2, 0
	s_cbranch_scc1 .LBB18_30
.LBB18_28:
	s_lshl_b64 s[0:1], s[18:19], 2
	s_mul_i32 s3, s26, 0x60
	s_add_u32 s0, s16, s0
	v_add_u32_e32 v2, s3, v0
	v_mov_b32_e32 v3, 0
	s_addc_u32 s1, s17, s1
	v_lshl_add_u64 v[2:3], v[2:3], 2, s[0:1]
	s_lshl_b32 s0, s26, 3
	s_add_i32 s3, s0, 0
	s_mov_b32 s4, 0x3fb8aa3b
	s_mov_b32 s5, 0xc2ce8ed0
	;; [unrolled: 1-line block ×3, first 2 shown]
	v_mov_b32_e32 v4, 0x7f800000
	s_mov_b64 s[0:1], 0x180
.LBB18_29:                              ; =>This Inner Loop Header: Depth=1
	global_load_dword v5, v[2:3], off
	v_mov_b32_e32 v6, s3
	ds_read_b64 v[6:7], v6
	s_add_i32 s3, s3, 8
	s_add_i32 s2, s2, -1
	v_lshl_add_u64 v[2:3], v[2:3], 0, s[0:1]
	s_cmp_lg_u32 s2, 0
	s_waitcnt lgkmcnt(0)
	v_sub_f32_e32 v6, v6, v1
	v_mul_f32_e32 v10, 0x3fb8aa3b, v6
	v_fma_f32 v11, v6, s4, -v10
	v_rndne_f32_e32 v12, v10
	v_fmac_f32_e32 v11, 0x32a5705f, v6
	v_sub_f32_e32 v10, v10, v12
	v_add_f32_e32 v10, v10, v11
	v_cvt_i32_f32_e32 v12, v12
	v_exp_f32_e32 v10, v10
	v_cmp_ngt_f32_e32 vcc, s5, v6
	v_ldexp_f32 v10, v10, v12
	s_nop 0
	v_cndmask_b32_e32 v10, 0, v10, vcc
	v_cmp_nlt_f32_e32 vcc, s6, v6
	s_nop 1
	v_cndmask_b32_e32 v6, v4, v10, vcc
	v_fmac_f32_e32 v9, v6, v7
	s_waitcnt vmcnt(0)
	v_fmac_f32_e32 v8, v5, v6
	s_cbranch_scc1 .LBB18_29
.LBB18_30:
	s_waitcnt lgkmcnt(0)
	v_div_scale_f32 v1, s[0:1], v9, v9, v8
	v_rcp_f32_e32 v2, v1
	v_div_scale_f32 v3, vcc, v8, v9, v8
	v_fma_f32 v4, -v1, v2, 1.0
	v_fmac_f32_e32 v2, v4, v2
	v_mul_f32_e32 v4, v3, v2
	v_fma_f32 v5, -v1, v4, v3
	v_fmac_f32_e32 v4, v5, v2
	v_fma_f32 v1, -v1, v4, v3
	v_div_fmas_f32 v1, v1, v2, v4
	v_div_fixup_f32 v1, v1, v9, v8
.LBB18_31:
	s_mul_i32 s0, s24, 0x60
	s_ashr_i32 s1, s0, 31
	s_lshl_b64 s[0:1], s[0:1], 2
	s_add_u32 s0, s14, s0
	s_addc_u32 s1, s15, s1
	v_lshlrev_b32_e32 v0, 2, v0
	global_store_dword v0, v1, s[0:1]
	s_endpgm
	.section	.rodata,"a",@progbits
	.p2align	6, 0x0
	.amdhsa_kernel _ZL26flash_attn_combine_resultsILi96EEvPKfPK15HIP_vector_typeIfLj2EEPfi
		.amdhsa_group_segment_fixed_size 0
		.amdhsa_private_segment_fixed_size 0
		.amdhsa_kernarg_size 288
		.amdhsa_user_sgpr_count 2
		.amdhsa_user_sgpr_dispatch_ptr 0
		.amdhsa_user_sgpr_queue_ptr 0
		.amdhsa_user_sgpr_kernarg_segment_ptr 1
		.amdhsa_user_sgpr_dispatch_id 0
		.amdhsa_user_sgpr_kernarg_preload_length 0
		.amdhsa_user_sgpr_kernarg_preload_offset 0
		.amdhsa_user_sgpr_private_segment_size 0
		.amdhsa_uses_dynamic_stack 0
		.amdhsa_enable_private_segment 0
		.amdhsa_system_sgpr_workgroup_id_x 1
		.amdhsa_system_sgpr_workgroup_id_y 1
		.amdhsa_system_sgpr_workgroup_id_z 1
		.amdhsa_system_sgpr_workgroup_info 0
		.amdhsa_system_vgpr_workitem_id 0
		.amdhsa_next_free_vgpr 51
		.amdhsa_next_free_sgpr 32
		.amdhsa_accum_offset 52
		.amdhsa_reserve_vcc 1
		.amdhsa_float_round_mode_32 0
		.amdhsa_float_round_mode_16_64 0
		.amdhsa_float_denorm_mode_32 3
		.amdhsa_float_denorm_mode_16_64 3
		.amdhsa_dx10_clamp 1
		.amdhsa_ieee_mode 1
		.amdhsa_fp16_overflow 0
		.amdhsa_tg_split 0
		.amdhsa_exception_fp_ieee_invalid_op 0
		.amdhsa_exception_fp_denorm_src 0
		.amdhsa_exception_fp_ieee_div_zero 0
		.amdhsa_exception_fp_ieee_overflow 0
		.amdhsa_exception_fp_ieee_underflow 0
		.amdhsa_exception_fp_ieee_inexact 0
		.amdhsa_exception_int_div_zero 0
	.end_amdhsa_kernel
	.section	.text._ZL26flash_attn_combine_resultsILi96EEvPKfPK15HIP_vector_typeIfLj2EEPfi,"axG",@progbits,_ZL26flash_attn_combine_resultsILi96EEvPKfPK15HIP_vector_typeIfLj2EEPfi,comdat
.Lfunc_end18:
	.size	_ZL26flash_attn_combine_resultsILi96EEvPKfPK15HIP_vector_typeIfLj2EEPfi, .Lfunc_end18-_ZL26flash_attn_combine_resultsILi96EEvPKfPK15HIP_vector_typeIfLj2EEPfi
                                        ; -- End function
	.section	.AMDGPU.csdata,"",@progbits
; Kernel info:
; codeLenInByte = 2948
; NumSgprs: 38
; NumVgprs: 51
; NumAgprs: 0
; TotalNumVgprs: 51
; ScratchSize: 0
; MemoryBound: 0
; FloatMode: 240
; IeeeMode: 1
; LDSByteSize: 0 bytes/workgroup (compile time only)
; SGPRBlocks: 4
; VGPRBlocks: 6
; NumSGPRsForWavesPerEU: 38
; NumVGPRsForWavesPerEU: 51
; AccumOffset: 52
; Occupancy: 8
; WaveLimiterHint : 0
; COMPUTE_PGM_RSRC2:SCRATCH_EN: 0
; COMPUTE_PGM_RSRC2:USER_SGPR: 2
; COMPUTE_PGM_RSRC2:TRAP_HANDLER: 0
; COMPUTE_PGM_RSRC2:TGID_X_EN: 1
; COMPUTE_PGM_RSRC2:TGID_Y_EN: 1
; COMPUTE_PGM_RSRC2:TGID_Z_EN: 1
; COMPUTE_PGM_RSRC2:TIDIG_COMP_CNT: 0
; COMPUTE_PGM_RSRC3_GFX90A:ACCUM_OFFSET: 12
; COMPUTE_PGM_RSRC3_GFX90A:TG_SPLIT: 0
	.section	.text._ZL18flash_attn_ext_f16ILi112ELi112ELi32ELi1ELb0ELb0EEvPKcS1_S1_S1_S1_PKiPfP15HIP_vector_typeIfLj2EEffffjfiS5_IjLj3EEiiiiiiiiiiiliiliiiiil,"axG",@progbits,_ZL18flash_attn_ext_f16ILi112ELi112ELi32ELi1ELb0ELb0EEvPKcS1_S1_S1_S1_PKiPfP15HIP_vector_typeIfLj2EEffffjfiS5_IjLj3EEiiiiiiiiiiiliiliiiiil,comdat
	.globl	_ZL18flash_attn_ext_f16ILi112ELi112ELi32ELi1ELb0ELb0EEvPKcS1_S1_S1_S1_PKiPfP15HIP_vector_typeIfLj2EEffffjfiS5_IjLj3EEiiiiiiiiiiiliiliiiiil ; -- Begin function _ZL18flash_attn_ext_f16ILi112ELi112ELi32ELi1ELb0ELb0EEvPKcS1_S1_S1_S1_PKiPfP15HIP_vector_typeIfLj2EEffffjfiS5_IjLj3EEiiiiiiiiiiiliiliiiiil
	.p2align	8
	.type	_ZL18flash_attn_ext_f16ILi112ELi112ELi32ELi1ELb0ELb0EEvPKcS1_S1_S1_S1_PKiPfP15HIP_vector_typeIfLj2EEffffjfiS5_IjLj3EEiiiiiiiiiiiliiliiiiil,@function
_ZL18flash_attn_ext_f16ILi112ELi112ELi32ELi1ELb0ELb0EEvPKcS1_S1_S1_S1_PKiPfP15HIP_vector_typeIfLj2EEffffjfiS5_IjLj3EEiiiiiiiiiiiliiliiiiil: ; @_ZL18flash_attn_ext_f16ILi112ELi112ELi32ELi1ELb0ELb0EEvPKcS1_S1_S1_S1_PKiPfP15HIP_vector_typeIfLj2EEffffjfiS5_IjLj3EEiiiiiiiiiiiliiliiiiil
; %bb.0:
	s_load_dwordx2 s[10:11], s[0:1], 0x80
	s_load_dwordx4 s[76:79], s[0:1], 0x64
                                        ; implicit-def: $vgpr254 : SGPR spill to VGPR lane
	s_load_dword s67, s[0:1], 0xd0
	s_mov_b32 s65, s2
	s_mov_b32 s2, 0
	s_waitcnt lgkmcnt(0)
	s_abs_i32 s3, s11
	v_cvt_f32_u32_e32 v1, s3
	s_sub_i32 s6, 0, s3
	s_abs_i32 s5, s77
	s_xor_b32 s4, s77, s11
	v_rcp_iflag_f32_e32 v1, v1
	s_ashr_i32 s4, s4, 31
	v_cvt_f32_u32_e32 v2, s67
	v_cvt_f32_ubyte0_e32 v3, 0
	v_mul_f32_e32 v1, 0x4f7ffffe, v1
	v_cvt_u32_f32_e32 v1, v1
	s_nop 0
	v_readfirstlane_b32 s7, v1
	s_mul_i32 s6, s6, s7
	s_mul_hi_u32 s6, s7, s6
	s_add_i32 s7, s7, s6
	s_mul_hi_u32 s6, s5, s7
	s_mul_i32 s7, s6, s3
	s_sub_i32 s5, s5, s7
	s_add_i32 s8, s6, 1
	s_sub_i32 s7, s5, s3
	s_cmp_ge_u32 s5, s3
	s_cselect_b32 s6, s8, s6
	s_cselect_b32 s5, s7, s5
	s_add_i32 s7, s6, 1
	s_cmp_ge_u32 s5, s3
	s_cselect_b32 s3, s7, s6
	s_add_i32 s5, s10, 63
	s_xor_b32 s3, s3, s4
	s_ashr_i32 s6, s5, 31
	s_sub_i32 s4, s3, s4
	s_lshr_b32 s3, s6, 26
	s_add_i32 s5, s5, s3
	s_add_i32 s3, s76, 31
	s_lshr_b32 s3, s3, 5
	s_ashr_i32 s5, s5, 6
	v_writelane_b32 v254, s3, 0
	v_writelane_b32 v254, s5, 1
	s_mul_i32 s3, s3, s5
	v_writelane_b32 v254, s4, 2
	v_writelane_b32 v254, s3, 3
	s_mul_i32 s3, s3, s4
	s_mov_b32 s4, s10
	v_writelane_b32 v254, s4, 4
	s_nop 1
	v_writelane_b32 v254, s5, 5
	v_writelane_b32 v254, s3, 6
	s_mul_i32 s3, s3, s11
	s_mul_i32 s8, s3, s78
	s_ashr_i32 s6, s8, 31
	v_writelane_b32 v254, s3, 7
	s_mul_i32 s3, s6, s65
	s_mul_hi_u32 s4, s8, s65
	s_add_i32 s3, s4, s3
	s_mul_i32 s7, s8, s65
	s_cmp_lg_u64 s[2:3], 0
	s_cbranch_scc0 .LBB19_2
; %bb.1:
	v_fmamk_f32 v1, v3, 0x4f800000, v2
	v_rcp_f32_e32 v1, v1
	s_sub_u32 s2, 0, s67
	s_subb_u32 s9, 0, 0
	s_mov_b64 s[4:5], 0
	v_mul_f32_e32 v1, 0x5f7ffffc, v1
	v_mul_f32_e32 v4, 0x2f800000, v1
	v_trunc_f32_e32 v4, v4
	v_fmamk_f32 v1, v4, 0xcf800000, v1
	v_cvt_u32_f32_e32 v4, v4
	v_cvt_u32_f32_e32 v1, v1
	v_readfirstlane_b32 s10, v4
	v_readfirstlane_b32 s11, v1
	s_mul_hi_u32 s13, s2, s11
	s_mul_i32 s14, s2, s10
	s_mul_i32 s12, s9, s11
	s_add_i32 s13, s13, s14
	s_add_i32 s13, s13, s12
	s_mul_i32 s15, s2, s11
	s_mul_hi_u32 s12, s11, s13
	s_mul_i32 s14, s11, s13
	s_mul_hi_u32 s11, s11, s15
	s_add_u32 s11, s11, s14
	s_addc_u32 s12, 0, s12
	s_mul_hi_u32 s16, s10, s15
	s_mul_i32 s15, s10, s15
	s_add_u32 s11, s11, s15
	s_mul_hi_u32 s14, s10, s13
	s_addc_u32 s11, s12, s16
	s_addc_u32 s12, s14, 0
	s_mul_i32 s13, s10, s13
	s_add_u32 s11, s11, s13
	s_addc_u32 s12, 0, s12
	v_add_co_u32_e32 v1, vcc, s11, v1
	s_cmp_lg_u64 vcc, 0
	s_addc_u32 s10, s10, s12
	v_readfirstlane_b32 s12, v1
	s_mul_i32 s11, s2, s10
	s_mul_hi_u32 s13, s2, s12
	s_add_i32 s11, s13, s11
	s_mul_i32 s9, s9, s12
	s_add_i32 s11, s11, s9
	s_mul_i32 s2, s2, s12
	s_mul_hi_u32 s13, s10, s2
	s_mul_i32 s14, s10, s2
	s_mul_i32 s16, s12, s11
	s_mul_hi_u32 s2, s12, s2
	s_mul_hi_u32 s15, s12, s11
	s_add_u32 s2, s2, s16
	s_addc_u32 s12, 0, s15
	s_add_u32 s2, s2, s14
	s_mul_hi_u32 s9, s10, s11
	s_addc_u32 s2, s12, s13
	s_addc_u32 s9, s9, 0
	s_mul_i32 s11, s10, s11
	s_add_u32 s2, s2, s11
	s_addc_u32 s9, 0, s9
	v_add_co_u32_e32 v1, vcc, s2, v1
	s_cmp_lg_u64 vcc, 0
	s_addc_u32 s9, s10, s9
	s_ashr_i32 s10, s3, 31
	s_add_u32 s2, s7, s10
	s_mov_b32 s11, s10
	s_addc_u32 s3, s3, s10
	s_xor_b64 s[2:3], s[2:3], s[10:11]
	v_readfirstlane_b32 s14, v1
	s_mul_i32 s13, s2, s9
	s_mul_hi_u32 s15, s2, s14
	s_mul_hi_u32 s12, s2, s9
	s_add_u32 s13, s15, s13
	s_addc_u32 s12, 0, s12
	s_mul_hi_u32 s16, s3, s14
	s_mul_i32 s14, s3, s14
	s_add_u32 s13, s13, s14
	s_mul_hi_u32 s15, s3, s9
	s_addc_u32 s12, s12, s16
	s_addc_u32 s13, s15, 0
	s_mul_i32 s9, s3, s9
	s_add_u32 s9, s12, s9
	s_addc_u32 s12, 0, s13
	s_add_u32 s13, s9, 1
	s_addc_u32 s14, s12, 0
	s_add_u32 s15, s9, 2
	s_mul_i32 s17, s67, s12
	s_mul_hi_u32 s18, s67, s9
	s_addc_u32 s16, s12, 0
	s_add_i32 s18, s18, s17
	s_mul_i32 s17, s67, s9
	v_mov_b32_e32 v1, s17
	v_sub_co_u32_e32 v1, vcc, s2, v1
	s_cmp_lg_u64 vcc, 0
	s_subb_u32 s2, s3, s18
	v_subrev_co_u32_e32 v4, vcc, s67, v1
	s_cmp_lg_u64 vcc, 0
	s_subb_u32 s3, s2, 0
	v_readfirstlane_b32 s17, v4
	s_cmp_ge_u32 s17, s67
	s_cselect_b32 s17, -1, 0
	s_cmp_eq_u32 s3, 0
	s_cselect_b32 s3, s17, -1
	s_cmp_lg_u32 s3, 0
	s_cselect_b32 s3, s16, s14
	v_readfirstlane_b32 s14, v1
	s_cselect_b32 s13, s15, s13
	s_cmp_ge_u32 s14, s67
	s_cselect_b32 s14, -1, 0
	s_cmp_eq_u32 s2, 0
	s_cselect_b32 s2, s14, -1
	s_cmp_lg_u32 s2, 0
	s_cselect_b32 s3, s3, s12
	s_cselect_b32 s2, s13, s9
	s_xor_b64 s[2:3], s[2:3], s[10:11]
	s_sub_u32 s2, s2, s10
	s_branch .LBB19_3
.LBB19_2:
	s_mov_b64 s[4:5], -1
                                        ; implicit-def: $sgpr2_sgpr3
.LBB19_3:
	s_load_dwordx2 s[10:11], s[0:1], 0x74
	v_cvt_f32_u32_e32 v1, s67
	s_andn2_b64 vcc, exec, s[4:5]
	s_waitcnt lgkmcnt(0)
	v_writelane_b32 v254, s10, 8
	s_nop 1
	v_writelane_b32 v254, s11, 9
	s_cbranch_vccnz .LBB19_5
; %bb.4:
	v_rcp_iflag_f32_e32 v4, v1
	s_sub_i32 s2, 0, s67
	v_mul_f32_e32 v4, 0x4f7ffffe, v4
	v_cvt_u32_f32_e32 v4, v4
	s_nop 0
	v_readfirstlane_b32 s3, v4
	s_mul_i32 s2, s2, s3
	s_mul_hi_u32 s2, s3, s2
	s_add_i32 s3, s3, s2
	s_mul_hi_u32 s2, s7, s3
	s_mul_i32 s4, s2, s67
	s_sub_i32 s4, s7, s4
	s_add_i32 s3, s2, 1
	s_sub_i32 s5, s4, s67
	s_cmp_ge_u32 s4, s67
	s_cselect_b32 s2, s3, s2
	s_cselect_b32 s4, s5, s4
	s_add_i32 s3, s2, 1
	s_cmp_ge_u32 s4, s67
	s_cselect_b32 s2, s3, s2
.LBB19_5:
	s_add_i32 s3, s65, 1
	s_mul_i32 s4, s6, s3
	s_mul_hi_u32 s5, s8, s3
	s_add_i32 s7, s5, s4
	s_mov_b32 s6, 0
	s_cmp_lg_u64 s[6:7], 0
	s_mul_i32 s3, s8, s3
	s_cbranch_scc0 .LBB19_337
; %bb.6:
	v_fmamk_f32 v2, v3, 0x4f800000, v2
	v_rcp_f32_e32 v2, v2
	s_sub_u32 s6, 0, s67
	s_subb_u32 s8, 0, 0
	v_mov_b32_e32 v5, 0
	v_mul_f32_e32 v2, 0x5f7ffffc, v2
	v_mul_f32_e32 v3, 0x2f800000, v2
	v_trunc_f32_e32 v3, v3
	v_fmamk_f32 v2, v3, 0xcf800000, v2
	v_cvt_u32_f32_e32 v6, v3
	v_cvt_u32_f32_e32 v7, v2
	v_mul_lo_u32 v2, s6, v6
	v_mul_hi_u32 v4, s6, v7
	v_mul_lo_u32 v3, s8, v7
	v_add_u32_e32 v2, v4, v2
	v_add_u32_e32 v8, v2, v3
	v_mul_lo_u32 v9, s6, v7
	v_mul_hi_u32 v3, v7, v8
	v_mul_lo_u32 v2, v7, v8
	v_mul_hi_u32 v4, v7, v9
	v_lshl_add_u64 v[2:3], v[4:5], 0, v[2:3]
	v_mul_hi_u32 v4, v6, v9
	v_mul_lo_u32 v9, v6, v9
	v_add_co_u32_e32 v2, vcc, v2, v9
	v_mul_hi_u32 v10, v6, v8
	s_nop 0
	v_addc_co_u32_e32 v4, vcc, v3, v4, vcc
	v_mul_lo_u32 v2, v6, v8
	s_nop 0
	v_addc_co_u32_e32 v3, vcc, 0, v10, vcc
	v_lshl_add_u64 v[2:3], v[4:5], 0, v[2:3]
	v_add_co_u32_e32 v7, vcc, v7, v2
	v_mul_lo_u32 v4, s6, v7
	s_nop 0
	v_addc_co_u32_e32 v6, vcc, v6, v3, vcc
	v_mul_lo_u32 v2, s6, v6
	v_mul_hi_u32 v3, s6, v7
	v_add_u32_e32 v2, v3, v2
	v_mul_lo_u32 v3, s8, v7
	v_add_u32_e32 v8, v2, v3
	v_mul_hi_u32 v10, v6, v4
	v_mul_lo_u32 v11, v6, v4
	v_mul_hi_u32 v3, v7, v8
	v_mul_lo_u32 v2, v7, v8
	v_mul_hi_u32 v4, v7, v4
	v_lshl_add_u64 v[2:3], v[4:5], 0, v[2:3]
	v_add_co_u32_e32 v2, vcc, v2, v11
	v_mul_hi_u32 v9, v6, v8
	s_nop 0
	v_addc_co_u32_e32 v4, vcc, v3, v10, vcc
	v_mul_lo_u32 v2, v6, v8
	s_nop 0
	v_addc_co_u32_e32 v3, vcc, 0, v9, vcc
	s_ashr_i32 s8, s7, 31
	v_lshl_add_u64 v[2:3], v[4:5], 0, v[2:3]
	s_add_u32 s6, s3, s8
	v_add_co_u32_e32 v7, vcc, v7, v2
	s_mov_b32 s9, s8
	s_addc_u32 s7, s7, s8
	v_addc_co_u32_e32 v6, vcc, v6, v3, vcc
	s_xor_b64 s[6:7], s[6:7], s[8:9]
	v_mul_hi_u32 v3, s6, v6
	v_mul_lo_u32 v2, s6, v6
	v_mul_hi_u32 v4, s6, v7
	v_lshl_add_u64 v[2:3], v[4:5], 0, v[2:3]
	v_mul_hi_u32 v4, s7, v7
	v_mul_lo_u32 v7, s7, v7
	v_add_co_u32_e32 v2, vcc, v2, v7
	v_mul_hi_u32 v8, s7, v6
	s_nop 0
	v_addc_co_u32_e32 v4, vcc, v3, v4, vcc
	v_mul_lo_u32 v2, s7, v6
	s_nop 0
	v_addc_co_u32_e32 v3, vcc, 0, v8, vcc
	v_lshl_add_u64 v[2:3], v[4:5], 0, v[2:3]
	v_lshl_add_u64 v[4:5], v[2:3], 0, 1
	;; [unrolled: 1-line block ×3, first 2 shown]
	v_mul_lo_u32 v3, s67, v3
	v_mul_hi_u32 v5, s67, v2
	v_add_u32_e32 v3, v5, v3
	v_mul_lo_u32 v5, s67, v2
	v_mov_b32_e32 v7, s7
	v_sub_co_u32_e32 v5, vcc, s6, v5
	s_nop 1
	v_subb_co_u32_e32 v3, vcc, v7, v3, vcc
	v_subrev_co_u32_e32 v7, vcc, s67, v5
	s_nop 1
	v_subbrev_co_u32_e32 v8, vcc, 0, v3, vcc
	v_cmp_le_u32_e32 vcc, s67, v7
	s_nop 1
	v_cndmask_b32_e64 v7, 0, -1, vcc
	v_cmp_eq_u32_e32 vcc, 0, v8
	s_nop 1
	v_cndmask_b32_e32 v7, -1, v7, vcc
	v_cmp_ne_u32_e32 vcc, 0, v7
	s_nop 1
	v_cndmask_b32_e32 v4, v4, v6, vcc
	v_cmp_le_u32_e32 vcc, s67, v5
	s_nop 1
	v_cndmask_b32_e64 v5, 0, -1, vcc
	v_cmp_eq_u32_e32 vcc, 0, v3
	s_nop 1
	v_cndmask_b32_e32 v3, -1, v5, vcc
	v_cmp_ne_u32_e32 vcc, 0, v3
	s_nop 1
	v_cndmask_b32_e32 v2, v2, v4, vcc
	v_xor_b32_e32 v2, s8, v2
	v_subrev_co_u32_e32 v26, vcc, s8, v2
	s_load_dwordx2 s[92:93], s[0:1], 0x5c
	s_cbranch_execnz .LBB19_8
.LBB19_7:
	v_rcp_iflag_f32_e32 v1, v1
	s_sub_i32 s4, 0, s67
	v_mul_f32_e32 v1, 0x4f7ffffe, v1
	v_cvt_u32_f32_e32 v1, v1
	v_mul_lo_u32 v2, s4, v1
	v_mul_hi_u32 v2, v1, v2
	v_add_u32_e32 v1, v1, v2
	v_mul_hi_u32 v1, s3, v1
	v_mul_lo_u32 v3, v1, s67
	v_sub_u32_e32 v3, s3, v3
	v_add_u32_e32 v2, 1, v1
	v_subrev_u32_e32 v4, s67, v3
	v_cmp_le_u32_e32 vcc, s67, v3
	s_nop 1
	v_cndmask_b32_e32 v3, v3, v4, vcc
	v_cndmask_b32_e32 v1, v1, v2, vcc
	v_add_u32_e32 v2, 1, v1
	v_cmp_le_u32_e32 vcc, s67, v3
	s_nop 1
	v_cndmask_b32_e32 v26, v1, v2, vcc
.LBB19_8:
	s_load_dwordx16 s[48:63], s[0:1], 0x0
	s_load_dwordx4 s[36:39], s[0:1], 0x40
	s_load_dword s3, s[0:1], 0x50
	s_load_dwordx2 s[4:5], s[0:1], 0x8c
	s_load_dwordx4 s[8:11], s[0:1], 0x98
	s_load_dwordx2 s[6:7], s[0:1], 0xa8
	s_load_dwordx2 s[34:35], s[0:1], 0xb8
	s_nop 0
	s_load_dwordx2 s[0:1], s[0:1], 0xc8
	s_ashr_i32 s68, s79, 3
	s_waitcnt lgkmcnt(0)
	s_ashr_i32 s90, s4, 2
	v_writelane_b32 v254, s3, 10
	v_writelane_b32 v254, s6, 11
	s_mov_b32 s3, s11
	s_ashr_i32 s66, s35, 1
	v_writelane_b32 v254, s7, 12
	v_writelane_b32 v254, s0, 13
	s_ashr_i32 s78, s10, 2
	v_bfe_u32 v120, v0, 10, 10
	v_writelane_b32 v254, s1, 14
	s_mov_b32 s1, s5
	v_readlane_b32 s6, v254, 1
	s_abs_i32 s73, s6
	v_cvt_f32_u32_e32 v1, s73
	v_writelane_b32 v254, s0, 15
	s_mov_b32 s87, 0
	v_lshlrev_b32_e32 v119, 1, v120
	v_rcp_iflag_f32_e32 v1, v1
	v_writelane_b32 v254, s1, 16
	s_mov_b64 s[0:1], s[8:9]
	v_writelane_b32 v254, s0, 17
	v_mul_f32_e32 v1, 0x4f7ffffe, v1
	v_cvt_u32_f32_e32 v1, v1
	v_writelane_b32 v254, s1, 18
	v_writelane_b32 v254, s2, 19
	;; [unrolled: 1-line block ×3, first 2 shown]
	s_sub_i32 s3, 0, s73
	v_readfirstlane_b32 s4, v1
	s_mul_i32 s3, s3, s4
	s_ashr_i32 s1, s6, 31
	s_mul_hi_u32 s3, s4, s3
	v_writelane_b32 v254, s1, 21
	s_abs_i32 s1, s2
	s_add_i32 s64, s4, s3
	s_mul_hi_u32 s3, s1, s64
	s_mul_i32 s3, s3, s73
	s_sub_i32 s1, s1, s3
	s_ashr_i32 s0, s2, 31
	s_sub_i32 s3, s1, s73
	s_cmp_ge_u32 s1, s73
	s_cselect_b32 s1, s3, s1
	s_sub_i32 s3, s1, s73
	s_cmp_ge_u32 s1, s73
	s_cselect_b32 s1, s3, s1
	s_xor_b32 s1, s1, s0
	s_sub_i32 s46, s1, s0
	v_subrev_u32_e32 v1, s2, v26
	v_add_u32_e32 v1, s46, v1
	v_min_i32_e32 v108, s6, v1
	v_cmp_gt_i32_e64 s[0:1], s6, v1
	s_mov_b64 s[4:5], s[48:49]
	s_mov_b64 s[6:7], s[50:51]
	;; [unrolled: 1-line block ×8, first 2 shown]
	v_writelane_b32 v254, s48, 22
	v_cvt_f16_f32_e32 v1, s36
	v_cmp_ge_i32_e32 vcc, s2, v26
	v_writelane_b32 v254, s49, 23
	v_writelane_b32 v254, s50, 24
	;; [unrolled: 1-line block ×13, first 2 shown]
	s_or_b64 s[0:1], s[0:1], vcc
	v_writelane_b32 v254, s62, 36
	v_cmp_lt_i32_e64 s[26:27], s2, v26
	s_and_b64 vcc, exec, s[0:1]
	v_pack_b32_f16 v27, v1, v1
	v_lshlrev_b32_e32 v118, 2, v120
	v_lshlrev_b32_e32 v122, 3, v120
	;; [unrolled: 1-line block ×3, first 2 shown]
	v_and_b32_e32 v123, 1, v120
	v_writelane_b32 v254, s63, 37
	s_cbranch_vccz .LBB19_11
; %bb.9:
	s_andn2_b64 vcc, exec, s[26:27]
	s_cbranch_vccz .LBB19_287
.LBB19_10:
	s_endpgm
.LBB19_11:
	s_mov_b64 s[62:63], s[18:19]
	s_mov_b64 s[54:55], s[10:11]
	s_cmp_lg_u64 s[54:55], 0
	v_writelane_b32 v254, s67, 38
	s_cselect_b64 s[0:1], -1, 0
	s_mov_b64 s[56:57], s[12:13]
	v_writelane_b32 v254, s0, 39
	s_cmp_eq_u64 s[56:57], 0
	v_and_b32_e32 v28, 0x3ff, v0
	v_writelane_b32 v254, s1, 40
	s_mul_i32 s0, s76, s77
	v_writelane_b32 v254, s0, 41
	s_cselect_b64 s[0:1], -1, 0
	v_lshrrev_b32_e32 v6, 3, v28
	v_writelane_b32 v254, s0, 42
	v_and_b32_e32 v32, 15, v28
	v_and_b32_e32 v7, 30, v6
	s_mov_b64 s[60:61], s[16:17]
	s_mov_b64 s[58:59], s[14:15]
	;; [unrolled: 1-line block ×5, first 2 shown]
	v_writelane_b32 v254, s1, 43
	s_mov_b64 s[6:7], s[38:39]
	s_mov_b32 s5, s37
	v_mul_u32_u24_e32 v5, 0xf0, v32
	v_lshlrev_b32_e32 v8, 2, v7
	v_writelane_b32 v254, s4, 44
	v_add3_u32 v59, 0, v5, v8
	v_mul_u32_u24_e32 v5, 0x90, v120
	v_lshlrev_b32_e32 v36, 1, v28
	v_writelane_b32 v254, s5, 45
	v_add3_u32 v125, 0, v5, v36
	v_lshrrev_b32_e32 v5, 1, v28
	v_lshlrev_b32_e32 v8, 2, v28
	v_writelane_b32 v254, s6, 46
	s_movk_i32 s3, 0xf0
	v_lshl_add_u32 v140, v120, 5, v5
	v_and_b32_e32 v40, 4, v8
	v_writelane_b32 v254, s7, 47
	v_add_u32_e32 v41, v122, v6
	v_and_b32_e32 v34, 7, v28
	v_mad_u32_u24 v5, v140, s3, 0
	v_lshlrev_b32_e32 v9, 2, v40
	s_movk_i32 s4, 0xc0
	v_mad_u32_u24 v4, v41, 60, v34
	v_add3_u32 v141, v5, v9, s4
	v_lshrrev_b32_e32 v5, 2, v28
	v_lshl_add_u32 v57, v4, 2, 0
	v_and_b32_e32 v4, 0x7f0, v122
	v_and_b32_e32 v11, 16, v121
	;; [unrolled: 1-line block ×3, first 2 shown]
	v_mad_u32_u24 v124, v4, s3, v59
	s_movk_i32 s10, 0x90
	v_mul_u32_u24_e32 v144, 0xf0, v11
	v_add_u32_e32 v145, v11, v12
	v_or_b32_e32 v4, v4, v32
	v_add_u16_e32 v11, v11, v12
	v_mad_u32_u24 v4, v4, s10, 0
	v_lshrrev_b16_e32 v11, 1, v11
	v_add_u32_e32 v147, 32, v145
	v_add_u32_e32 v149, 34, v145
	;; [unrolled: 1-line block ×3, first 2 shown]
	v_lshl_add_u32 v146, v11, 2, v4
	v_lshl_add_u32 v148, v147, 1, v4
	;; [unrolled: 1-line block ×3, first 2 shown]
	v_or_b32_e32 v4, 3, v5
	v_mul_u32_u24_e32 v5, 0x78, v12
	v_and_b32_e32 v13, 8, v122
	s_movk_i32 s26, 0x1e0
	v_cmp_nle_f32_e64 s[0:1], s37, 0
	v_mul_u32_u24_e32 v11, 0xf0, v12
	v_or_b32_e32 v5, v5, v32
	v_mul_u32_u24_e32 v14, 0x1e0, v13
	v_mad_u32_u24 v15, v13, s26, 0
	v_lshlrev_b32_e32 v16, 1, v32
	v_writelane_b32 v254, s0, 48
	s_cmp_lg_u64 s[58:59], 0
	v_mul_u32_u24_e32 v4, 0xf0, v4
	v_lshlrev_b32_e32 v5, 1, v5
	v_add3_u32 v152, v15, v11, v16
	v_add3_u32 v11, 0, 32, v14
	v_writelane_b32 v254, s1, 49
	s_cselect_b64 s[0:1], -1, 0
	v_add_u32_e32 v151, v15, v5
	v_add3_u32 v153, v15, v4, v16
	v_add_u32_e32 v156, v11, v5
	v_mad_u32_u24 v15, v12, s3, v11
	v_add3_u32 v158, v11, v4, v16
	v_add3_u32 v11, 0, 64, v14
	s_add_i32 s28, 0, 0x60
	v_add_u32_e32 v160, v11, v5
	v_mad_u32_u24 v14, v12, s3, v11
	v_add3_u32 v162, v11, v4, v16
	v_mov_b32_e32 v11, s28
	s_movk_i32 s27, 0x1e00
	v_mad_u32_u24 v11, v13, s26, v11
	s_add_i32 s29, 0, 0x80
	v_add3_u32 v161, v14, v16, s27
	v_add_u32_e32 v164, v11, v5
	v_mad_u32_u24 v14, v12, s3, v11
	v_add3_u32 v166, v11, v4, v16
	v_mov_b32_e32 v11, s29
	v_mad_u32_u24 v11, v13, s26, v11
	s_add_i32 s29, 0, 0xa0
	v_add3_u32 v165, v14, v16, s27
	v_add_u32_e32 v168, v11, v5
	v_mad_u32_u24 v14, v12, s3, v11
	v_add3_u32 v170, v11, v4, v16
	v_mov_b32_e32 v11, s29
	;; [unrolled: 7-line block ×3, first 2 shown]
	v_mad_u32_u24 v11, v13, s26, v11
	v_writelane_b32 v254, s0, 50
	v_add_u32_e32 v176, v11, v5
	v_mad_u32_u24 v5, v12, s3, v11
	v_writelane_b32 v254, s1, 51
	v_add3_u32 v157, v15, v16, s27
	v_add3_u32 v173, v14, v16, s27
	;; [unrolled: 1-line block ×3, first 2 shown]
	v_cmp_eq_u32_e64 s[26:27], 0, v123
	v_and_b32_e32 v56, 12, v8
	v_mad_u32_u24 v9, v142, s3, 0
	v_writelane_b32 v254, s26, 52
	s_movk_i32 s28, 0x80
	v_add3_u32 v178, v11, v4, v16
	v_writelane_b32 v254, s27, 53
	v_cmp_eq_u32_e64 s[26:27], 1, v123
	v_lshlrev_b32_e32 v4, 2, v56
	v_and_b32_e32 v58, 28, v8
	v_writelane_b32 v254, s26, 54
	v_lshrrev_b32_e32 v1, 5, v28
	v_mul_u32_u24_e32 v10, 0xf0, v41
	v_writelane_b32 v254, s27, 55
	v_cmp_gt_u32_e64 s[26:27], 16, v28
	v_add3_u32 v179, v9, v4, s28
	v_lshlrev_b32_e32 v4, 2, v58
	v_writelane_b32 v254, s26, 56
	v_and_b32_e32 v30, 31, v28
	v_add_u32_e32 v29, v1, v119
	v_writelane_b32 v254, s27, 57
	v_cmp_gt_u32_e64 s[26:27], 32, v28
	v_lshrrev_b32_e32 v3, 4, v28
	v_add3_u32 v180, 0, v10, v4
	v_add_u32_e32 v4, v121, v28
	v_writelane_b32 v254, s26, 58
	s_lshl_b32 s86, s65, 5
	v_add_u32_e32 v31, v3, v118
	s_ashr_i32 s67, s66, 31
	s_ashr_i32 s91, s90, 31
	;; [unrolled: 1-line block ×3, first 2 shown]
	v_mul_u32_u24_e32 v187, 0xf0, v4
	v_add_u32_e32 v4, v121, v30
	v_writelane_b32 v254, s27, 59
	s_lshl_b64 s[26:27], s[86:87], 3
	v_add_u32_e32 v190, v1, v120
	v_mad_u32_u24 v1, v29, 60, v30
	v_mov_b32_e32 v2, 0
	v_mul_u32_u24_e32 v188, 0xf0, v4
	s_add_u32 s26, s62, s26
	v_or_b32_e32 v4, v122, v28
	v_lshl_add_u32 v193, v1, 2, 0
	v_mad_u32_u24 v1, v31, 60, v32
	s_addc_u32 s27, s63, s27
	v_lshlrev_b32_e32 v4, 3, v4
	v_mov_b32_e32 v5, v2
	v_add_u32_e32 v191, v3, v119
	v_lshl_add_u32 v197, v1, 2, 0
	v_lshlrev_b32_e32 v1, 1, v190
	v_and_b32_e32 v3, 15, v190
	s_movk_i32 s3, 0x3e0
	v_lshl_add_u64 v[60:61], s[26:27], 0, v[4:5]
	v_or_b32_e32 v4, v121, v32
	v_and_or_b32 v1, v1, s3, v3
	v_mad_u32_u24 v4, v4, 60, v7
	v_mul_u32_u24_e32 v199, 0xf0, v1
	v_mad_u32_u24 v1, v1, 60, v30
	v_add_u32_e32 v201, 4, v190
	v_lshl_add_u32 v189, v4, 2, 0
	v_lshl_add_u32 v200, v1, 2, 0
	v_lshlrev_b32_e32 v1, 1, v201
	v_and_b32_e32 v4, 15, v201
	s_movk_i32 s3, 0x7e0
	v_and_or_b32 v1, v1, s3, v4
	v_mul_u32_u24_e32 v202, 0xf0, v1
	v_mad_u32_u24 v1, v1, 60, v30
	v_add_u32_e32 v204, 8, v190
	v_lshl_add_u32 v203, v1, 2, 0
	v_lshlrev_b32_e32 v1, 1, v204
	v_and_b32_e32 v4, 15, v204
	v_and_or_b32 v1, v1, s3, v4
	v_mul_u32_u24_e32 v205, 0xf0, v1
	v_mad_u32_u24 v1, v1, 60, v30
	v_add_u32_e32 v207, 12, v190
	v_lshl_add_u32 v206, v1, 2, 0
	v_lshlrev_b32_e32 v1, 1, v207
	v_and_b32_e32 v4, 15, v207
	v_and_or_b32 v1, v1, s3, v4
	v_mul_u32_u24_e32 v4, 0xf0, v1
	v_mad_u32_u24 v1, v1, 60, v30
	v_lshl_add_u32 v1, v1, 2, 0
	scratch_store_dword off, v1, off offset:20 ; 4-byte Folded Spill
	v_add_u32_e32 v1, 16, v190
	v_lshlrev_b32_e32 v1, 1, v1
	v_and_or_b32 v1, v1, s3, v3
	v_mul_u32_u24_e32 v3, 0xf0, v1
	v_mad_u32_u24 v1, v1, 60, v30
	v_lshl_add_u32 v1, v1, 2, 0
	v_add_u32_e32 v213, 20, v190
	scratch_store_dword off, v3, off offset:32 ; 4-byte Folded Spill
	scratch_store_dword off, v1, off offset:36 ; 4-byte Folded Spill
	v_lshlrev_b32_e32 v1, 1, v213
	v_and_b32_e32 v3, 15, v213
	v_and_or_b32 v1, v1, s3, v3
	v_mul_u32_u24_e32 v3, 0xf0, v1
	v_mad_u32_u24 v1, v1, 60, v30
	v_lshl_add_u32 v1, v1, 2, 0
	v_add_u32_e32 v216, 24, v190
	scratch_store_dword off, v3, off offset:40 ; 4-byte Folded Spill
	scratch_store_dword off, v1, off offset:44 ; 4-byte Folded Spill
	v_lshlrev_b32_e32 v1, 1, v216
	v_and_b32_e32 v3, 15, v216
	v_and_or_b32 v1, v1, s3, v3
	v_mul_u32_u24_e32 v3, 0xf0, v1
	v_mad_u32_u24 v1, v1, 60, v30
	scratch_store_dword off, v3, off offset:48 ; 4-byte Folded Spill
	v_lshl_add_u32 v1, v1, 2, 0
	v_add_u32_e32 v3, 28, v190
	scratch_store_dword off, v1, off offset:52 ; 4-byte Folded Spill
	v_lshlrev_b32_e32 v1, 1, v3
	v_and_b32_e32 v3, 15, v3
	v_and_or_b32 v1, v1, s3, v3
	v_mul_u32_u24_e32 v3, 0xf0, v1
	v_mad_u32_u24 v1, v1, 60, v30
	v_lshl_add_u32 v1, v1, 2, 0
	scratch_store_dword off, v3, off offset:56 ; 4-byte Folded Spill
	scratch_store_dword off, v1, off offset:60 ; 4-byte Folded Spill
	v_lshlrev_b32_e32 v1, 1, v191
	v_and_b32_e32 v3, 15, v191
	v_and_or_b32 v1, v1, s3, v3
	v_mul_u32_u24_e32 v222, 0xf0, v1
	v_mad_u32_u24 v1, v1, 60, v32
	v_add_u32_e32 v224, 8, v191
	scratch_store_dword off, v4, off offset:16 ; 4-byte Folded Spill
	v_lshl_add_u32 v223, v1, 2, 0
	v_lshlrev_b32_e32 v1, 1, v224
	v_and_b32_e32 v4, 15, v224
	s_movk_i32 s3, 0xfe0
	v_and_or_b32 v1, v1, s3, v4
	v_mul_u32_u24_e32 v225, 0xf0, v1
	v_mad_u32_u24 v1, v1, 60, v32
	v_add_u32_e32 v227, 16, v191
	v_lshl_add_u32 v226, v1, 2, 0
	v_lshlrev_b32_e32 v1, 1, v227
	v_and_or_b32 v1, v1, s3, v3
	v_mul_u32_u24_e32 v232, 0xf0, v1
	v_mad_u32_u24 v1, v1, 60, v32
	v_add_u32_e32 v219, 24, v191
	v_lshl_add_u32 v210, v1, 2, 0
	v_lshlrev_b32_e32 v1, 1, v219
	v_and_b32_e32 v3, 15, v219
	v_and_or_b32 v1, v1, s3, v3
	v_mul_u32_u24_e32 v3, 0xf0, v1
	v_mad_u32_u24 v1, v1, 60, v32
	v_add_u32_e32 v192, v6, v118
	v_lshl_add_u32 v1, v1, 2, 0
	scratch_store_dword off, v3, off offset:24 ; 4-byte Folded Spill
	scratch_store_dword off, v1, off offset:28 ; 4-byte Folded Spill
	v_lshlrev_b32_e32 v1, 1, v192
	v_and_b32_e32 v3, 15, v192
	v_and_or_b32 v1, v1, s3, v3
	v_mul_u32_u24_e32 v233, 0xf0, v1
	v_mad_u32_u24 v1, v1, 60, v34
	v_add_u32_e32 v235, 16, v192
	v_writelane_b32 v254, s65, 60
	v_lshl_add_u32 v234, v1, 2, 0
	v_lshlrev_b32_e32 v1, 1, v235
	s_movk_i32 s3, 0x1fe0
	v_and_or_b32 v1, v1, s3, v3
	v_readlane_b32 s3, v254, 7
	v_mul_u32_u24_e32 v236, 0xf0, v1
	v_mad_u32_u24 v1, v1, 60, v34
	s_ashr_i32 s26, s3, 31
	s_abs_i32 s3, s3
	v_lshl_add_u32 v237, v1, 2, 0
	v_cvt_f32_u32_e32 v1, s3
	v_writelane_b32 v254, s26, 61
	v_writelane_b32 v254, s3, 62
	s_sub_i32 s3, 0, s3
	v_rcp_iflag_f32_e32 v1, v1
                                        ; implicit-def: $vgpr255 : SGPR spill to VGPR lane
	v_mul_lo_u32 v48, s78, v140
	v_ashrrev_i32_e32 v49, 31, v48
	v_mul_lo_u32 v38, s90, v140
	v_mul_f32_e32 v1, 0x4f7ffffe, v1
	v_cvt_u32_f32_e32 v1, v1
	v_ashrrev_i32_e32 v39, 31, v38
	v_mul_lo_u32 v54, s78, v142
	v_mul_lo_u32 v42, s90, v142
	v_readfirstlane_b32 s26, v1
	s_mul_i32 s3, s3, s26
	s_mul_hi_u32 s3, s26, s3
	s_add_i32 s3, s26, s3
	v_writelane_b32 v254, s3, 63
	v_ashrrev_i32_e32 v55, 31, v54
	v_readlane_b32 s3, v254, 6
	s_abs_i32 s72, s3
	v_cvt_f32_u32_e32 v1, s72
	s_ashr_i32 s26, s3, 31
	v_writelane_b32 v255, s26, 0
	s_sub_i32 s3, 0, s72
	v_rcp_iflag_f32_e32 v1, v1
	v_ashrrev_i32_e32 v43, 31, v42
	v_mul_lo_u32 v44, s90, v41
	v_add_u32_e32 v143, 32, v41
	v_mul_f32_e32 v1, 0x4f7ffffe, v1
	v_cvt_u32_f32_e32 v1, v1
	v_mul_lo_u32 v52, s78, v41
	v_ashrrev_i32_e32 v45, 31, v44
	v_lshl_add_u32 v46, s90, 5, v44
	v_readfirstlane_b32 s26, v1
	s_mul_i32 s3, s3, s26
	s_mul_hi_u32 s3, s26, s3
	s_add_i32 s3, s26, s3
	v_writelane_b32 v255, s3, 1
	v_readlane_b32 s3, v254, 3
	s_abs_i32 s74, s3
	v_cvt_f32_u32_e32 v1, s74
	s_ashr_i32 s26, s3, 31
	v_writelane_b32 v255, s26, 2
	s_sub_i32 s3, 0, s74
	v_rcp_iflag_f32_e32 v1, v1
	v_mul_lo_u32 v50, s78, v143
	v_ashrrev_i32_e32 v53, 31, v52
	v_ashrrev_i32_e32 v47, 31, v46
	v_mul_f32_e32 v1, 0x4f7ffffe, v1
	v_cvt_u32_f32_e32 v1, v1
	v_ashrrev_i32_e32 v51, 31, v50
	s_mov_b64 s[88:89], src_private_base
	v_cmp_lt_u32_e64 s[0:1], 63, v28
	v_readfirstlane_b32 s26, v1
	s_mul_i32 s3, s3, s26
	s_mul_hi_u32 s3, s26, s3
	s_add_i32 s3, s26, s3
	v_writelane_b32 v255, s3, 3
	s_abs_i32 s3, s34
	v_cvt_f32_u32_e32 v1, s3
	s_mov_b32 s26, s34
	v_writelane_b32 v255, s26, 4
	s_mov_b64 s[34:35], 0x80
	v_rcp_iflag_f32_e32 v1, v1
	v_writelane_b32 v255, s27, 5
	v_writelane_b32 v255, s3, 6
	s_sub_i32 s3, 0, s3
	v_mul_f32_e32 v1, 0x4f7ffffe, v1
	v_cvt_u32_f32_e32 v1, v1
	s_mov_b64 s[26:27], 0xc0
	v_add_u32_e32 v126, 4, v120
	v_add_u32_e32 v127, 0x240, v125
	v_mul_lo_u32 v3, s3, v1
	v_mul_hi_u32 v3, v1, v3
	v_add_u32_e32 v238, v1, v3
	v_and_b32_e32 v1, 1, v28
	v_lshlrev_b32_e32 v4, 4, v1
	v_lshl_add_u64 v[6:7], v[48:49], 2, v[4:5]
	v_lshl_add_u64 v[6:7], v[6:7], 0, s[52:53]
	v_and_b32_e32 v1, 3, v28
	v_lshl_add_u64 v[62:63], v[6:7], 0, s[26:27]
	v_lshlrev_b32_e32 v6, 4, v1
	v_mov_b32_e32 v7, v2
	v_lshl_add_u64 v[4:5], v[38:39], 2, v[4:5]
	v_lshl_add_u64 v[8:9], v[54:55], 2, v[6:7]
	;; [unrolled: 1-line block ×6, first 2 shown]
	s_mov_b32 s26, s66
	v_lshl_add_u64 v[64:65], v[8:9], 0, s[34:35]
	v_lshlrev_b32_e32 v8, 4, v34
	v_mov_b32_e32 v9, v2
	v_lshl_add_u64 v[4:5], v[4:5], 0, s[50:51]
	v_writelane_b32 v255, s26, 7
	v_lshl_add_u64 v[10:11], v[52:53], 2, v[8:9]
	v_lshl_add_u64 v[72:73], v[4:5], 0, s[34:35]
	;; [unrolled: 1-line block ×3, first 2 shown]
	v_writelane_b32 v255, s27, 8
	s_lshl_b64 s[26:27], s[66:67], 1
                                        ; implicit-def: $vgpr1
	v_lshl_add_u64 v[66:67], s[52:53], 0, v[10:11]
	v_lshl_add_u64 v[10:11], v[50:51], 2, v[8:9]
	;; [unrolled: 1-line block ×4, first 2 shown]
	v_writelane_b32 v255, s26, 9
	v_mbcnt_lo_u32_b32 v1, -1, 0
	v_add_u32_e32 v128, 8, v120
	v_add_u32_e32 v129, 0x480, v125
	;; [unrolled: 1-line block ×12, first 2 shown]
	s_mov_b32 s88, 0
	v_cmp_gt_u32_e64 s[98:99], 64, v140
	v_cmp_gt_u32_e64 s[4:5], 64, v142
	;; [unrolled: 1-line block ×12, first 2 shown]
	v_add_u32_e32 v154, 0x1e00, v152
	v_add_u32_e32 v155, 32, v152
	v_add_u32_e32 v159, 64, v152
	v_add_u32_e32 v163, 0x60, v152
	v_add_u32_e32 v167, 0x80, v152
	v_add_u32_e32 v171, 0xa0, v152
	v_add_u32_e32 v175, 0xc0, v152
	v_add_u32_e32 v181, 0x1e00, v180
	v_or_b32_e32 v182, 1, v145
	v_or_b32_e32 v183, 2, v145
	;; [unrolled: 1-line block ×3, first 2 shown]
	v_add_u32_e32 v185, 33, v145
	v_add_u32_e32 v186, 35, v145
	s_mul_i32 s65, s77, 56
	v_add_u32_e32 v194, 8, v29
	v_add_u32_e32 v195, 16, v29
	;; [unrolled: 1-line block ×4, first 2 shown]
	v_mov_b32_e32 v33, v2
	v_mov_b32_e32 v35, v2
	s_lshl_b64 s[96:97], s[78:79], 8
	v_lshl_add_u64 v[68:69], s[52:53], 0, v[10:11]
	s_lshl_b64 s[28:29], s[90:91], 8
	v_lshl_add_u64 v[76:77], s[50:51], 0, v[4:5]
	v_mov_b32_e32 v37, v2
	v_writelane_b32 v255, s27, 10
	v_mov_b32_e32 v239, 0x3e91f4c4
	s_mov_b32 s71, 0x42b17218
	s_mov_b32 s67, 0x3fb8aa3b
	s_mov_b32 s77, 0xc2ce8ed0
	s_mov_b32 s66, 0xc1a00000
	s_mov_b32 s69, 0x5040100
	s_movk_i32 s70, 0x47
	v_mov_b32_e32 v240, 0x37000000
	v_mov_b32_e32 v241, 0x7f800000
	;; [unrolled: 1-line block ×3, first 2 shown]
	v_mbcnt_hi_u32_b32 v243, -1, v1
	s_branch .LBB19_14
.LBB19_12:                              ;   in Loop: Header=BB19_14 Depth=1
	s_or_b64 exec, exec, s[26:27]
	s_barrier
.LBB19_13:                              ;   in Loop: Header=BB19_14 Depth=1
	v_readlane_b32 s30, v254, 1
	s_add_i32 s2, s2, s30
	s_abs_i32 s26, s2
	s_mul_hi_u32 s27, s26, s64
	s_mul_i32 s27, s27, s73
	s_sub_i32 s26, s26, s27
	s_ashr_i32 s3, s2, 31
	s_sub_i32 s27, s26, s73
	s_cmp_ge_u32 s26, s73
	s_cselect_b32 s26, s27, s26
	s_sub_i32 s27, s26, s73
	s_cmp_ge_u32 s26, s73
	s_cselect_b32 s26, s27, s26
	s_xor_b32 s26, s26, s3
	s_sub_i32 s3, s3, s26
	s_add_i32 s2, s2, s3
	v_subrev_u32_e32 v1, s2, v26
	v_cmp_lt_i32_e64 s[26:27], s2, v26
	v_cmp_le_i32_e32 vcc, s30, v1
	v_min_i32_e32 v108, s30, v1
	s_and_b64 s[30:31], vcc, s[26:27]
	s_mov_b32 s46, 0
	s_and_b64 vcc, exec, s[30:31]
	s_cbranch_vccz .LBB19_286
.LBB19_14:                              ; =>This Loop Header: Depth=1
                                        ;     Child Loop BB19_190 Depth 2
                                        ;     Child Loop BB19_50 Depth 2
	s_ashr_i32 s3, s2, 31
	v_readlane_b32 s26, v254, 61
	s_xor_b32 s3, s3, s26
	s_abs_i32 s26, s2
	v_readlane_b32 s27, v254, 63
	s_mul_hi_u32 s27, s26, s27
	v_readlane_b32 s33, v254, 62
	s_mul_i32 s30, s27, s33
	s_sub_i32 s26, s26, s30
	s_add_i32 s30, s27, 1
	s_sub_i32 s31, s26, s33
	s_cmp_ge_u32 s26, s33
	s_cselect_b32 s27, s30, s27
	s_cselect_b32 s26, s31, s26
	s_add_i32 s30, s27, 1
	s_cmp_ge_u32 s26, s33
	s_cselect_b32 s26, s30, s27
	s_xor_b32 s26, s26, s3
	s_sub_i32 s30, s26, s3
	v_readlane_b32 s26, v254, 39
	v_readlane_b32 s27, v254, 40
	s_andn2_b64 vcc, exec, s[26:27]
	s_ashr_i32 s31, s30, 31
	s_cbranch_vccnz .LBB19_16
; %bb.15:                               ;   in Loop: Header=BB19_14 Depth=1
	s_abs_i32 s3, s30
	v_mul_hi_u32 v1, s3, v238
	v_readlane_b32 s26, v255, 6
	v_readlane_b32 s48, v254, 22
	;; [unrolled: 1-line block ×3, first 2 shown]
	v_mul_lo_u32 v1, v1, s26
	v_sub_u32_e32 v1, s3, v1
	v_subrev_u32_e32 v3, s26, v1
	v_cmp_le_u32_e32 vcc, s26, v1
	v_readlane_b32 s55, v254, 29
	v_readlane_b32 s49, v254, 23
	v_cndmask_b32_e32 v1, v1, v3, vcc
	v_subrev_u32_e32 v3, s26, v1
	v_cmp_le_u32_e32 vcc, s26, v1
	v_readlane_b32 s26, v254, 13
	v_readlane_b32 s27, v254, 14
	v_cndmask_b32_e32 v1, v1, v3, vcc
	v_xor_b32_e32 v1, s31, v1
	v_subrev_u32_e32 v1, s31, v1
	v_ashrrev_i32_e32 v3, 31, v1
	v_mul_lo_u32 v4, v1, s27
	v_mul_hi_u32 v5, v1, s26
	v_add_u32_e32 v4, v5, v4
	v_mul_lo_u32 v3, v3, s26
	v_add_u32_e32 v5, v4, v3
	v_mul_lo_u32 v4, v1, s26
	v_lshl_add_u64 v[80:81], s[54:55], 0, v[4:5]
	v_readlane_b32 s50, v254, 24
	v_readlane_b32 s51, v254, 25
	;; [unrolled: 1-line block ×12, first 2 shown]
	s_branch .LBB19_17
.LBB19_16:                              ;   in Loop: Header=BB19_14 Depth=1
	v_mov_b64_e32 v[80:81], 0
.LBB19_17:                              ;   in Loop: Header=BB19_14 Depth=1
	v_readlane_b32 s3, v254, 7
	s_mul_i32 s3, s30, s3
	s_sub_i32 s3, s2, s3
	s_ashr_i32 s26, s3, 31
	v_readlane_b32 s27, v255, 0
	s_xor_b32 s26, s26, s27
	s_abs_i32 s27, s3
	v_readlane_b32 s33, v255, 1
	s_mul_hi_u32 s36, s27, s33
	s_mul_i32 s37, s36, s72
	s_sub_i32 s27, s27, s37
	s_add_i32 s37, s36, 1
	s_sub_i32 s38, s27, s72
	s_cmp_ge_u32 s27, s72
	s_cselect_b32 s36, s37, s36
	s_cselect_b32 s27, s38, s27
	s_add_i32 s37, s36, 1
	s_cmp_ge_u32 s27, s72
	s_cselect_b32 s27, s37, s36
	s_xor_b32 s27, s27, s26
	s_sub_i32 s42, s27, s26
	v_readlane_b32 s26, v254, 6
	s_mul_i32 s26, s42, s26
	s_sub_i32 s3, s3, s26
	s_ashr_i32 s26, s3, 31
	v_readlane_b32 s27, v255, 2
	s_xor_b32 s26, s26, s27
	s_abs_i32 s27, s3
	v_readlane_b32 s33, v255, 3
	s_mul_hi_u32 s36, s27, s33
	s_mul_i32 s37, s36, s74
	s_sub_i32 s27, s27, s37
	s_add_i32 s37, s36, 1
	s_sub_i32 s38, s27, s74
	s_cmp_ge_u32 s27, s74
	s_cselect_b32 s36, s37, s36
	s_cselect_b32 s27, s38, s27
	s_add_i32 s37, s36, 1
	s_cmp_ge_u32 s27, s74
	s_cselect_b32 s27, s37, s36
	s_xor_b32 s27, s27, s26
	s_sub_i32 s27, s27, s26
	v_readlane_b32 s26, v254, 2
	v_readlane_b32 s36, v254, 48
	s_mul_i32 s26, s42, s26
	v_readlane_b32 s37, v254, 49
	s_add_i32 s26, s26, s27
	s_andn2_b64 vcc, exec, s[36:37]
	v_mov_b32_e32 v84, 1.0
	s_cbranch_vccnz .LBB19_19
; %bb.18:                               ;   in Loop: Header=BB19_14 Depth=1
	v_readlane_b32 s37, v254, 10
	s_sub_i32 s36, s26, s37
	s_lshl_b32 s36, s36, 1
	s_add_i32 s38, s26, 1
	s_or_b32 s39, s36, 1
	s_cmp_lt_u32 s26, s37
	v_readlane_b32 s48, v254, 44
	s_cselect_b64 vcc, -1, 0
	v_readlane_b32 s50, v254, 46
	v_readlane_b32 s51, v254, 47
	s_and_b64 s[36:37], vcc, exec
	v_mov_b32_e32 v3, s50
	v_mov_b32_e32 v1, s51
	s_cselect_b32 s36, s38, s39
	v_cndmask_b32_e32 v3, v1, v3, vcc
	v_cvt_f32_i32_e32 v1, s36
	v_cmp_neq_f32_e32 vcc, 1.0, v3
	s_mov_b32 s33, 0x3f2aaaab
	s_mov_b32 s38, 0x7f800000
	v_cndmask_b32_e32 v20, 1.0, v1, vcc
	v_cmp_eq_f32_e32 vcc, 0, v20
	v_cmp_gt_f32_e64 s[40:41], 0, v20
	v_readlane_b32 s49, v254, 45
	v_cndmask_b32_e64 v21, |v3|, 1.0, vcc
	v_frexp_mant_f32_e32 v1, v21
	v_cmp_gt_f32_e64 s[36:37], s33, v1
	s_mov_b32 s33, 0x3f317218
	v_cndmask_b32_e64 v3, v3, 1.0, vcc
	v_cndmask_b32_e64 v4, 1.0, 2.0, s[36:37]
	v_mul_f32_e32 v1, v1, v4
	v_add_f32_e32 v4, 1.0, v1
	v_rcp_f32_e32 v12, v4
	v_add_f32_e32 v5, -1.0, v4
	v_sub_f32_e32 v7, v1, v5
	v_add_f32_e32 v5, -1.0, v1
	v_mul_f32_e32 v1, v5, v12
	v_mul_f32_e32 v6, v4, v1
	v_fma_f32 v8, v1, v4, -v6
	v_fmac_f32_e32 v8, v1, v7
	v_add_f32_e32 v4, v6, v8
	v_sub_f32_e32 v7, v5, v4
	v_pk_add_f32 v[10:11], v[4:5], v[6:7] neg_lo:[0,1] neg_hi:[0,1]
	v_mov_b32_e32 v9, v4
	v_pk_add_f32 v[4:5], v[10:11], v[8:9] neg_lo:[0,1] neg_hi:[0,1]
	s_nop 0
	v_add_f32_e32 v4, v4, v5
	v_add_f32_e32 v4, v7, v4
	v_mul_f32_e32 v5, v12, v4
	v_add_f32_e32 v4, v1, v5
	v_sub_f32_e32 v1, v4, v1
	v_sub_f32_e32 v1, v5, v1
	v_mul_f32_e32 v5, v4, v4
	v_fma_f32 v7, v4, v4, -v5
	v_add_f32_e32 v6, v1, v1
	v_fmac_f32_e32 v7, v4, v6
	v_add_f32_e32 v6, v5, v7
	v_fmamk_f32 v8, v6, 0x3e76c4e1, v239
	v_fmaak_f32 v8, v6, v8, 0x3ecccdef
	v_sub_f32_e32 v5, v6, v5
	v_sub_f32_e32 v14, v7, v5
	v_mul_f32_e32 v5, v6, v8
	v_fma_f32 v7, v6, v8, -v5
	v_fmac_f32_e32 v7, v14, v8
	v_add_f32_e32 v8, v5, v7
	v_add_f32_e32 v9, 0x3f2aaaaa, v8
	v_sub_f32_e32 v5, v8, v5
	v_sub_f32_e32 v5, v7, v5
	v_add_f32_e32 v7, 0xbf2aaaaa, v9
	v_add_f32_e32 v5, 0x31739010, v5
	v_sub_f32_e32 v7, v8, v7
	v_pk_mul_f32 v[10:11], v[4:5], v[6:7]
	v_pk_add_f32 v[12:13], v[4:5], v[6:7]
	v_fma_f32 v8, v6, v4, -v10
	v_fmac_f32_e32 v8, v6, v1
	v_mov_b32_e32 v11, v13
	v_fmac_f32_e32 v8, v14, v4
	v_pk_add_f32 v[6:7], v[10:11], v[8:9]
	v_ldexp_f32 v1, v1, 1
	v_sub_f32_e32 v5, v6, v10
	v_sub_f32_e32 v5, v8, v5
	;; [unrolled: 1-line block ×3, first 2 shown]
	v_add_f32_e32 v12, v13, v8
	v_mov_b32_e32 v8, v7
	v_pk_mul_f32 v[8:9], v[6:7], v[8:9]
	v_cvt_f64_f32_e32 v[10:11], v21
	v_frexp_exp_i32_f64_e32 v9, v[10:11]
	v_subbrev_co_u32_e64 v9, s[36:37], 0, v9, s[36:37]
	v_cvt_f32_i32_e32 v9, v9
	v_fma_f32 v10, v6, v7, -v8
	v_fmac_f32_e32 v10, v6, v12
	v_fmac_f32_e32 v10, v5, v7
	v_mul_f32_e32 v6, 0x3f317218, v9
	v_fma_f32 v12, v9, s33, -v6
	v_fmac_f32_e32 v12, 0xb102e308, v9
	v_ldexp_f32 v13, v4, 1
	v_add_f32_e32 v7, v8, v10
	v_pk_add_f32 v[4:5], v[6:7], v[12:13]
	v_mov_b32_e32 v14, v7
	v_mov_b32_e32 v15, v5
	;; [unrolled: 1-line block ×3, first 2 shown]
	v_pk_add_f32 v[8:9], v[14:15], v[8:9] neg_lo:[0,1] neg_hi:[0,1]
	v_mov_b32_e32 v11, v7
	v_pk_add_f32 v[8:9], v[10:11], v[8:9] neg_lo:[0,1] neg_hi:[0,1]
	v_mov_b32_e32 v13, v4
	v_add_f32_e32 v1, v1, v8
	v_add_f32_e32 v7, v1, v9
	v_pk_add_f32 v[8:9], v[4:5], v[6:7] neg_lo:[0,1] neg_hi:[0,1]
	v_pk_add_f32 v[10:11], v[4:5], v[6:7]
	v_mov_b32_e32 v14, v8
	v_mov_b32_e32 v15, v11
	v_pk_add_f32 v[14:15], v[12:13], v[14:15]
	v_pk_add_f32 v[8:9], v[12:13], v[8:9] neg_lo:[0,1] neg_hi:[0,1]
	v_mov_b32_e32 v6, v15
	v_pk_add_f32 v[16:17], v[6:7], v[4:5] neg_lo:[0,1] neg_hi:[0,1]
	v_mov_b32_e32 v14, v11
	v_mov_b32_e32 v1, v16
	;; [unrolled: 1-line block ×4, first 2 shown]
	v_pk_add_f32 v[18:19], v[10:11], v[0:1] neg_lo:[0,1] neg_hi:[0,1]
	v_pk_add_f32 v[4:5], v[14:15], v[4:5] neg_lo:[0,1] neg_hi:[0,1]
	v_mov_b32_e32 v12, v7
	v_pk_add_f32 v[4:5], v[12:13], v[4:5] neg_lo:[0,1] neg_hi:[0,1]
	v_mov_b32_e32 v18, v8
	v_pk_add_f32 v[10:11], v[18:19], v[4:5]
	v_mov_b32_e32 v9, v15
	v_mov_b32_e32 v12, v11
	v_pk_add_f32 v[12:13], v[10:11], v[12:13]
	s_movk_i32 s33, 0x204
	v_pk_add_f32 v[6:7], v[6:7], v[12:13]
	v_mov_b32_e32 v5, v12
	v_mov_b32_e32 v11, v6
	v_pk_add_f32 v[14:15], v[10:11], v[8:9] neg_lo:[0,1] neg_hi:[0,1]
	s_nop 0
	v_sub_f32_e32 v1, v10, v14
	v_pk_add_f32 v[4:5], v[4:5], v[14:15] neg_lo:[0,1] neg_hi:[0,1]
	v_sub_f32_e32 v1, v8, v1
	v_add_f32_e32 v1, v4, v1
	v_add_f32_e32 v1, v1, v5
	;; [unrolled: 1-line block ×3, first 2 shown]
	v_sub_f32_e32 v5, v4, v6
	v_sub_f32_e32 v1, v1, v5
	v_mul_f32_e32 v5, v20, v4
	v_fma_f32 v4, v20, v4, -v5
	v_fmac_f32_e32 v4, v20, v1
	v_add_f32_e32 v1, v5, v4
	v_cmp_class_f32_e64 s[36:37], v5, s33
	v_sub_f32_e32 v6, v1, v5
	v_sub_f32_e32 v4, v4, v6
	v_cndmask_b32_e64 v1, v1, v5, s[36:37]
	v_cmp_eq_f32_e64 s[36:37], s71, v1
	s_nop 1
	v_cndmask_b32_e64 v5, 0, v240, s[36:37]
	v_sub_f32_e32 v6, v1, v5
	v_mul_f32_e32 v7, 0x3fb8aa3b, v6
	v_fma_f32 v8, v6, s67, -v7
	v_rndne_f32_e32 v9, v7
	v_fmac_f32_e32 v8, 0x32a5705f, v6
	v_sub_f32_e32 v7, v7, v9
	v_add_f32_e32 v7, v7, v8
	v_exp_f32_e32 v7, v7
	v_cvt_i32_f32_e32 v8, v9
	v_cmp_neq_f32_e64 s[36:37], |v1|, s38
	s_nop 1
	v_cndmask_b32_e64 v1, 0, v4, s[36:37]
	v_ldexp_f32 v4, v7, v8
	v_cmp_ngt_f32_e64 s[36:37], s77, v6
	v_add_f32_e32 v1, v5, v1
	s_nop 0
	v_cndmask_b32_e64 v4, 0, v4, s[36:37]
	v_cmp_nlt_f32_e64 s[36:37], s71, v6
	s_nop 1
	v_cndmask_b32_e64 v4, v241, v4, s[36:37]
	v_fma_f32 v1, v4, v1, v4
	v_cmp_class_f32_e64 s[36:37], v4, s33
	s_brev_b32 s33, -2
	s_nop 0
	v_cndmask_b32_e64 v1, v1, v4, s[36:37]
	v_trunc_f32_e32 v4, v20
	v_cmp_eq_f32_e32 vcc, v4, v20
	v_mul_f32_e32 v4, 0.5, v20
	v_trunc_f32_e32 v5, v4
	v_cmp_neq_f32_e64 s[36:37], v5, v4
	s_and_b64 s[36:37], vcc, s[36:37]
	s_nop 0
	v_cndmask_b32_e64 v4, 1.0, v3, s[36:37]
	v_bfi_b32 v1, s33, v1, v4
	v_cndmask_b32_e32 v4, v242, v1, vcc
	v_cmp_gt_f32_e32 vcc, 0, v3
	v_cndmask_b32_e64 v5, 0, v3, s[36:37]
	s_nop 0
	v_cndmask_b32_e32 v1, v1, v4, vcc
	v_cmp_eq_f32_e32 vcc, s38, v21
	v_cmp_eq_f32_e64 s[38:39], 0, v3
	s_xor_b64 s[40:41], s[40:41], s[38:39]
	v_cndmask_b32_e64 v4, v241, 0, s[40:41]
	v_bfi_b32 v4, s33, v4, v5
	s_or_b64 vcc, vcc, s[38:39]
	v_cndmask_b32_e32 v1, v1, v4, vcc
	v_cmp_o_f32_e32 vcc, v3, v3
	s_nop 1
	v_cndmask_b32_e32 v84, v242, v1, vcc
.LBB19_19:                              ;   in Loop: Header=BB19_14 Depth=1
	v_readlane_b32 s36, v254, 3
	s_mul_i32 s27, s27, s36
	s_sub_i32 s3, s3, s27
	s_ashr_i32 s27, s3, 31
	v_readlane_b32 s36, v254, 21
	s_abs_i32 s3, s3
	s_xor_b32 s27, s27, s36
	s_mul_hi_u32 s36, s3, s64
	s_mul_i32 s37, s36, s73
	s_sub_i32 s3, s3, s37
	s_add_i32 s37, s36, 1
	s_sub_i32 s38, s3, s73
	s_cmp_ge_u32 s3, s73
	s_cselect_b32 s36, s37, s36
	s_cselect_b32 s3, s38, s3
	s_add_i32 s37, s36, 1
	s_cmp_ge_u32 s3, s73
	s_cselect_b32 s3, s37, s36
	v_readlane_b32 s36, v254, 50
	s_xor_b32 s3, s3, s27
	v_readlane_b32 s37, v254, 51
	v_readlane_b32 s48, v254, 22
	s_andn2_b64 vcc, exec, s[36:37]
	s_sub_i32 s3, s3, s27
	v_readlane_b32 s49, v254, 23
	v_readlane_b32 s50, v254, 24
	;; [unrolled: 1-line block ×15, first 2 shown]
	s_cbranch_vccnz .LBB19_21
; %bb.20:                               ;   in Loop: Header=BB19_14 Depth=1
	v_readlane_b32 s27, v254, 0
	s_mul_i32 s27, s30, s27
	s_add_i32 s36, s3, s27
	s_ashr_i32 s37, s36, 31
	s_lshl_b64 s[36:37], s[36:37], 2
	s_add_u32 s36, s58, s36
	s_addc_u32 s37, s59, s37
	global_load_dword v1, v2, s[36:37]
	s_waitcnt vmcnt(0)
	v_ashrrev_i32_e32 v3, 31, v1
	v_lshrrev_b32_e32 v3, 26, v3
	v_add_u32_e32 v1, v1, v3
	v_ashrrev_i32_e32 v1, 6, v1
	v_min_i32_e32 v108, v108, v1
.LBB19_21:                              ;   in Loop: Header=BB19_14 Depth=1
	v_readlane_b32 s27, v254, 41
	s_mul_i32 s27, s27, s30
	s_add_i32 s27, s26, s27
	s_mul_i32 s86, s27, 56
	v_readlane_b32 s38, v254, 11
	s_lshl_b64 s[36:37], s[86:87], 3
	v_readlane_b32 s39, v254, 12
	s_add_u32 s58, s60, s36
	s_mul_i32 s27, s30, s39
	s_mul_hi_u32 s36, s30, s38
	s_addc_u32 s59, s61, s37
	s_add_i32 s27, s36, s27
	s_mul_i32 s36, s31, s38
	s_add_i32 s95, s27, s36
	s_mul_i32 s94, s30, s38
	s_add_u32 s27, s52, s94
	s_addc_u32 s36, s53, s95
	v_readlane_b32 s52, v254, 17
	v_readlane_b32 s55, v254, 20
	s_mul_i32 s80, s42, s55
	s_ashr_i32 s81, s80, 31
	s_add_u32 s84, s27, s80
	s_addc_u32 s85, s36, s81
	s_ashr_i32 s27, s26, 31
	s_lshl_b64 s[36:37], s[26:27], 2
	s_add_u32 s27, s56, s36
	s_addc_u32 s38, s57, s37
	v_readlane_b32 s36, v254, 42
	v_readlane_b32 s37, v254, 43
	s_and_b64 s[36:37], s[36:37], exec
	s_cselect_b32 s37, 0, s38
	v_readlane_b32 s38, v254, 8
	s_cselect_b32 s36, 0, s27
	v_readlane_b32 s39, v254, 9
	v_writelane_b32 v255, s36, 11
	s_mul_i32 s27, s30, s39
	v_readlane_b32 s53, v254, 18
	v_writelane_b32 v255, s37, 12
	s_ashr_i32 s36, s27, 31
	s_add_u32 s27, s48, s27
	s_mul_i32 s26, s26, s38
	s_mov_b64 s[40:41], s[52:53]
	s_addc_u32 s36, s49, s36
	s_ashr_i32 s37, s26, 31
	s_add_u32 s60, s27, s26
	s_mul_i32 s26, s30, s41
	s_mul_hi_u32 s27, s30, s40
	s_addc_u32 s61, s36, s37
	s_add_i32 s26, s27, s26
	s_mul_i32 s31, s31, s40
	v_readlane_b32 s36, v254, 15
	s_add_i32 s31, s26, s31
	s_mul_i32 s30, s30, s40
	v_readlane_b32 s37, v254, 16
	s_add_u32 s26, s50, s30
	s_mul_i32 s82, s42, s37
	s_addc_u32 s27, s51, s31
	s_ashr_i32 s83, s82, 31
	s_add_u32 s26, s26, s82
	s_addc_u32 s27, s27, s83
	s_cmp_lg_u32 s46, 0
	v_readlane_b32 s54, v254, 19
	s_cbranch_scc0 .LBB19_64
; %bb.22:                               ;   in Loop: Header=BB19_14 Depth=1
	s_lshl_b32 s86, s3, 5
	v_add_u32_e32 v1, s86, v29
	v_cmp_le_i32_e32 vcc, s76, v1
	s_and_saveexec_b64 s[36:37], vcc
	s_xor_b64 s[36:37], exec, s[36:37]
	s_cbranch_execz .LBB19_24
; %bb.23:                               ;   in Loop: Header=BB19_14 Depth=1
	ds_write_b32 v193, v2
                                        ; implicit-def: $vgpr1
.LBB19_24:                              ;   in Loop: Header=BB19_14 Depth=1
	s_andn2_saveexec_b64 s[36:37], s[36:37]
	s_cbranch_execz .LBB19_26
; %bb.25:                               ;   in Loop: Header=BB19_14 Depth=1
	v_mad_u64_u32 v[4:5], s[38:39], v1, s68, v[30:31]
	v_ashrrev_i32_e32 v5, 31, v4
	v_lshl_add_u64 v[4:5], v[4:5], 3, s[60:61]
	global_load_dwordx2 v[4:5], v[4:5], off
	s_waitcnt vmcnt(0)
	v_cvt_f16_f32_e32 v1, v4
	v_cvt_f16_f32_e32 v3, v5
	v_pack_b32_f16 v1, v1, v3
	v_pk_mul_f16 v1, v27, v1
	ds_write_b32 v193, v1
.LBB19_26:                              ;   in Loop: Header=BB19_14 Depth=1
	s_or_b64 exec, exec, s[36:37]
	v_add_u32_e32 v1, s86, v194
	v_cmp_le_i32_e32 vcc, s76, v1
	s_and_saveexec_b64 s[36:37], vcc
	s_xor_b64 s[36:37], exec, s[36:37]
	s_cbranch_execz .LBB19_28
; %bb.27:                               ;   in Loop: Header=BB19_14 Depth=1
	ds_write_b32 v193, v2 offset:1920
                                        ; implicit-def: $vgpr1
.LBB19_28:                              ;   in Loop: Header=BB19_14 Depth=1
	s_andn2_saveexec_b64 s[36:37], s[36:37]
	s_cbranch_execz .LBB19_30
; %bb.29:                               ;   in Loop: Header=BB19_14 Depth=1
	v_mad_u64_u32 v[4:5], s[38:39], v1, s68, v[30:31]
	v_ashrrev_i32_e32 v5, 31, v4
	v_lshl_add_u64 v[4:5], v[4:5], 3, s[60:61]
	global_load_dwordx2 v[4:5], v[4:5], off
	s_waitcnt vmcnt(0)
	v_cvt_f16_f32_e32 v1, v4
	v_cvt_f16_f32_e32 v3, v5
	v_pack_b32_f16 v1, v1, v3
	v_pk_mul_f16 v1, v27, v1
	ds_write_b32 v193, v1 offset:1920
.LBB19_30:                              ;   in Loop: Header=BB19_14 Depth=1
	s_or_b64 exec, exec, s[36:37]
	v_add_u32_e32 v1, s86, v195
	v_cmp_le_i32_e32 vcc, s76, v1
	s_and_saveexec_b64 s[36:37], vcc
	s_xor_b64 s[36:37], exec, s[36:37]
	s_cbranch_execz .LBB19_32
; %bb.31:                               ;   in Loop: Header=BB19_14 Depth=1
	ds_write_b32 v193, v2 offset:3840
                                        ; implicit-def: $vgpr1
.LBB19_32:                              ;   in Loop: Header=BB19_14 Depth=1
	s_andn2_saveexec_b64 s[36:37], s[36:37]
	s_cbranch_execz .LBB19_34
; %bb.33:                               ;   in Loop: Header=BB19_14 Depth=1
	v_mad_u64_u32 v[4:5], s[38:39], v1, s68, v[30:31]
	v_ashrrev_i32_e32 v5, 31, v4
	v_lshl_add_u64 v[4:5], v[4:5], 3, s[60:61]
	global_load_dwordx2 v[4:5], v[4:5], off
	s_waitcnt vmcnt(0)
	v_cvt_f16_f32_e32 v1, v4
	v_cvt_f16_f32_e32 v3, v5
	v_pack_b32_f16 v1, v1, v3
	v_pk_mul_f16 v1, v27, v1
	ds_write_b32 v193, v1 offset:3840
.LBB19_34:                              ;   in Loop: Header=BB19_14 Depth=1
	;; [unrolled: 24-line block ×3, first 2 shown]
	s_or_b64 exec, exec, s[36:37]
	v_add_u32_e32 v1, s86, v31
	v_cmp_le_i32_e32 vcc, s76, v1
	s_and_saveexec_b64 s[36:37], vcc
	s_xor_b64 s[36:37], exec, s[36:37]
	s_cbranch_execz .LBB19_40
; %bb.39:                               ;   in Loop: Header=BB19_14 Depth=1
	ds_write_b32 v197, v2 offset:128
                                        ; implicit-def: $vgpr1
.LBB19_40:                              ;   in Loop: Header=BB19_14 Depth=1
	s_andn2_saveexec_b64 s[36:37], s[36:37]
	s_cbranch_execz .LBB19_42
; %bb.41:                               ;   in Loop: Header=BB19_14 Depth=1
	v_mul_lo_u32 v4, v1, s68
	v_ashrrev_i32_e32 v5, 31, v4
	v_lshl_add_u64 v[4:5], v[4:5], 0, v[32:33]
	v_lshl_add_u64 v[4:5], v[4:5], 3, s[60:61]
	global_load_dwordx2 v[4:5], v[4:5], off offset:256
	s_waitcnt vmcnt(0)
	v_cvt_f16_f32_e32 v1, v4
	v_cvt_f16_f32_e32 v3, v5
	v_pack_b32_f16 v1, v1, v3
	v_pk_mul_f16 v1, v27, v1
	ds_write_b32 v197, v1 offset:128
.LBB19_42:                              ;   in Loop: Header=BB19_14 Depth=1
	s_or_b64 exec, exec, s[36:37]
	v_add_u32_e32 v1, s86, v198
	v_cmp_le_i32_e32 vcc, s76, v1
	s_and_saveexec_b64 s[36:37], vcc
	s_xor_b64 s[36:37], exec, s[36:37]
	s_cbranch_execz .LBB19_44
; %bb.43:                               ;   in Loop: Header=BB19_14 Depth=1
	ds_write_b32 v197, v2 offset:3968
                                        ; implicit-def: $vgpr1
.LBB19_44:                              ;   in Loop: Header=BB19_14 Depth=1
	s_andn2_saveexec_b64 s[36:37], s[36:37]
	s_cbranch_execz .LBB19_46
; %bb.45:                               ;   in Loop: Header=BB19_14 Depth=1
	v_mul_lo_u32 v4, v1, s68
	v_ashrrev_i32_e32 v5, 31, v4
	v_lshl_add_u64 v[4:5], v[4:5], 0, v[32:33]
	v_lshl_add_u64 v[4:5], v[4:5], 3, s[60:61]
	global_load_dwordx2 v[4:5], v[4:5], off offset:256
	s_waitcnt vmcnt(0)
	v_cvt_f16_f32_e32 v1, v4
	v_cvt_f16_f32_e32 v3, v5
	v_pack_b32_f16 v1, v1, v3
	v_pk_mul_f16 v1, v27, v1
	ds_write_b32 v197, v1 offset:3968
.LBB19_46:                              ;   in Loop: Header=BB19_14 Depth=1
	s_or_b64 exec, exec, s[36:37]
	v_add_u32_e32 v3, s86, v41
	v_cmp_gt_i32_e32 vcc, s76, v3
	v_mov_b32_e32 v211, 0
	v_mov_b32_e32 v1, 0
	s_and_saveexec_b64 s[36:37], vcc
	s_cbranch_execz .LBB19_48
; %bb.47:                               ;   in Loop: Header=BB19_14 Depth=1
	v_mul_lo_u32 v4, v3, s68
	v_ashrrev_i32_e32 v5, 31, v4
	v_lshl_add_u64 v[4:5], v[4:5], 0, v[34:35]
	v_lshl_add_u64 v[4:5], v[4:5], 3, s[60:61]
	global_load_dwordx2 v[4:5], v[4:5], off offset:384
	s_waitcnt vmcnt(0)
	v_cvt_f16_f32_e32 v1, v4
	v_cvt_f16_f32_e32 v3, v5
	v_pack_b32_f16 v1, v1, v3
	v_pk_mul_f16 v1, v27, v1
.LBB19_48:                              ;   in Loop: Header=BB19_14 Depth=1
	s_or_b64 exec, exec, s[36:37]
	ds_write_b32 v57, v1 offset:192
	s_waitcnt lgkmcnt(0)
	s_barrier
	ds_read2_b64 v[14:17], v124 offset1:4
	ds_read2_b64 v[10:13], v124 offset0:8 offset1:12
	ds_read2_b64 v[6:9], v124 offset0:16 offset1:20
	ds_read_b64 v[82:83], v124 offset:192
	v_add_u32_e32 v1, -1, v108
	v_cmp_ge_i32_e32 vcc, s46, v1
	v_mov_b32_e32 v79, 0xfeffffff
	s_waitcnt lgkmcnt(0)
	s_barrier
	s_cbranch_vccnz .LBB19_65
; %bb.49:                               ;   in Loop: Header=BB19_14 Depth=1
	v_lshlrev_b32_e32 v4, 1, v28
	v_mov_b32_e32 v5, v2
	v_add_u32_e32 v3, s86, v120
	v_lshl_add_u64 v[208:209], v[80:81], 0, v[4:5]
	v_mul_hi_u32 v4, s92, v3
	v_add_u32_e32 v4, v3, v4
	v_lshrrev_b32_e32 v4, s93, v4
	v_mul_lo_u32 v4, v4, s76
	v_readlane_b32 s38, v255, 7
	v_sub_u32_e32 v3, v3, v4
	v_readlane_b32 s39, v255, 8
	s_mov_b32 s40, s38
	v_mad_i64_i32 v[86:87], s[38:39], v3, s40, 0
	v_add_u32_e32 v3, s86, v126
	v_mul_hi_u32 v4, s92, v3
	v_add_u32_e32 v4, v3, v4
	v_lshrrev_b32_e32 v4, s93, v4
	v_mul_lo_u32 v4, v4, s76
	v_sub_u32_e32 v3, v3, v4
	v_mad_i64_i32 v[88:89], s[38:39], v3, s40, 0
	v_add_u32_e32 v3, s86, v128
	v_mul_hi_u32 v4, s92, v3
	v_add_u32_e32 v4, v3, v4
	v_lshrrev_b32_e32 v4, s93, v4
	v_mul_lo_u32 v4, v4, s76
	v_sub_u32_e32 v3, v3, v4
	;; [unrolled: 7-line block ×7, first 2 shown]
	v_mad_i64_i32 v[100:101], s[38:39], v3, s40, 0
	v_and_b32_e32 v3, 64, v243
	v_add_u32_e32 v3, 64, v3
	v_xor_b32_e32 v4, 32, v243
	v_cmp_lt_i32_e32 vcc, v4, v3
	v_cmp_ne_u64_e64 s[36:37], 0, v[80:81]
	v_mov_b32_e32 v214, 0
	v_cndmask_b32_e32 v4, v243, v4, vcc
	v_lshlrev_b32_e32 v109, 2, v4
	v_xor_b32_e32 v4, 16, v243
	v_cmp_lt_i32_e32 vcc, v4, v3
	v_mov_b32_e32 v102, v84
	v_mov_b32_e32 v103, v84
	v_cndmask_b32_e32 v3, v243, v4, vcc
	v_lshlrev_b32_e32 v110, 2, v3
	s_lshl_b32 s40, s46, 6
	v_mov_b32_e32 v221, 0
	v_mov_b32_e32 v244, 0xfeffffff
	;; [unrolled: 1-line block ×15, first 2 shown]
.LBB19_50:                              ;   Parent Loop BB19_14 Depth=1
                                        ; =>  This Inner Loop Header: Depth=2
	v_cndmask_b32_e64 v3, 0, 1, s[36:37]
	v_cmp_ne_u32_e64 s[38:39], 1, v3
	s_andn2_b64 vcc, exec, s[36:37]
	s_ashr_i32 s41, s40, 31
	s_cbranch_vccnz .LBB19_56
; %bb.51:                               ;   in Loop: Header=BB19_50 Depth=2
                                        ; implicit-def: $sgpr44
	s_and_saveexec_b64 s[42:43], s[0:1]
	s_xor_b64 s[42:43], exec, s[42:43]
	s_cbranch_execz .LBB19_53
; %bb.52:                               ;   in Loop: Header=BB19_50 Depth=2
	ds_write_b16 v125, v2 offset:15360
	ds_write_b16 v127, v2 offset:15360
	;; [unrolled: 1-line block ×4, first 2 shown]
	s_mov_b32 s44, 0
.LBB19_53:                              ;   in Loop: Header=BB19_50 Depth=2
	s_or_saveexec_b64 s[42:43], s[42:43]
	v_mov_b32_e32 v3, s44
	v_mov_b32_e32 v4, s44
	;; [unrolled: 1-line block ×4, first 2 shown]
	s_xor_b64 exec, exec, s[42:43]
	s_cbranch_execz .LBB19_55
; %bb.54:                               ;   in Loop: Header=BB19_50 Depth=2
	v_lshl_add_u64 v[18:19], s[40:41], 1, v[208:209]
	v_lshl_add_u64 v[4:5], v[86:87], 1, v[18:19]
	flat_load_ushort v3, v[4:5]
	v_lshl_add_u64 v[4:5], v[88:89], 1, v[18:19]
	flat_load_ushort v20, v[4:5]
	;; [unrolled: 2-line block ×4, first 2 shown]
	s_waitcnt vmcnt(0) lgkmcnt(0)
	ds_write_b16 v125, v3 offset:15360
	ds_write_b16 v127, v20 offset:15360
	;; [unrolled: 1-line block ×4, first 2 shown]
	v_lshl_add_u64 v[4:5], v[94:95], 1, v[18:19]
	flat_load_ushort v3, v[4:5]
	v_lshl_add_u64 v[4:5], v[96:97], 1, v[18:19]
	v_lshl_add_u64 v[20:21], v[98:99], 1, v[18:19]
	;; [unrolled: 1-line block ×3, first 2 shown]
	flat_load_ushort v4, v[4:5]
	s_nop 0
	flat_load_ushort v18, v[18:19]
	s_nop 0
	flat_load_ushort v5, v[20:21]
.LBB19_55:                              ;   in Loop: Header=BB19_50 Depth=2
	s_or_b64 exec, exec, s[42:43]
	s_waitcnt vmcnt(0) lgkmcnt(0)
	ds_write_b16 v133, v3 offset:15360
	ds_write_b16 v135, v4 offset:15360
	;; [unrolled: 1-line block ×4, first 2 shown]
.LBB19_56:                              ;   in Loop: Header=BB19_50 Depth=2
	s_mul_hi_i32 s43, s40, s90
	s_mul_i32 s42, s40, s90
	s_lshl_b64 s[42:43], s[42:43], 2
	s_add_u32 s42, s26, s42
	s_addc_u32 s43, s27, s43
	v_mov_b32_e32 v3, v2
	v_mov_b32_e32 v4, v2
	;; [unrolled: 1-line block ×3, first 2 shown]
	scratch_store_dwordx4 off, v[2:5], off
	s_and_saveexec_b64 s[44:45], s[98:99]
	s_cbranch_execz .LBB19_58
; %bb.57:                               ;   in Loop: Header=BB19_50 Depth=2
	v_lshl_add_u64 v[4:5], v[38:39], 2, s[42:43]
	v_lshlrev_b32_e32 v18, 2, v40
	v_mov_b32_e32 v19, v2
	v_lshl_add_u64 v[4:5], v[4:5], 0, v[18:19]
	global_load_dwordx4 v[18:21], v[4:5], off offset:192
	s_waitcnt vmcnt(0)
	ds_write_b128 v141, v[18:21]
.LBB19_58:                              ;   in Loop: Header=BB19_50 Depth=2
	s_or_b64 exec, exec, s[44:45]
	v_lshl_add_u64 v[4:5], v[42:43], 2, s[42:43]
	v_lshlrev_b32_e32 v106, 2, v56
	v_mov_b32_e32 v107, v2
	v_lshl_add_u64 v[4:5], v[4:5], 0, v[106:107]
	v_lshl_add_u64 v[4:5], v[4:5], 0, s[34:35]
	v_mov_b32_e32 v3, s89
	v_mov_b32_e32 v22, s88
	v_cndmask_b32_e64 v5, v3, v5, s[4:5]
	v_cndmask_b32_e64 v4, v22, v4, s[4:5]
	flat_load_dwordx4 v[18:21], v[4:5]
	v_lshl_add_u64 v[4:5], v[44:45], 2, s[42:43]
	v_lshlrev_b32_e32 v104, 2, v58
	v_mov_b32_e32 v105, v2
	v_lshl_add_u64 v[4:5], v[4:5], 0, v[104:105]
	v_cndmask_b32_e64 v5, v3, v5, s[6:7]
	v_cndmask_b32_e64 v4, v22, v4, s[6:7]
	s_and_b64 vcc, exec, s[38:39]
	s_waitcnt vmcnt(0) lgkmcnt(0)
	ds_write_b128 v179, v[18:21]
	flat_load_dwordx4 v[18:21], v[4:5]
	v_lshl_add_u64 v[4:5], v[46:47], 2, s[42:43]
	v_lshl_add_u64 v[4:5], v[4:5], 0, v[104:105]
	v_cndmask_b32_e64 v5, v3, v5, s[8:9]
	v_cndmask_b32_e64 v4, v22, v4, s[8:9]
	v_add_u32_e32 v3, v59, v144
	s_waitcnt vmcnt(0) lgkmcnt(0)
	ds_write_b128 v180, v[18:21]
	flat_load_dwordx4 v[18:21], v[4:5]
	s_waitcnt vmcnt(0) lgkmcnt(0)
	ds_write_b128 v181, v[18:21]
	s_waitcnt lgkmcnt(0)
	s_barrier
	ds_read2_b64 v[18:21], v3 offset1:4
	s_waitcnt lgkmcnt(0)
	v_mfma_f32_16x16x16_f16 v[22:25], v[18:19], v[14:15], 0
	ds_read_b64 v[4:5], v3 offset:192
	v_mfma_f32_16x16x16_f16 v[18:21], v[20:21], v[16:17], v[22:25]
	s_nop 4
	ds_read2_b64 v[22:25], v3 offset0:8 offset1:12
	s_waitcnt lgkmcnt(0)
	v_mfma_f32_16x16x16_f16 v[18:21], v[22:23], v[10:11], v[18:21]
	v_mfma_f32_16x16x16_f16 v[18:21], v[24:25], v[12:13], v[18:21]
	ds_read2_b64 v[22:25], v3 offset0:16 offset1:20
	s_waitcnt lgkmcnt(0)
	v_mfma_f32_16x16x16_f16 v[18:21], v[22:23], v[6:7], v[18:21]
	v_mfma_f32_16x16x16_f16 v[18:21], v[24:25], v[8:9], v[18:21]
	;; [unrolled: 1-line block ×3, first 2 shown]
	v_add_u32_e32 v4, 0x1800, v3
	ds_read2_b64 v[22:25], v4 offset0:192 offset1:196
	s_waitcnt lgkmcnt(0)
	v_mfma_f32_16x16x16_f16 v[228:231], v[22:23], v[14:15], 0
	v_mfma_f32_16x16x16_f16 v[22:25], v[24:25], v[16:17], v[228:231]
	s_nop 5
	ds_read2_b64 v[228:231], v4 offset0:200 offset1:204
	s_waitcnt lgkmcnt(0)
	v_mfma_f32_16x16x16_f16 v[22:25], v[228:229], v[10:11], v[22:25]
	v_mfma_f32_16x16x16_f16 v[22:25], v[230:231], v[12:13], v[22:25]
	ds_read2_b64 v[228:231], v4 offset0:208 offset1:212
	ds_read_b64 v[4:5], v3 offset:7872
	s_waitcnt lgkmcnt(0)
	v_mfma_f32_16x16x16_f16 v[22:25], v[228:229], v[6:7], v[22:25]
	s_barrier
	v_mfma_f32_16x16x16_f16 v[22:25], v[230:231], v[8:9], v[22:25]
	v_mfma_f32_16x16x16_f16 v[22:25], v[4:5], v[82:83], v[22:25]
	s_cbranch_vccnz .LBB19_60
; %bb.59:                               ;   in Loop: Header=BB19_50 Depth=2
	v_add_u32_e32 v3, 0x3c00, v146
	ds_read2_b32 v[4:5], v3 offset1:1
	ds_read_b32 v3, v148 offset:15360
	v_mov_b32_e32 v85, v84
	s_waitcnt lgkmcnt(1)
	v_cvt_f32_f16_e32 v78, v4
	v_cvt_f32_f16_sdwa v79, v4 dst_sel:DWORD dst_unused:UNUSED_PAD src0_sel:WORD_1
	v_cvt_f32_f16_e32 v4, v5
	v_cvt_f32_f16_sdwa v5, v5 dst_sel:DWORD dst_unused:UNUSED_PAD src0_sel:WORD_1
	v_pk_fma_f32 v[18:19], v[102:103], v[78:79], v[18:19]
	v_pk_fma_f32 v[20:21], v[84:85], v[4:5], v[20:21]
	s_waitcnt lgkmcnt(0)
	v_cvt_f32_f16_sdwa v5, v3 dst_sel:DWORD dst_unused:UNUSED_PAD src0_sel:WORD_1
	v_cvt_f32_f16_e32 v4, v3
	ds_read_b32 v3, v150 offset:15360
	v_pk_fma_f32 v[22:23], v[102:103], v[4:5], v[22:23]
	s_waitcnt lgkmcnt(0)
	v_cvt_f32_f16_sdwa v79, v3 dst_sel:DWORD dst_unused:UNUSED_PAD src0_sel:WORD_1
	v_cvt_f32_f16_e32 v78, v3
	v_pk_fma_f32 v[24:25], v[84:85], v[78:79], v[24:25]
.LBB19_60:                              ;   in Loop: Header=BB19_50 Depth=2
	v_add_f32_e32 v3, 0x40051340, v18
	v_max_f32_e32 v4, v244, v244
	v_max_f32_e32 v3, v4, v3
	v_cndmask_b32_e64 v3, v244, v3, s[10:11]
	v_add_f32_e32 v4, 0x40051340, v19
	v_max_f32_e32 v5, v3, v3
	v_max_f32_e32 v4, v5, v4
	v_cndmask_b32_e64 v3, v3, v4, s[12:13]
	v_add_f32_e32 v4, 0x40051340, v20
	v_max_f32_e32 v5, v3, v3
	v_max_f32_e32 v4, v5, v4
	v_cndmask_b32_e64 v3, v3, v4, s[14:15]
	v_add_f32_e32 v4, 0x40051340, v21
	v_max_f32_e32 v5, v3, v3
	v_max_f32_e32 v4, v5, v4
	v_cndmask_b32_e64 v3, v3, v4, s[16:17]
	v_add_f32_e32 v4, 0x40051340, v22
	v_max_f32_e32 v5, v3, v3
	v_max_f32_e32 v4, v5, v4
	v_cndmask_b32_e64 v3, v3, v4, s[18:19]
	v_add_f32_e32 v4, 0x40051340, v23
	v_max_f32_e32 v5, v3, v3
	v_max_f32_e32 v4, v5, v4
	v_cndmask_b32_e64 v3, v3, v4, s[20:21]
	v_add_f32_e32 v4, 0x40051340, v24
	v_max_f32_e32 v5, v3, v3
	v_max_f32_e32 v4, v5, v4
	v_cndmask_b32_e64 v3, v3, v4, s[22:23]
	v_add_f32_e32 v4, 0x40051340, v25
	v_max_f32_e32 v5, v3, v3
	v_max_f32_e32 v4, v5, v4
	v_cndmask_b32_e64 v3, v3, v4, s[24:25]
	ds_bpermute_b32 v4, v109, v3
	v_max_f32_e32 v3, v3, v3
	s_mul_hi_i32 s39, s40, s78
	s_mul_i32 s38, s40, s78
	s_lshl_b64 s[38:39], s[38:39], 2
	s_waitcnt lgkmcnt(0)
	v_max_f32_e32 v4, v4, v4
	v_max_f32_e32 v78, v3, v4
	ds_bpermute_b32 v79, v110, v78
	s_add_u32 s38, s84, s38
	s_addc_u32 s39, s85, s39
	v_mov_b32_e32 v3, v2
	v_mov_b32_e32 v4, v2
	;; [unrolled: 1-line block ×3, first 2 shown]
	scratch_store_dwordx4 off, v[2:5], off
	s_and_saveexec_b64 s[42:43], s[98:99]
	s_cbranch_execz .LBB19_62
; %bb.61:                               ;   in Loop: Header=BB19_50 Depth=2
	v_lshl_add_u64 v[4:5], v[48:49], 2, s[38:39]
	v_lshlrev_b32_e32 v228, 2, v40
	v_mov_b32_e32 v229, v2
	v_lshl_add_u64 v[4:5], v[4:5], 0, v[228:229]
	global_load_dwordx4 v[228:231], v[4:5], off offset:192
	s_waitcnt vmcnt(0)
	ds_write_b128 v141, v[228:231]
.LBB19_62:                              ;   in Loop: Header=BB19_50 Depth=2
	s_or_b64 exec, exec, s[42:43]
	s_waitcnt lgkmcnt(0)
	v_max_f32_e32 v3, v79, v79
	v_max_f32_e32 v4, v78, v78
	;; [unrolled: 1-line block ×3, first 2 shown]
	v_sub_f32_e32 v3, v18, v79
	v_mul_f32_e32 v4, 0x3fb8aa3b, v3
	v_fma_f32 v5, v3, s67, -v4
	v_rndne_f32_e32 v18, v4
	v_fmac_f32_e32 v5, 0x32a5705f, v3
	v_sub_f32_e32 v4, v4, v18
	v_add_f32_e32 v4, v4, v5
	v_exp_f32_e32 v4, v4
	v_cvt_i32_f32_e32 v5, v18
	v_cmp_ngt_f32_e32 vcc, s77, v3
	v_cndmask_b32_e64 v20, v20, v20, s[12:13]
	v_cndmask_b32_e64 v23, v23, v23, s[18:19]
	v_ldexp_f32 v4, v4, v5
	v_cndmask_b32_e32 v4, 0, v4, vcc
	v_cmp_nlt_f32_e32 vcc, s71, v3
	v_cndmask_b32_e64 v24, v24, v24, s[18:19]
	s_add_i32 s46, s46, 1
	v_cndmask_b32_e32 v3, v241, v4, vcc
	v_cndmask_b32_e64 v18, 0, v3, s[10:11]
	v_sub_f32_e32 v3, v19, v79
	v_mul_f32_e32 v4, 0x3fb8aa3b, v3
	v_fma_f32 v5, v3, s67, -v4
	v_rndne_f32_e32 v19, v4
	v_fmac_f32_e32 v5, 0x32a5705f, v3
	v_sub_f32_e32 v4, v4, v19
	v_add_f32_e32 v4, v4, v5
	v_exp_f32_e32 v4, v4
	v_cvt_i32_f32_e32 v5, v19
	v_cmp_ngt_f32_e32 vcc, s77, v3
	v_cndmask_b32_e64 v19, v21, v21, s[12:13]
	s_add_i32 s40, s40, 64
	v_ldexp_f32 v4, v4, v5
	v_cndmask_b32_e32 v4, 0, v4, vcc
	v_cmp_nlt_f32_e32 vcc, s71, v3
	v_mov_b32_e32 v3, s87
	s_nop 0
	v_cndmask_b32_e32 v4, v241, v4, vcc
	v_add_f32_e32 v5, v4, v18
	v_cndmask_b32_e64 v21, v3, v4, s[12:13]
	v_sub_f32_e32 v4, v20, v79
	v_cndmask_b32_e64 v3, v18, v5, s[12:13]
	v_mul_f32_e32 v5, 0x3fb8aa3b, v4
	v_fma_f32 v20, v4, s67, -v5
	v_rndne_f32_e32 v78, v5
	v_fmac_f32_e32 v20, 0x32a5705f, v4
	v_sub_f32_e32 v5, v5, v78
	v_add_f32_e32 v5, v5, v20
	v_exp_f32_e32 v5, v5
	v_cvt_i32_f32_e32 v20, v78
	v_cmp_ngt_f32_e32 vcc, s77, v4
	v_cvt_f16_f32_e32 v18, v18
	v_ldexp_f32 v5, v5, v20
	v_cndmask_b32_e32 v5, 0, v5, vcc
	v_cmp_nlt_f32_e32 vcc, s71, v4
	v_mov_b32_e32 v4, s87
	s_nop 0
	v_cndmask_b32_e32 v5, v241, v5, vcc
	v_cndmask_b32_e64 v78, v4, v5, s[14:15]
	v_sub_f32_e32 v4, v19, v79
	v_add_f32_e32 v20, v3, v5
	v_mul_f32_e32 v5, 0x3fb8aa3b, v4
	v_cndmask_b32_e64 v3, v3, v20, s[14:15]
	v_fma_f32 v19, v4, s67, -v5
	v_rndne_f32_e32 v20, v5
	v_fmac_f32_e32 v19, 0x32a5705f, v4
	v_sub_f32_e32 v5, v5, v20
	v_add_f32_e32 v5, v5, v19
	v_exp_f32_e32 v5, v5
	v_cvt_i32_f32_e32 v19, v20
	v_cmp_ngt_f32_e32 vcc, s77, v4
	v_ldexp_f32 v5, v5, v19
	s_nop 0
	v_cndmask_b32_e32 v5, 0, v5, vcc
	v_cmp_nlt_f32_e32 vcc, s71, v4
	s_nop 1
	v_cndmask_b32_e32 v19, v241, v5, vcc
	v_add_f32_e32 v4, v3, v19
	v_cndmask_b32_e64 v3, v3, v4, s[16:17]
	v_sub_f32_e32 v4, v22, v79
	v_mul_f32_e32 v5, 0x3fb8aa3b, v4
	v_fma_f32 v20, v4, s67, -v5
	v_rndne_f32_e32 v22, v5
	v_fmac_f32_e32 v20, 0x32a5705f, v4
	v_sub_f32_e32 v5, v5, v22
	v_add_f32_e32 v5, v5, v20
	v_exp_f32_e32 v5, v5
	v_cvt_i32_f32_e32 v20, v22
	v_cmp_ngt_f32_e32 vcc, s77, v4
	v_cndmask_b32_e64 v22, v25, v25, s[18:19]
	v_ldexp_f32 v5, v5, v20
	v_cndmask_b32_e32 v5, 0, v5, vcc
	v_cmp_nlt_f32_e32 vcc, s71, v4
	v_mov_b32_e32 v4, s87
	s_nop 0
	v_cndmask_b32_e32 v5, v241, v5, vcc
	v_add_f32_e32 v20, v5, v3
	v_cndmask_b32_e64 v85, v4, v5, s[18:19]
	v_cndmask_b32_e64 v4, v3, v20, s[18:19]
	v_sub_f32_e32 v3, v23, v79
	v_mul_f32_e32 v5, 0x3fb8aa3b, v3
	v_fma_f32 v20, v3, s67, -v5
	v_rndne_f32_e32 v23, v5
	v_fmac_f32_e32 v20, 0x32a5705f, v3
	v_sub_f32_e32 v5, v5, v23
	v_add_f32_e32 v5, v5, v20
	v_exp_f32_e32 v5, v5
	v_cvt_i32_f32_e32 v20, v23
	v_cmp_ngt_f32_e32 vcc, s77, v3
	v_ldexp_f32 v5, v5, v20
	s_nop 0
	v_cndmask_b32_e32 v5, 0, v5, vcc
	v_cmp_nlt_f32_e32 vcc, s71, v3
	v_mov_b32_e32 v3, s87
	s_nop 0
	v_cndmask_b32_e32 v5, v241, v5, vcc
	v_add_f32_e32 v20, v5, v4
	v_cndmask_b32_e64 v105, v3, v5, s[20:21]
	v_cndmask_b32_e64 v3, v4, v20, s[20:21]
	v_sub_f32_e32 v4, v24, v79
	v_mul_f32_e32 v5, 0x3fb8aa3b, v4
	v_fma_f32 v20, v4, s67, -v5
	v_rndne_f32_e32 v23, v5
	v_fmac_f32_e32 v20, 0x32a5705f, v4
	v_sub_f32_e32 v5, v5, v23
	v_add_f32_e32 v5, v5, v20
	v_exp_f32_e32 v5, v5
	v_cvt_i32_f32_e32 v20, v23
	v_cmp_ngt_f32_e32 vcc, s77, v4
	v_ldexp_f32 v5, v5, v20
	s_nop 0
	v_cndmask_b32_e32 v5, 0, v5, vcc
	v_cmp_nlt_f32_e32 vcc, s71, v4
	v_mov_b32_e32 v4, s87
	s_nop 0
	v_cndmask_b32_e32 v5, v241, v5, vcc
	v_cndmask_b32_e64 v107, v4, v5, s[22:23]
	v_sub_f32_e32 v4, v22, v79
	v_add_f32_e32 v20, v5, v3
	v_mul_f32_e32 v5, 0x3fb8aa3b, v4
	v_cndmask_b32_e64 v3, v3, v20, s[22:23]
	v_fma_f32 v20, v4, s67, -v5
	v_rndne_f32_e32 v22, v5
	v_fmac_f32_e32 v20, 0x32a5705f, v4
	v_sub_f32_e32 v5, v5, v22
	v_add_f32_e32 v5, v5, v20
	v_exp_f32_e32 v5, v5
	v_cvt_i32_f32_e32 v20, v22
	v_cmp_ngt_f32_e32 vcc, s77, v4
	v_ldexp_f32 v5, v5, v20
	s_nop 0
	v_cndmask_b32_e32 v5, 0, v5, vcc
	v_cmp_nlt_f32_e32 vcc, s71, v4
	s_nop 1
	v_cndmask_b32_e32 v4, v241, v5, vcc
	v_add_f32_e32 v5, v4, v3
	v_cndmask_b32_e64 v22, v3, v5, s[24:25]
	v_sub_f32_e32 v3, v244, v79
	v_mul_f32_e32 v5, 0x3fb8aa3b, v3
	v_fma_f32 v20, v3, s67, -v5
	v_rndne_f32_e32 v23, v5
	v_fmac_f32_e32 v20, 0x32a5705f, v3
	v_sub_f32_e32 v5, v5, v23
	v_add_f32_e32 v5, v5, v20
	v_exp_f32_e32 v5, v5
	v_cvt_i32_f32_e32 v20, v23
	v_cmp_ngt_f32_e32 vcc, s77, v3
	v_ldexp_f32 v5, v5, v20
	s_nop 0
	v_cndmask_b32_e32 v5, 0, v5, vcc
	v_cmp_nlt_f32_e32 vcc, s71, v3
	s_nop 1
	v_cndmask_b32_e32 v5, v241, v5, vcc
	v_cmp_le_f32_e32 vcc, s66, v3
	s_nop 1
	v_cndmask_b32_e32 v3, 0, v5, vcc
	v_mov_b32_e32 v5, s87
	v_cndmask_b32_e64 v20, v5, v4, s[24:25]
	v_cndmask_b32_e64 v19, v5, v19, s[16:17]
	v_cvt_f16_f32_e32 v4, v85
	v_cvt_f16_f32_e32 v5, v105
	;; [unrolled: 1-line block ×4, first 2 shown]
	v_mov_b32_e32 v85, s88
	v_pack_b32_f16 v4, v4, v5
	v_cvt_f16_f32_e32 v5, v107
	v_mov_b32_e32 v107, v2
	v_mov_b32_e32 v105, v2
	v_fmac_f32_e32 v22, v221, v3
	v_pack_b32_f16 v5, v5, v20
	v_cvt_f16_f32_e32 v20, v21
	v_cvt_f16_f32_e32 v3, v3
	v_cmp_lt_i32_e32 vcc, s46, v1
	s_and_b64 vcc, exec, vcc
	v_pack_b32_f16 v18, v18, v20
	v_cvt_f16_f32_e32 v20, v78
	v_mov_b32_e32 v78, s89
	v_pk_mul_f16 v112, v3, v112 op_sel_hi:[0,1]
	v_pk_mul_f16 v111, v3, v111 op_sel_hi:[0,1]
	v_pack_b32_f16 v19, v20, v19
	v_lshl_add_u64 v[20:21], v[54:55], 2, s[38:39]
	v_lshl_add_u64 v[20:21], v[20:21], 0, v[106:107]
	;; [unrolled: 1-line block ×3, first 2 shown]
	v_cndmask_b32_e64 v21, v78, v21, s[4:5]
	v_cndmask_b32_e64 v20, v85, v20, s[4:5]
	flat_load_dwordx4 v[228:231], v[20:21]
	v_lshl_add_u64 v[20:21], v[52:53], 2, s[38:39]
	v_lshl_add_u64 v[20:21], v[20:21], 0, v[104:105]
	v_cndmask_b32_e64 v21, v78, v21, s[6:7]
	v_cndmask_b32_e64 v20, v85, v20, s[6:7]
	v_pk_mul_f16 v114, v3, v114 op_sel_hi:[0,1]
	v_pk_mul_f16 v113, v3, v113 op_sel_hi:[0,1]
	;; [unrolled: 1-line block ×12, first 2 shown]
	s_waitcnt vmcnt(0) lgkmcnt(0)
	ds_write_b128 v179, v[228:231]
	flat_load_dwordx4 v[228:231], v[20:21]
	v_lshl_add_u64 v[20:21], v[50:51], 2, s[38:39]
	v_lshl_add_u64 v[20:21], v[20:21], 0, v[104:105]
	v_cndmask_b32_e64 v21, v78, v21, s[8:9]
	v_cndmask_b32_e64 v20, v85, v20, s[8:9]
	s_waitcnt vmcnt(0) lgkmcnt(0)
	ds_write_b128 v180, v[228:231]
	flat_load_dwordx4 v[104:107], v[20:21]
	s_waitcnt vmcnt(0) lgkmcnt(0)
	ds_write_b128 v181, v[104:107]
	s_waitcnt lgkmcnt(0)
	s_barrier
	ds_read_u16 v20, v152 offset:240
	ds_read_u16 v21, v152 offset:480
	ds_read_u16 v78, v153
	ds_read_u16 v85, v153 offset:32
	v_cvt_f32_f16_e32 v104, v112
	v_cvt_f32_f16_sdwa v105, v112 dst_sel:DWORD dst_unused:UNUSED_PAD src0_sel:WORD_1
	v_cvt_f32_f16_e32 v106, v111
	s_waitcnt lgkmcnt(1)
	v_perm_b32 v21, v78, v21, s69
	ds_read_u16 v78, v151
	ds_read_u16 v211, v151 offset:32
	v_cvt_f32_f16_sdwa v107, v111 dst_sel:DWORD dst_unused:UNUSED_PAD src0_sel:WORD_1
	ds_read_u16 v111, v151 offset:7680
	ds_read_u16 v112, v154 offset:240
	;; [unrolled: 1-line block ×4, first 2 shown]
	s_waitcnt lgkmcnt(5)
	v_perm_b32 v20, v20, v78, s69
	s_nop 1
	v_mfma_f32_16x16x16_f16 v[104:107], v[20:21], v[18:19], v[104:107]
	s_nop 6
	v_cvt_f16_f32_e32 v20, v104
	v_cvt_f16_f32_e32 v21, v105
	;; [unrolled: 1-line block ×4, first 2 shown]
	v_cvt_f32_f16_e32 v104, v20
	v_cvt_f32_f16_e32 v105, v21
	s_waitcnt lgkmcnt(0)
	v_perm_b32 v21, v214, v212, s69
	v_perm_b32 v20, v112, v111, s69
	v_cvt_f32_f16_e32 v106, v78
	v_cvt_f32_f16_e32 v107, v107
	s_nop 1
	v_mfma_f32_16x16x16_f16 v[104:107], v[20:21], v[4:5], v[104:107]
	s_nop 6
	v_cvt_f16_f32_e32 v20, v104
	v_cvt_f16_f32_e32 v21, v105
	;; [unrolled: 1-line block ×4, first 2 shown]
	v_cvt_f32_f16_sdwa v105, v114 dst_sel:DWORD dst_unused:UNUSED_PAD src0_sel:WORD_1
	v_pack_b32_f16 v112, v20, v21
	ds_read_u16 v20, v155 offset:240
	ds_read_u16 v21, v155 offset:480
	v_pack_b32_f16 v111, v78, v104
	v_cvt_f32_f16_e32 v104, v114
	v_cvt_f32_f16_e32 v106, v113
	s_waitcnt lgkmcnt(1)
	v_perm_b32 v20, v20, v211, s69
	s_waitcnt lgkmcnt(0)
	v_perm_b32 v21, v85, v21, s69
	v_cvt_f32_f16_sdwa v107, v113 dst_sel:DWORD dst_unused:UNUSED_PAD src0_sel:WORD_1
	ds_read_u16 v113, v156 offset:7680
	ds_read_u16 v114, v157 offset:240
	;; [unrolled: 1-line block ×4, first 2 shown]
	v_mfma_f32_16x16x16_f16 v[104:107], v[20:21], v[18:19], v[104:107]
	s_nop 6
	v_cvt_f16_f32_e32 v20, v104
	v_cvt_f16_f32_e32 v21, v105
	v_cvt_f16_f32_e32 v78, v106
	v_cvt_f16_f32_e32 v85, v107
	v_cvt_f32_f16_e32 v104, v20
	v_cvt_f32_f16_e32 v105, v21
	s_waitcnt lgkmcnt(0)
	v_perm_b32 v21, v212, v211, s69
	v_perm_b32 v20, v114, v113, s69
	v_cvt_f32_f16_e32 v106, v78
	v_cvt_f32_f16_e32 v107, v85
	s_nop 1
	v_mfma_f32_16x16x16_f16 v[104:107], v[20:21], v[4:5], v[104:107]
	s_nop 6
	v_cvt_f16_f32_e32 v20, v104
	v_cvt_f16_f32_e32 v21, v105
	v_cvt_f16_f32_e32 v78, v106
	v_cvt_f16_f32_e32 v85, v107
	v_cvt_f32_f16_e32 v104, v116
	v_pack_b32_f16 v114, v20, v21
	v_cvt_f32_f16_sdwa v105, v116 dst_sel:DWORD dst_unused:UNUSED_PAD src0_sel:WORD_1
	v_pack_b32_f16 v113, v78, v85
	ds_read_u16 v20, v151 offset:64
	ds_read_u16 v78, v159 offset:240
	ds_read_u16 v21, v159 offset:480
	ds_read_u16 v85, v153 offset:64
	v_cvt_f32_f16_e32 v106, v115
	v_cvt_f32_f16_sdwa v107, v115 dst_sel:DWORD dst_unused:UNUSED_PAD src0_sel:WORD_1
	s_waitcnt lgkmcnt(2)
	v_perm_b32 v20, v78, v20, s69
	ds_read_u16 v115, v160 offset:7680
	ds_read_u16 v116, v161 offset:240
	ds_read_u16 v211, v161 offset:480
	ds_read_u16 v212, v162 offset:7680
	s_waitcnt lgkmcnt(4)
	v_perm_b32 v21, v85, v21, s69
	s_nop 1
	v_mfma_f32_16x16x16_f16 v[104:107], v[20:21], v[18:19], v[104:107]
	s_nop 6
	v_cvt_f16_f32_e32 v20, v104
	v_cvt_f16_f32_e32 v21, v105
	v_cvt_f16_f32_e32 v78, v106
	v_cvt_f16_f32_e32 v85, v107
	v_cvt_f32_f16_e32 v104, v20
	v_cvt_f32_f16_e32 v105, v21
	s_waitcnt lgkmcnt(0)
	v_perm_b32 v21, v212, v211, s69
	v_perm_b32 v20, v116, v115, s69
	v_cvt_f32_f16_e32 v106, v78
	v_cvt_f32_f16_e32 v107, v85
	s_nop 1
	v_mfma_f32_16x16x16_f16 v[104:107], v[20:21], v[4:5], v[104:107]
	s_nop 6
	v_cvt_f16_f32_e32 v20, v104
	v_cvt_f16_f32_e32 v21, v105
	v_cvt_f16_f32_e32 v78, v106
	v_cvt_f16_f32_e32 v85, v107
	v_cvt_f32_f16_e32 v104, v220
	v_pack_b32_f16 v116, v20, v21
	v_cvt_f32_f16_sdwa v105, v220 dst_sel:DWORD dst_unused:UNUSED_PAD src0_sel:WORD_1
	v_pack_b32_f16 v115, v78, v85
	ds_read_u16 v20, v151 offset:96
	ds_read_u16 v78, v163 offset:240
	ds_read_u16 v21, v163 offset:480
	ds_read_u16 v85, v153 offset:96
	v_cvt_f32_f16_e32 v106, v117
	v_cvt_f32_f16_sdwa v107, v117 dst_sel:DWORD dst_unused:UNUSED_PAD src0_sel:WORD_1
	s_waitcnt lgkmcnt(2)
	v_perm_b32 v20, v78, v20, s69
	ds_read_u16 v117, v164 offset:7680
	ds_read_u16 v211, v165 offset:240
	ds_read_u16 v212, v165 offset:480
	ds_read_u16 v214, v166 offset:7680
	s_waitcnt lgkmcnt(4)
	v_perm_b32 v21, v85, v21, s69
	s_nop 1
	;; [unrolled: 39-line block ×3, first 2 shown]
	v_mfma_f32_16x16x16_f16 v[104:107], v[20:21], v[18:19], v[104:107]
	s_nop 6
	v_cvt_f16_f32_e32 v20, v104
	v_cvt_f16_f32_e32 v21, v105
	;; [unrolled: 1-line block ×4, first 2 shown]
	v_cvt_f32_f16_e32 v104, v20
	v_cvt_f32_f16_e32 v105, v21
	s_waitcnt lgkmcnt(0)
	v_perm_b32 v21, v215, v214, s69
	v_perm_b32 v20, v212, v211, s69
	v_cvt_f32_f16_e32 v106, v78
	v_cvt_f32_f16_e32 v107, v85
	s_nop 1
	v_mfma_f32_16x16x16_f16 v[104:107], v[20:21], v[4:5], v[104:107]
	s_nop 6
	v_cvt_f16_f32_e32 v20, v104
	v_cvt_f16_f32_e32 v21, v105
	;; [unrolled: 1-line block ×4, first 2 shown]
	v_cvt_f32_f16_e32 v104, v25
	v_pack_b32_f16 v218, v20, v21
	v_cvt_f32_f16_sdwa v105, v25 dst_sel:DWORD dst_unused:UNUSED_PAD src0_sel:WORD_1
	v_pack_b32_f16 v217, v78, v85
	ds_read_u16 v20, v151 offset:160
	ds_read_u16 v78, v171 offset:240
	;; [unrolled: 1-line block ×4, first 2 shown]
	v_cvt_f32_f16_e32 v106, v24
	v_cvt_f32_f16_sdwa v107, v24 dst_sel:DWORD dst_unused:UNUSED_PAD src0_sel:WORD_1
	s_waitcnt lgkmcnt(2)
	v_perm_b32 v20, v78, v20, s69
	s_waitcnt lgkmcnt(0)
	v_perm_b32 v21, v85, v21, s69
	ds_read_u16 v78, v172 offset:7680
	ds_read_u16 v85, v173 offset:240
	;; [unrolled: 1-line block ×4, first 2 shown]
	v_mfma_f32_16x16x16_f16 v[104:107], v[20:21], v[18:19], v[104:107]
	s_nop 6
	v_cvt_f16_f32_e32 v20, v104
	v_cvt_f16_f32_e32 v21, v105
	;; [unrolled: 1-line block ×4, first 2 shown]
	v_cvt_f32_f16_e32 v104, v20
	v_cvt_f32_f16_e32 v105, v21
	s_waitcnt lgkmcnt(0)
	v_perm_b32 v21, v212, v211, s69
	v_perm_b32 v20, v85, v78, s69
	v_cvt_f32_f16_e32 v106, v24
	v_cvt_f32_f16_e32 v107, v25
	s_nop 1
	v_mfma_f32_16x16x16_f16 v[104:107], v[20:21], v[4:5], v[104:107]
	s_nop 6
	v_cvt_f16_f32_e32 v20, v104
	v_cvt_f16_f32_e32 v21, v105
	;; [unrolled: 1-line block ×4, first 2 shown]
	v_cvt_f32_f16_e32 v104, v23
	v_pack_b32_f16 v214, v20, v21
	v_cvt_f32_f16_sdwa v105, v23 dst_sel:DWORD dst_unused:UNUSED_PAD src0_sel:WORD_1
	v_pack_b32_f16 v215, v24, v25
	ds_read_u16 v20, v151 offset:192
	ds_read_u16 v24, v175 offset:240
	;; [unrolled: 1-line block ×4, first 2 shown]
	v_cvt_f32_f16_e32 v106, v3
	v_cvt_f32_f16_sdwa v107, v3 dst_sel:DWORD dst_unused:UNUSED_PAD src0_sel:WORD_1
	s_waitcnt lgkmcnt(2)
	v_perm_b32 v20, v24, v20, s69
	s_waitcnt lgkmcnt(0)
	v_perm_b32 v21, v25, v21, s69
	ds_read_u16 v23, v176 offset:7680
	ds_read_u16 v24, v177 offset:240
	;; [unrolled: 1-line block ×4, first 2 shown]
	v_mfma_f32_16x16x16_f16 v[18:21], v[20:21], v[18:19], v[104:107]
	s_waitcnt lgkmcnt(0)
	v_perm_b32 v25, v78, v25, s69
	v_perm_b32 v24, v24, v23, s69
	s_nop 3
	v_cvt_f16_f32_e32 v3, v18
	v_cvt_f16_f32_e32 v19, v19
	;; [unrolled: 1-line block ×4, first 2 shown]
	v_cvt_f32_f16_e32 v18, v3
	v_cvt_f32_f16_e32 v19, v19
	v_cvt_f32_f16_e32 v20, v20
	v_cvt_f32_f16_e32 v21, v21
	s_barrier
	s_nop 0
	v_mfma_f32_16x16x16_f16 v[18:21], v[24:25], v[4:5], v[18:21]
	s_nop 6
	v_cvt_f16_f32_e32 v3, v18
	v_cvt_f16_f32_e32 v4, v19
	;; [unrolled: 1-line block ×4, first 2 shown]
	v_pack_b32_f16 v212, v3, v4
	v_pack_b32_f16 v211, v5, v18
	s_cbranch_vccz .LBB19_66
; %bb.63:                               ;   in Loop: Header=BB19_50 Depth=2
	v_mov_b32_e32 v221, v22
	v_mov_b32_e32 v244, v79
	s_branch .LBB19_50
.LBB19_64:                              ;   in Loop: Header=BB19_14 Depth=1
	s_cbranch_execz .LBB19_13
	s_branch .LBB19_157
.LBB19_65:                              ;   in Loop: Header=BB19_14 Depth=1
	v_mov_b32_e32 v212, 0
	v_mov_b32_e32 v111, 0
	;; [unrolled: 1-line block ×14, first 2 shown]
.LBB19_66:                              ;   in Loop: Header=BB19_14 Depth=1
	v_readlane_b32 s36, v254, 4
	s_lshl_b32 s62, s46, 6
	v_readlane_b32 s37, v254, 5
	v_cmp_eq_u64_e32 vcc, 0, v[80:81]
	s_mov_b32 s33, s68
	s_mov_b32 s68, s65
	;; [unrolled: 1-line block ×3, first 2 shown]
	s_sub_i32 s75, s36, s62
	v_cmp_ne_u64_e64 s[36:37], 0, v[80:81]
	s_ashr_i32 s63, s62, 31
	s_cbranch_vccnz .LBB19_76
; %bb.67:                               ;   in Loop: Header=BB19_14 Depth=1
	v_cmp_le_i32_e32 vcc, s75, v28
                                        ; implicit-def: $sgpr40
	s_and_saveexec_b64 s[38:39], vcc
	s_xor_b64 s[38:39], exec, s[38:39]
	s_cbranch_execz .LBB19_69
; %bb.68:                               ;   in Loop: Header=BB19_14 Depth=1
	ds_write_b16 v125, v2 offset:15360
	ds_write_b16 v127, v2 offset:15360
	s_mov_b32 s40, 0
.LBB19_69:                              ;   in Loop: Header=BB19_14 Depth=1
	s_or_saveexec_b64 s[38:39], s[38:39]
	s_lshl_b64 s[42:43], s[62:63], 1
	v_lshl_add_u64 v[4:5], v[80:81], 0, s[42:43]
	v_lshlrev_b32_e32 v18, 1, v28
	v_mov_b32_e32 v19, v2
	v_lshl_add_u64 v[4:5], v[4:5], 0, v[18:19]
	v_mov_b32_e32 v1, s40
	v_mov_b32_e32 v3, s40
	s_xor_b64 exec, exec, s[38:39]
	s_cbranch_execz .LBB19_71
; %bb.70:                               ;   in Loop: Header=BB19_14 Depth=1
	v_add_u32_e32 v1, s86, v120
	v_mul_hi_u32 v3, s92, v1
	v_add_u32_e32 v3, v1, v3
	v_lshrrev_b32_e32 v3, s93, v3
	v_mul_lo_u32 v3, v3, s76
	v_readlane_b32 s40, v255, 7
	v_sub_u32_e32 v1, v1, v3
	v_readlane_b32 s41, v255, 8
	s_mov_b32 s42, s40
	v_mad_i64_i32 v[18:19], s[40:41], v1, s42, 0
	v_lshl_add_u64 v[18:19], v[18:19], 1, v[4:5]
	v_add_u32_e32 v3, s86, v126
	flat_load_ushort v1, v[18:19]
	v_mul_hi_u32 v18, s92, v3
	v_add_u32_e32 v18, v3, v18
	v_lshrrev_b32_e32 v18, s93, v18
	v_mul_lo_u32 v18, v18, s76
	v_sub_u32_e32 v3, v3, v18
	v_mad_i64_i32 v[18:19], s[40:41], v3, s42, 0
	v_lshl_add_u64 v[18:19], v[18:19], 1, v[4:5]
	flat_load_ushort v3, v[18:19]
	s_waitcnt vmcnt(0) lgkmcnt(0)
	ds_write_b16 v125, v1 offset:15360
	ds_write_b16 v127, v3 offset:15360
	v_add_u32_e32 v1, s86, v128
	v_mul_hi_u32 v3, s92, v1
	v_add_u32_e32 v3, v1, v3
	v_lshrrev_b32_e32 v3, s93, v3
	v_mul_lo_u32 v3, v3, s76
	v_sub_u32_e32 v1, v1, v3
	v_mad_i64_i32 v[18:19], s[40:41], v1, s42, 0
	v_lshl_add_u64 v[18:19], v[18:19], 1, v[4:5]
	v_add_u32_e32 v3, s86, v130
	flat_load_ushort v1, v[18:19]
	v_mul_hi_u32 v18, s92, v3
	v_add_u32_e32 v18, v3, v18
	v_lshrrev_b32_e32 v18, s93, v18
	v_mul_lo_u32 v18, v18, s76
	v_sub_u32_e32 v3, v3, v18
	v_mad_i64_i32 v[18:19], s[40:41], v3, s42, 0
	v_lshl_add_u64 v[18:19], v[18:19], 1, v[4:5]
	flat_load_ushort v3, v[18:19]
.LBB19_71:                              ;   in Loop: Header=BB19_14 Depth=1
	s_or_b64 exec, exec, s[38:39]
	s_waitcnt vmcnt(0) lgkmcnt(0)
	ds_write_b16 v129, v1 offset:15360
	ds_write_b16 v131, v3 offset:15360
                                        ; implicit-def: $sgpr40
	s_and_saveexec_b64 s[38:39], vcc
	s_xor_b64 s[38:39], exec, s[38:39]
	s_cbranch_execz .LBB19_73
; %bb.72:                               ;   in Loop: Header=BB19_14 Depth=1
	ds_write_b16 v133, v2 offset:15360
	ds_write_b16 v135, v2 offset:15360
	s_mov_b32 s40, 0
                                        ; implicit-def: $vgpr4_vgpr5
.LBB19_73:                              ;   in Loop: Header=BB19_14 Depth=1
	s_or_saveexec_b64 s[38:39], s[38:39]
	v_mov_b32_e32 v1, s40
	v_mov_b32_e32 v3, s40
	s_xor_b64 exec, exec, s[38:39]
	s_cbranch_execz .LBB19_75
; %bb.74:                               ;   in Loop: Header=BB19_14 Depth=1
	v_add_u32_e32 v1, s86, v132
	v_mul_hi_u32 v3, s92, v1
	v_add_u32_e32 v3, v1, v3
	v_lshrrev_b32_e32 v3, s93, v3
	v_mul_lo_u32 v3, v3, s76
	v_readlane_b32 s40, v255, 7
	v_sub_u32_e32 v1, v1, v3
	v_readlane_b32 s41, v255, 8
	s_mov_b32 s42, s40
	v_mad_i64_i32 v[18:19], s[40:41], v1, s42, 0
	v_lshl_add_u64 v[18:19], v[18:19], 1, v[4:5]
	v_add_u32_e32 v3, s86, v134
	flat_load_ushort v1, v[18:19]
	v_mul_hi_u32 v18, s92, v3
	v_add_u32_e32 v18, v3, v18
	v_lshrrev_b32_e32 v18, s93, v18
	v_mul_lo_u32 v18, v18, s76
	v_sub_u32_e32 v3, v3, v18
	v_mad_i64_i32 v[18:19], s[40:41], v3, s42, 0
	v_lshl_add_u64 v[18:19], v[18:19], 1, v[4:5]
	flat_load_ushort v3, v[18:19]
	s_waitcnt vmcnt(0) lgkmcnt(0)
	ds_write_b16 v133, v1 offset:15360
	ds_write_b16 v135, v3 offset:15360
	v_add_u32_e32 v1, s86, v136
	v_mul_hi_u32 v3, s92, v1
	v_add_u32_e32 v3, v1, v3
	v_lshrrev_b32_e32 v3, s93, v3
	v_mul_lo_u32 v3, v3, s76
	v_sub_u32_e32 v1, v1, v3
	v_mad_i64_i32 v[18:19], s[40:41], v1, s42, 0
	v_lshl_add_u64 v[18:19], v[18:19], 1, v[4:5]
	v_add_u32_e32 v3, s86, v138
	flat_load_ushort v1, v[18:19]
	v_mul_hi_u32 v18, s92, v3
	v_add_u32_e32 v18, v3, v18
	v_lshrrev_b32_e32 v18, s93, v18
	v_mul_lo_u32 v18, v18, s76
	v_sub_u32_e32 v3, v3, v18
	v_mad_i64_i32 v[18:19], s[40:41], v3, s42, 0
	v_lshl_add_u64 v[4:5], v[18:19], 1, v[4:5]
	flat_load_ushort v3, v[4:5]
.LBB19_75:                              ;   in Loop: Header=BB19_14 Depth=1
	s_or_b64 exec, exec, s[38:39]
	s_waitcnt vmcnt(0) lgkmcnt(0)
	ds_write_b16 v137, v1 offset:15360
	ds_write_b16 v139, v3 offset:15360
.LBB19_76:                              ;   in Loop: Header=BB19_14 Depth=1
	s_mul_hi_i32 s39, s62, s90
	s_mul_i32 s38, s62, s90
	s_lshl_b64 s[38:39], s[38:39], 2
	s_add_u32 s38, s26, s38
	s_addc_u32 s39, s27, s39
	v_mov_b32_e32 v3, v2
	v_mov_b32_e32 v4, v2
	;; [unrolled: 1-line block ×3, first 2 shown]
	scratch_store_dwordx4 off, v[2:5], off
	s_and_saveexec_b64 s[40:41], s[98:99]
	s_cbranch_execz .LBB19_78
; %bb.77:                               ;   in Loop: Header=BB19_14 Depth=1
	v_lshl_add_u64 v[4:5], v[38:39], 2, s[38:39]
	v_lshlrev_b32_e32 v18, 2, v40
	v_mov_b32_e32 v19, v2
	v_lshl_add_u64 v[4:5], v[4:5], 0, v[18:19]
	s_mov_b64 s[42:43], 0xc0
	v_lshl_add_u64 v[4:5], v[4:5], 0, s[42:43]
	v_mov_b32_e32 v1, s89
	v_cmp_gt_i32_e32 vcc, s75, v140
	s_nop 1
	v_cndmask_b32_e32 v5, v1, v5, vcc
	v_mov_b32_e32 v1, s88
	v_cndmask_b32_e32 v4, v1, v4, vcc
	flat_load_dwordx4 v[18:21], v[4:5]
	s_waitcnt vmcnt(0) lgkmcnt(0)
	ds_write_b128 v141, v[18:21]
.LBB19_78:                              ;   in Loop: Header=BB19_14 Depth=1
	s_or_b64 exec, exec, s[40:41]
	v_lshl_add_u64 v[4:5], v[42:43], 2, s[38:39]
	v_lshlrev_b32_e32 v20, 2, v56
	v_mov_b32_e32 v21, v2
	v_lshl_add_u64 v[4:5], v[4:5], 0, v[20:21]
	v_lshl_add_u64 v[4:5], v[4:5], 0, s[34:35]
	v_mov_b32_e32 v1, s89
	v_cmp_gt_i32_e64 s[54:55], s75, v142
	v_mov_b32_e32 v3, s88
	v_lshlrev_b32_e32 v18, 2, v58
	v_cndmask_b32_e64 v5, v1, v5, s[54:55]
	v_cndmask_b32_e64 v4, v3, v4, s[54:55]
	flat_load_dwordx4 v[86:89], v[4:5]
	v_lshl_add_u64 v[4:5], v[44:45], 2, s[38:39]
	v_mov_b32_e32 v19, v2
	v_lshl_add_u64 v[4:5], v[4:5], 0, v[18:19]
	v_cmp_gt_i32_e64 s[50:51], s75, v41
	v_cmp_gt_i32_e64 s[52:53], s75, v143
	s_andn2_b64 vcc, exec, s[36:37]
	v_cndmask_b32_e64 v5, v1, v5, s[50:51]
	v_cndmask_b32_e64 v4, v3, v4, s[50:51]
	s_mov_b64 s[56:57], s[58:59]
	s_waitcnt vmcnt(0) lgkmcnt(0)
	ds_write_b128 v179, v[86:89]
	flat_load_dwordx4 v[86:89], v[4:5]
	v_lshl_add_u64 v[4:5], v[46:47], 2, s[38:39]
	v_lshl_add_u64 v[4:5], v[4:5], 0, v[18:19]
	v_cndmask_b32_e64 v5, v1, v5, s[52:53]
	v_cndmask_b32_e64 v4, v3, v4, s[52:53]
	v_add_u32_e32 v1, v59, v144
	v_add_u32_e32 v3, 0x1800, v1
	s_waitcnt vmcnt(0) lgkmcnt(0)
	ds_write_b128 v180, v[86:89]
	flat_load_dwordx4 v[86:89], v[4:5]
	s_waitcnt vmcnt(0) lgkmcnt(0)
	ds_write_b128 v181, v[86:89]
	s_waitcnt lgkmcnt(0)
	s_barrier
	ds_read2_b64 v[86:89], v1 offset1:4
	ds_read2_b64 v[94:97], v3 offset0:192 offset1:196
	s_waitcnt lgkmcnt(1)
	v_mfma_f32_16x16x16_f16 v[90:93], v[86:87], v[14:15], 0
	ds_read_b64 v[24:25], v1 offset:192
	s_waitcnt lgkmcnt(1)
	v_mfma_f32_16x16x16_f16 v[98:101], v[94:95], v[14:15], 0
	v_mfma_f32_16x16x16_f16 v[86:89], v[88:89], v[16:17], v[90:93]
	;; [unrolled: 1-line block ×3, first 2 shown]
	s_nop 1
	ds_read2_b64 v[90:93], v1 offset0:8 offset1:12
	ds_read2_b64 v[94:97], v3 offset0:200 offset1:204
	s_waitcnt lgkmcnt(1)
	v_mfma_f32_16x16x16_f16 v[86:89], v[90:91], v[10:11], v[86:89]
	s_waitcnt lgkmcnt(0)
	v_mfma_f32_16x16x16_f16 v[14:17], v[94:95], v[10:11], v[14:17]
	v_mfma_f32_16x16x16_f16 v[86:89], v[92:93], v[12:13], v[86:89]
	ds_read2_b64 v[90:93], v3 offset0:208 offset1:212
	v_mfma_f32_16x16x16_f16 v[10:13], v[96:97], v[12:13], v[14:17]
	s_nop 3
	ds_read2_b64 v[14:17], v1 offset0:16 offset1:20
	s_waitcnt lgkmcnt(0)
	v_mfma_f32_16x16x16_f16 v[86:89], v[14:15], v[6:7], v[86:89]
	v_mfma_f32_16x16x16_f16 v[4:7], v[90:91], v[6:7], v[10:13]
	;; [unrolled: 1-line block ×4, first 2 shown]
	s_nop 4
	ds_read_b64 v[4:5], v1 offset:7872
	v_mfma_f32_16x16x16_f16 v[6:9], v[24:25], v[82:83], v[10:13]
	s_waitcnt lgkmcnt(0)
	s_barrier
	v_mfma_f32_16x16x16_f16 v[10:13], v[4:5], v[82:83], v[14:17]
	s_cbranch_vccnz .LBB19_80
; %bb.79:                               ;   in Loop: Header=BB19_14 Depth=1
	v_add_u32_e32 v1, 0x3c00, v146
	ds_read2_b32 v[4:5], v1 offset1:1
	ds_read_b32 v1, v148 offset:15360
	s_waitcnt lgkmcnt(1)
	v_cvt_f32_f16_e32 v14, v4
	v_cvt_f32_f16_sdwa v15, v4 dst_sel:DWORD dst_unused:UNUSED_PAD src0_sel:WORD_1
	v_cvt_f32_f16_e32 v4, v5
	v_cvt_f32_f16_sdwa v5, v5 dst_sel:DWORD dst_unused:UNUSED_PAD src0_sel:WORD_1
	v_pk_fma_f32 v[6:7], v[84:85], v[14:15], v[6:7] op_sel_hi:[0,1,1]
	v_pk_fma_f32 v[8:9], v[84:85], v[4:5], v[8:9] op_sel_hi:[0,1,1]
	s_waitcnt lgkmcnt(0)
	v_cvt_f32_f16_sdwa v5, v1 dst_sel:DWORD dst_unused:UNUSED_PAD src0_sel:WORD_1
	v_cvt_f32_f16_e32 v4, v1
	ds_read_b32 v1, v150 offset:15360
	v_pk_fma_f32 v[10:11], v[84:85], v[4:5], v[10:11] op_sel_hi:[0,1,1]
	s_waitcnt lgkmcnt(0)
	v_cvt_f32_f16_sdwa v15, v1 dst_sel:DWORD dst_unused:UNUSED_PAD src0_sel:WORD_1
	v_cvt_f32_f16_e32 v14, v1
	v_pk_fma_f32 v[12:13], v[84:85], v[14:15], v[12:13] op_sel_hi:[0,1,1]
.LBB19_80:                              ;   in Loop: Header=BB19_14 Depth=1
	s_nop 2
	v_add_f32_e32 v1, 0x40051340, v6
	v_max_f32_e32 v3, v79, v79
	v_max_f32_e32 v1, v3, v1
	v_cmp_gt_u32_e64 s[48:49], s75, v145
	v_add_f32_e32 v3, 0x40051340, v7
	v_cmp_gt_u32_e64 s[44:45], s75, v182
	v_cndmask_b32_e64 v1, v79, v1, s[48:49]
	v_max_f32_e32 v4, v1, v1
	v_max_f32_e32 v3, v4, v3
	v_cndmask_b32_e64 v1, v1, v3, s[44:45]
	v_add_f32_e32 v3, 0x40051340, v8
	v_max_f32_e32 v4, v1, v1
	v_max_f32_e32 v3, v4, v3
	v_cmp_gt_u32_e64 s[46:47], s75, v183
	v_cmp_gt_u32_e64 s[42:43], s75, v184
	v_cmp_gt_u32_e32 vcc, s75, v147
	v_cndmask_b32_e64 v1, v1, v3, s[46:47]
	v_add_f32_e32 v3, 0x40051340, v9
	v_max_f32_e32 v4, v1, v1
	v_max_f32_e32 v3, v4, v3
	v_cndmask_b32_e64 v1, v1, v3, s[42:43]
	v_add_f32_e32 v3, 0x40051340, v10
	v_max_f32_e32 v4, v1, v1
	v_max_f32_e32 v3, v4, v3
	v_cndmask_b32_e32 v1, v1, v3, vcc
	v_add_f32_e32 v3, 0x40051340, v11
	v_max_f32_e32 v4, v1, v1
	v_max_f32_e32 v3, v4, v3
	v_cmp_gt_u32_e64 s[36:37], s75, v185
	v_cmp_gt_u32_e64 s[38:39], s75, v149
	;; [unrolled: 1-line block ×3, first 2 shown]
	v_cndmask_b32_e64 v1, v1, v3, s[36:37]
	v_add_f32_e32 v3, 0x40051340, v12
	v_max_f32_e32 v4, v1, v1
	v_max_f32_e32 v3, v4, v3
	v_cndmask_b32_e64 v1, v1, v3, s[38:39]
	v_add_f32_e32 v3, 0x40051340, v13
	v_max_f32_e32 v4, v1, v1
	v_max_f32_e32 v3, v4, v3
	v_cndmask_b32_e64 v1, v1, v3, s[40:41]
	v_and_b32_e32 v3, 64, v243
	v_add_u32_e32 v3, 64, v3
	v_xor_b32_e32 v4, 32, v243
	v_cmp_lt_i32_e64 s[58:59], v4, v3
	v_mov_b32_e32 v5, v2
	s_nop 0
	v_cndmask_b32_e64 v4, v243, v4, s[58:59]
	v_lshlrev_b32_e32 v15, 2, v4
	ds_bpermute_b32 v4, v15, v1
	v_max_f32_e32 v1, v1, v1
	s_waitcnt lgkmcnt(0)
	v_max_f32_e32 v4, v4, v4
	v_max_f32_e32 v1, v1, v4
	v_xor_b32_e32 v4, 16, v243
	v_cmp_lt_i32_e64 s[58:59], v4, v3
	s_nop 1
	v_cndmask_b32_e64 v3, v243, v4, s[58:59]
	v_lshlrev_b32_e32 v23, 2, v3
	ds_bpermute_b32 v14, v23, v1
	s_mul_hi_i32 s59, s62, s78
	s_mul_i32 s58, s62, s78
	s_lshl_b64 s[58:59], s[58:59], 2
	s_add_u32 s62, s84, s58
	s_addc_u32 s63, s85, s59
	v_mov_b32_e32 v3, v2
	v_mov_b32_e32 v4, v2
	scratch_store_dwordx4 off, v[2:5], off
	s_and_saveexec_b64 s[64:65], s[98:99]
	s_cbranch_execz .LBB19_82
; %bb.81:                               ;   in Loop: Header=BB19_14 Depth=1
	v_lshl_add_u64 v[4:5], v[48:49], 2, s[62:63]
	v_lshlrev_b32_e32 v16, 2, v40
	v_mov_b32_e32 v17, v2
	v_lshl_add_u64 v[4:5], v[4:5], 0, v[16:17]
	s_mov_b64 s[58:59], 0xc0
	v_lshl_add_u64 v[4:5], v[4:5], 0, s[58:59]
	v_mov_b32_e32 v3, s89
	v_cmp_gt_i32_e64 s[58:59], s75, v140
	s_nop 1
	v_cndmask_b32_e64 v5, v3, v5, s[58:59]
	v_mov_b32_e32 v3, s88
	v_cndmask_b32_e64 v4, v3, v4, s[58:59]
	flat_load_dwordx4 v[86:89], v[4:5]
	s_waitcnt vmcnt(0) lgkmcnt(0)
	ds_write_b128 v141, v[86:89]
.LBB19_82:                              ;   in Loop: Header=BB19_14 Depth=1
	s_or_b64 exec, exec, s[64:65]
	v_lshl_add_u64 v[4:5], v[54:55], 2, s[62:63]
	v_mov_b32_e32 v21, v2
	v_lshl_add_u64 v[4:5], v[4:5], 0, v[20:21]
	v_lshl_add_u64 v[4:5], v[4:5], 0, s[34:35]
	v_mov_b32_e32 v24, s89
	v_mov_b32_e32 v25, s88
	v_cndmask_b32_e64 v5, v24, v5, s[54:55]
	v_cndmask_b32_e64 v4, v25, v4, s[54:55]
	flat_load_dwordx4 v[86:89], v[4:5]
	s_waitcnt lgkmcnt(0)
	v_max_f32_e32 v14, v14, v14
	v_max_f32_e32 v78, v1, v1
	v_lshl_add_u64 v[16:17], v[52:53], 2, s[62:63]
	v_mov_b32_e32 v19, v2
	v_lshl_add_u64 v[20:21], v[50:51], 2, s[62:63]
	v_max_f32_e32 v14, v78, v14
	v_lshl_add_u64 v[16:17], v[16:17], 0, v[18:19]
	v_cndmask_b32_e32 v11, v11, v11, vcc
	v_lshl_add_u64 v[18:19], v[20:21], 0, v[18:19]
	v_sub_f32_e32 v78, v6, v14
	v_sub_f32_e32 v90, v7, v14
	v_cndmask_b32_e64 v7, v24, v17, s[50:51]
	v_cndmask_b32_e64 v6, v25, v16, s[50:51]
	v_sub_f32_e32 v91, v10, v14
	v_sub_f32_e32 v92, v11, v14
	v_cndmask_b32_e64 v11, v24, v19, s[52:53]
	v_cndmask_b32_e64 v10, v25, v18, s[52:53]
	v_cndmask_b32_e32 v85, v12, v12, vcc
	v_cndmask_b32_e64 v82, v9, v9, s[44:45]
	v_cndmask_b32_e32 v13, v13, v13, vcc
	v_sub_f32_e32 v85, v85, v14
	v_mul_f32_e32 v20, 0x3fb8aa3b, v78
	v_sub_f32_e32 v82, v82, v14
	v_sub_f32_e32 v13, v13, v14
	v_mul_f32_e32 v21, 0x3fb8aa3b, v90
	v_mul_f32_e32 v93, 0x3fb8aa3b, v91
	;; [unrolled: 1-line block ×3, first 2 shown]
	v_fma_f32 v98, v78, s67, -v20
	v_rndne_f32_e32 v99, v20
	v_mul_f32_e32 v25, 0x3fb8aa3b, v82
	v_mul_f32_e32 v94, 0x3fb8aa3b, v92
	;; [unrolled: 1-line block ×3, first 2 shown]
	v_fma_f32 v100, v90, s67, -v21
	v_rndne_f32_e32 v101, v21
	v_rndne_f32_e32 v105, v95
	v_fmac_f32_e32 v98, 0x32a5705f, v78
	v_sub_f32_e32 v20, v20, v99
	v_fma_f32 v104, v82, s67, -v25
	v_fma_f32 v106, v13, s67, -v96
	v_rndne_f32_e32 v107, v96
	v_fmac_f32_e32 v100, 0x32a5705f, v90
	v_sub_f32_e32 v21, v21, v101
	v_add_f32_e32 v20, v20, v98
	v_cvt_i32_f32_e32 v99, v99
	v_fmac_f32_e32 v104, 0x32a5705f, v82
	v_fmac_f32_e32 v106, 0x32a5705f, v13
	v_sub_f32_e32 v96, v96, v107
	v_add_f32_e32 v21, v21, v100
	v_exp_f32_e32 v20, v20
	v_cvt_i32_f32_e32 v101, v101
	v_exp_f32_e32 v21, v21
	v_cvt_i32_f32_e32 v107, v107
	v_ldexp_f32 v20, v20, v99
	v_cmp_ngt_f32_e64 s[50:51], s77, v78
	v_ldexp_f32 v21, v21, v101
	v_cndmask_b32_e64 v83, v8, v8, s[44:45]
	v_sub_f32_e32 v83, v83, v14
	v_mul_f32_e32 v24, 0x3fb8aa3b, v83
	v_fma_f32 v102, v83, s67, -v24
	v_rndne_f32_e32 v103, v24
	v_fmac_f32_e32 v102, 0x32a5705f, v83
	v_sub_f32_e32 v24, v24, v103
	v_add_f32_e32 v24, v24, v102
	v_cvt_i32_f32_e32 v103, v103
	v_exp_f32_e32 v24, v24
	v_sub_f32_e32 v79, v79, v14
	v_mul_f32_e32 v97, 0x3fb8aa3b, v79
	v_fma_f32 v109, v79, s67, -v97
	v_rndne_f32_e32 v110, v97
	v_fmac_f32_e32 v109, 0x32a5705f, v79
	v_sub_f32_e32 v97, v97, v110
	v_ldexp_f32 v24, v24, v103
	v_cvt_i32_f32_e32 v110, v110
	v_mov_b32_e32 v1, s87
	v_mov_b32_e32 v8, s87
	;; [unrolled: 1-line block ×6, first 2 shown]
	s_waitcnt vmcnt(0)
	ds_write_b128 v179, v[86:89]
	flat_load_dwordx4 v[16:19], v[6:7]
	v_fma_f32 v7, v91, s67, -v93
	v_rndne_f32_e32 v86, v93
	v_fma_f32 v89, v85, s67, -v95
	v_rndne_f32_e32 v6, v25
	;; [unrolled: 2-line block ×3, first 2 shown]
	v_fmac_f32_e32 v7, 0x32a5705f, v91
	v_sub_f32_e32 v93, v93, v86
	v_fmac_f32_e32 v89, 0x32a5705f, v85
	v_sub_f32_e32 v95, v95, v105
	v_sub_f32_e32 v25, v25, v6
	v_fmac_f32_e32 v87, 0x32a5705f, v92
	v_sub_f32_e32 v94, v94, v88
	v_add_f32_e32 v7, v93, v7
	v_add_f32_e32 v89, v95, v89
	v_cvt_i32_f32_e32 v86, v86
	v_cvt_i32_f32_e32 v105, v105
	v_add_f32_e32 v25, v25, v104
	v_add_f32_e32 v87, v94, v87
	;; [unrolled: 1-line block ×3, first 2 shown]
	v_exp_f32_e32 v7, v7
	v_exp_f32_e32 v89, v89
	v_cvt_i32_f32_e32 v6, v6
	v_cvt_i32_f32_e32 v88, v88
	v_exp_f32_e32 v25, v25
	v_exp_f32_e32 v87, v87
	v_exp_f32_e32 v93, v93
	v_ldexp_f32 v7, v7, v86
	v_ldexp_f32 v86, v89, v105
	v_cndmask_b32_e64 v89, 0, v20, s[50:51]
	v_cmp_ngt_f32_e64 s[50:51], s77, v90
	v_ldexp_f32 v6, v25, v6
	v_ldexp_f32 v25, v87, v88
	;; [unrolled: 1-line block ×3, first 2 shown]
	v_cndmask_b32_e64 v93, 0, v21, s[50:51]
	v_cmp_ngt_f32_e64 s[50:51], s77, v83
	v_add_f32_e32 v94, v97, v109
	v_exp_f32_e32 v94, v94
	v_cndmask_b32_e64 v24, 0, v24, s[50:51]
	v_cmp_ngt_f32_e64 s[50:51], s77, v82
	v_mov_b32_e32 v3, s87
	v_ldexp_f32 v88, v94, v110
	v_cndmask_b32_e64 v6, 0, v6, s[50:51]
	v_cmp_ngt_f32_e64 s[50:51], s77, v91
	s_waitcnt vmcnt(0) lgkmcnt(0)
	ds_write_b128 v180, v[16:19]
	flat_load_dwordx4 v[18:21], v[10:11]
	v_cndmask_b32_e64 v7, 0, v7, s[50:51]
	v_cmp_ngt_f32_e64 s[50:51], s77, v92
	s_waitcnt vmcnt(0) lgkmcnt(0)
	ds_write_b128 v181, v[18:21]
	v_cndmask_b32_e64 v25, 0, v25, s[50:51]
	v_cmp_ngt_f32_e64 s[50:51], s77, v85
	s_waitcnt lgkmcnt(0)
	s_barrier
	v_cndmask_b32_e64 v86, 0, v86, s[50:51]
	v_cmp_ngt_f32_e64 s[50:51], s77, v13
	s_nop 1
	v_cndmask_b32_e64 v10, 0, v87, s[50:51]
	v_cmp_ngt_f32_e64 s[50:51], s77, v79
	s_nop 1
	v_cndmask_b32_e64 v11, 0, v88, s[50:51]
	v_cmp_nlt_f32_e64 s[50:51], s71, v78
	s_nop 1
	v_cndmask_b32_e64 v16, v241, v89, s[50:51]
	v_cmp_nlt_f32_e64 s[50:51], s71, v90
	;; [unrolled: 3-line block ×3, first 2 shown]
	v_cndmask_b32_e64 v1, v1, v17, s[44:45]
	v_cvt_f16_f32_e32 v1, v1
	v_cndmask_b32_e64 v24, v241, v24, s[50:51]
	v_cmp_nlt_f32_e64 s[50:51], s71, v82
	v_cndmask_b32_e64 v4, v4, v24, s[46:47]
	v_cvt_f16_f32_e32 v4, v4
	v_cndmask_b32_e64 v78, v241, v6, s[50:51]
	v_cmp_nlt_f32_e64 s[50:51], s71, v91
	v_cndmask_b32_e64 v6, 0, v16, s[48:49]
	v_cmp_le_f32_e64 s[48:49], s66, v79
	v_cndmask_b32_e64 v82, v241, v7, s[50:51]
	v_cmp_nlt_f32_e64 s[50:51], s71, v92
	v_cndmask_b32_e32 v8, v8, v82, vcc
	v_cndmask_b32_e64 v5, v5, v78, s[42:43]
	v_cndmask_b32_e64 v25, v241, v25, s[50:51]
	v_cmp_nlt_f32_e64 s[50:51], s71, v85
	v_cvt_f16_f32_e32 v5, v5
	v_cndmask_b32_e64 v9, v9, v25, s[36:37]
	v_cndmask_b32_e64 v83, v241, v86, s[50:51]
	v_cmp_nlt_f32_e64 s[50:51], s71, v13
	v_cvt_f16_f32_e32 v85, v9
	s_nop 0
	v_cndmask_b32_e64 v13, v241, v10, s[50:51]
	v_cmp_nlt_f32_e64 s[50:51], s71, v79
	v_cndmask_b32_e64 v10, v12, v83, s[38:39]
	v_cvt_f16_f32_e32 v79, v8
	v_cndmask_b32_e64 v7, v241, v11, s[50:51]
	v_cndmask_b32_e64 v12, 0, v7, s[48:49]
	v_add_f32_e32 v7, v17, v6
	v_cvt_f16_f32_e32 v11, v12
	v_cvt_f16_f32_e32 v8, v6
	v_cndmask_b32_e64 v6, v6, v7, s[44:45]
	v_add_f32_e32 v7, v6, v24
	v_cndmask_b32_e64 v6, v6, v7, s[46:47]
	v_add_f32_e32 v7, v6, v78
	v_pk_mul_f16 v9, v11, v112 op_sel_hi:[0,1]
	v_pk_mul_f16 v24, v11, v114 op_sel_hi:[0,1]
	v_pack_b32_f16 v16, v8, v1
	v_cndmask_b32_e64 v1, v6, v7, s[42:43]
	v_pack_b32_f16 v17, v4, v5
	v_cvt_f32_f16_e32 v4, v9
	v_cvt_f32_f16_sdwa v5, v9 dst_sel:DWORD dst_unused:UNUSED_PAD src0_sel:WORD_1
	v_cvt_f32_f16_e32 v8, v24
	v_cvt_f32_f16_sdwa v9, v24 dst_sel:DWORD dst_unused:UNUSED_PAD src0_sel:WORD_1
	v_add_f32_e32 v24, v82, v1
	v_cndmask_b32_e32 v1, v1, v24, vcc
	v_add_f32_e32 v24, v25, v1
	v_cndmask_b32_e64 v1, v1, v24, s[36:37]
	v_add_f32_e32 v24, v83, v1
	v_cndmask_b32_e64 v1, v1, v24, s[38:39]
	v_cndmask_b32_e64 v3, v3, v13, s[40:41]
	v_add_f32_e32 v13, v13, v1
	v_cvt_f16_f32_e32 v86, v10
	v_pk_mul_f16 v10, v11, v111 op_sel_hi:[0,1]
	v_pk_mul_f16 v78, v11, v113 op_sel_hi:[0,1]
	v_cndmask_b32_e64 v82, v1, v13, s[40:41]
	v_pk_mul_f16 v87, v11, v116 op_sel_hi:[0,1]
	v_pk_mul_f16 v88, v11, v115 op_sel_hi:[0,1]
	;; [unrolled: 1-line block ×10, first 2 shown]
	v_cvt_f32_f16_e32 v6, v10
	v_cvt_f32_f16_sdwa v7, v10 dst_sel:DWORD dst_unused:UNUSED_PAD src0_sel:WORD_1
	v_cvt_f32_f16_e32 v10, v78
	v_cvt_f32_f16_sdwa v11, v78 dst_sel:DWORD dst_unused:UNUSED_PAD src0_sel:WORD_1
	v_fmac_f32_e32 v82, v22, v12
	ds_read_u16 v1, v155 offset:240
	ds_read_u16 v18, v155 offset:480
	;; [unrolled: 1-line block ×7, first 2 shown]
	ds_read_u16 v12, v151
	ds_read_u16 v25, v151 offset:32
	ds_read_u16 v83, v151 offset:64
	;; [unrolled: 1-line block ×7, first 2 shown]
	ds_read_u16 v100, v153
	ds_read_u16 v101, v153 offset:32
	ds_read_u16 v102, v153 offset:64
	;; [unrolled: 1-line block ×7, first 2 shown]
	s_waitcnt lgkmcnt(7)
	v_perm_b32 v13, v100, v13, s69
	v_perm_b32 v12, v21, v12, s69
	;; [unrolled: 1-line block ×4, first 2 shown]
	v_mfma_f32_16x16x16_f16 v[4:7], v[12:13], v[16:17], v[4:7]
	v_cvt_f16_f32_e32 v3, v3
	s_waitcnt lgkmcnt(6)
	v_perm_b32 v21, v101, v18, s69
	s_waitcnt lgkmcnt(1)
	v_perm_b32 v18, v24, v106, s69
	s_nop 1
	v_cvt_f16_f32_e32 v1, v4
	v_cvt_f16_f32_e32 v5, v5
	;; [unrolled: 1-line block ×4, first 2 shown]
	v_cvt_f32_f16_e32 v4, v1
	v_cvt_f32_f16_e32 v5, v5
	;; [unrolled: 1-line block ×4, first 2 shown]
	v_pack_b32_f16 v24, v79, v85
	v_pack_b32_f16 v25, v86, v3
	v_mfma_f32_16x16x16_f16 v[8:11], v[20:21], v[16:17], v[8:11]
	ds_read_u16 v100, v153 offset:192
	v_perm_b32 v12, v78, v22, s69
	ds_bpermute_b32 v15, v15, v82
	v_mfma_f32_16x16x16_f16 v[4:7], v[18:19], v[24:25], v[4:7]
	v_readlane_b32 s36, v255, 11
	s_nop 1
	v_cvt_f16_f32_e32 v1, v8
	v_cvt_f16_f32_e32 v10, v10
	;; [unrolled: 1-line block ×3, first 2 shown]
	s_waitcnt lgkmcnt(0)
	v_add_f32_e32 v15, v82, v15
	v_cvt_f16_f32_e32 v3, v4
	v_cvt_f16_f32_e32 v4, v5
	;; [unrolled: 1-line block ×3, first 2 shown]
	v_cvt_f32_f16_e32 v8, v1
	v_cvt_f32_f16_e32 v10, v10
	;; [unrolled: 1-line block ×4, first 2 shown]
	ds_read_u16 v1, v157 offset:480
	ds_read_u16 v5, v158 offset:7680
	;; [unrolled: 1-line block ×8, first 2 shown]
	s_waitcnt lgkmcnt(6)
	v_perm_b32 v13, v5, v1, s69
	s_waitcnt lgkmcnt(4)
	v_perm_b32 v19, v102, v19, s69
	v_perm_b32 v18, v18, v83, s69
	v_cvt_f16_f32_e32 v1, v6
	v_cvt_f16_f32_e32 v5, v7
	v_mfma_f32_16x16x16_f16 v[6:9], v[12:13], v[24:25], v[8:11]
	v_cvt_f32_f16_e32 v12, v88
	v_cvt_f32_f16_sdwa v13, v88 dst_sel:DWORD dst_unused:UNUSED_PAD src0_sel:WORD_1
	v_pack_b32_f16 v4, v3, v4
	v_cvt_f32_f16_e32 v10, v87
	v_cvt_f32_f16_sdwa v11, v87 dst_sel:DWORD dst_unused:UNUSED_PAD src0_sel:WORD_1
	v_pack_b32_f16 v1, v1, v5
	s_nop 0
	v_cvt_f16_f32_e32 v3, v6
	v_mfma_f32_16x16x16_f16 v[10:13], v[18:19], v[16:17], v[10:13]
	v_cvt_f16_f32_e32 v5, v7
	s_waitcnt lgkmcnt(0)
	v_perm_b32 v19, v85, v79, s69
	v_perm_b32 v18, v21, v20, s69
	v_cvt_f16_f32_e32 v22, v9
	s_nop 1
	v_cvt_f16_f32_e32 v6, v10
	v_cvt_f16_f32_e32 v7, v11
	v_cvt_f16_f32_e32 v12, v12
	v_cvt_f16_f32_e32 v13, v13
	v_cvt_f32_f16_e32 v10, v6
	v_cvt_f32_f16_e32 v11, v7
	;; [unrolled: 1-line block ×4, first 2 shown]
	v_cvt_f16_f32_e32 v7, v8
	v_pack_b32_f16 v6, v3, v5
	v_mfma_f32_16x16x16_f16 v[8:11], v[18:19], v[24:25], v[10:13]
	ds_read_u16 v3, v163 offset:240
	ds_read_u16 v5, v163 offset:480
	;; [unrolled: 1-line block ×8, first 2 shown]
	s_waitcnt lgkmcnt(6)
	v_perm_b32 v13, v103, v5, s69
	v_perm_b32 v12, v3, v97, s69
	v_cvt_f32_f16_e32 v18, v89
	v_cvt_f32_f16_sdwa v19, v89 dst_sel:DWORD dst_unused:UNUSED_PAD src0_sel:WORD_1
	v_cvt_f32_f16_e32 v20, v90
	v_cvt_f32_f16_sdwa v21, v90 dst_sel:DWORD dst_unused:UNUSED_PAD src0_sel:WORD_1
	v_pack_b32_f16 v3, v7, v22
	v_cvt_f16_f32_e32 v5, v8
	v_mfma_f32_16x16x16_f16 v[18:21], v[12:13], v[16:17], v[18:21]
	v_cvt_f16_f32_e32 v7, v9
	s_waitcnt lgkmcnt(2)
	v_perm_b32 v13, v85, v83, s69
	v_cvt_f16_f32_e32 v22, v11
	v_cvt_f32_f16_e32 v88, v94
	s_nop 1
	v_cvt_f16_f32_e32 v12, v20
	v_cvt_f16_f32_e32 v8, v18
	;; [unrolled: 1-line block ×4, first 2 shown]
	v_cvt_f32_f16_e32 v20, v12
	v_perm_b32 v12, v79, v78, s69
	v_cvt_f32_f16_e32 v18, v8
	v_cvt_f32_f16_e32 v19, v9
	;; [unrolled: 1-line block ×3, first 2 shown]
	s_waitcnt lgkmcnt(0)
	v_perm_b32 v79, v104, v87, s69
	v_perm_b32 v78, v86, v98, s69
	v_cvt_f16_f32_e32 v9, v10
	v_mfma_f32_16x16x16_f16 v[10:13], v[12:13], v[24:25], v[18:21]
	v_pack_b32_f16 v8, v5, v7
	v_cvt_f32_f16_e32 v86, v93
	v_pack_b32_f16 v5, v9, v22
	v_cvt_f32_f16_e32 v18, v91
	v_cvt_f32_f16_sdwa v19, v91 dst_sel:DWORD dst_unused:UNUSED_PAD src0_sel:WORD_1
	v_cvt_f32_f16_e32 v20, v92
	v_cvt_f32_f16_sdwa v21, v92 dst_sel:DWORD dst_unused:UNUSED_PAD src0_sel:WORD_1
	v_cvt_f16_f32_e32 v7, v10
	v_cvt_f16_f32_e32 v9, v11
	v_mfma_f32_16x16x16_f16 v[18:21], v[78:79], v[16:17], v[18:21]
	v_cvt_f32_f16_sdwa v87, v93 dst_sel:DWORD dst_unused:UNUSED_PAD src0_sel:WORD_1
	v_cvt_f32_f16_sdwa v89, v94 dst_sel:DWORD dst_unused:UNUSED_PAD src0_sel:WORD_1
	v_readlane_b32 s37, v255, 12
	v_readlane_b32 s38, v254, 52
	s_nop 2
	v_cvt_f16_f32_e32 v10, v18
	v_cvt_f16_f32_e32 v11, v19
	;; [unrolled: 1-line block ×4, first 2 shown]
	v_cvt_f32_f16_e32 v18, v10
	v_cvt_f32_f16_e32 v19, v11
	ds_read_u16 v10, v168 offset:7680
	ds_read_u16 v11, v169 offset:240
	;; [unrolled: 1-line block ×8, first 2 shown]
	s_waitcnt lgkmcnt(4)
	v_perm_b32 v79, v78, v22, s69
	v_perm_b32 v78, v11, v10, s69
	v_cvt_f16_f32_e32 v11, v12
	v_cvt_f16_f32_e32 v22, v13
	s_waitcnt lgkmcnt(2)
	v_perm_b32 v13, v105, v85, s69
	v_perm_b32 v12, v83, v99, s69
	v_cvt_f32_f16_e32 v20, v20
	v_cvt_f32_f16_e32 v21, v21
	v_mfma_f32_16x16x16_f16 v[86:89], v[12:13], v[16:17], v[86:89]
	v_pack_b32_f16 v10, v7, v9
	v_pack_b32_f16 v7, v11, v22
	s_cmp_eq_u64 s[36:37], 0
	v_mfma_f32_16x16x16_f16 v[18:21], v[78:79], v[24:25], v[18:21]
	s_nop 2
	v_cvt_f16_f32_e32 v12, v86
	v_cvt_f16_f32_e32 v13, v87
	;; [unrolled: 1-line block ×3, first 2 shown]
	v_readlane_b32 s39, v254, 53
	v_cvt_f32_f16_e32 v86, v12
	v_cvt_f16_f32_e32 v9, v18
	v_cvt_f16_f32_e32 v18, v88
	v_cvt_f16_f32_e32 v11, v19
	v_cvt_f32_f16_e32 v87, v13
	ds_read_u16 v12, v173 offset:480
	ds_read_u16 v13, v174 offset:7680
	;; [unrolled: 1-line block ×8, first 2 shown]
	v_cvt_f32_f16_e32 v88, v18
	s_waitcnt lgkmcnt(6)
	v_perm_b32 v19, v13, v12, s69
	v_perm_b32 v18, v91, v90, s69
	v_cvt_f32_f16_e32 v89, v22
	s_waitcnt lgkmcnt(4)
	v_perm_b32 v79, v100, v79, s69
	v_perm_b32 v78, v78, v107, s69
	v_cvt_f16_f32_e32 v13, v20
	v_cvt_f16_f32_e32 v22, v21
	v_mfma_f32_16x16x16_f16 v[18:21], v[18:19], v[24:25], v[86:89]
	v_pack_b32_f16 v12, v9, v11
	s_cselect_b64 s[36:37], -1, 0
	v_pack_b32_f16 v9, v13, v22
	v_cvt_f32_f16_e32 v86, v95
	v_cvt_f32_f16_sdwa v87, v95 dst_sel:DWORD dst_unused:UNUSED_PAD src0_sel:WORD_1
	v_cvt_f32_f16_e32 v88, v96
	v_cvt_f32_f16_sdwa v89, v96 dst_sel:DWORD dst_unused:UNUSED_PAD src0_sel:WORD_1
	v_cvt_f16_f32_e32 v11, v18
	v_cvt_f16_f32_e32 v13, v19
	v_mfma_f32_16x16x16_f16 v[16:19], v[78:79], v[16:17], v[86:89]
	s_xor_b64 s[38:39], s[38:39], -1
	s_or_b64 s[36:37], s[38:39], s[36:37]
	s_waitcnt lgkmcnt(0)
	s_barrier
	s_nop 2
	v_cvt_f16_f32_e32 v18, v18
	v_cvt_f16_f32_e32 v16, v16
	;; [unrolled: 1-line block ×4, first 2 shown]
	v_cvt_f32_f16_e32 v88, v18
	v_perm_b32 v19, v93, v92, s69
	v_perm_b32 v18, v85, v83, s69
	v_cvt_f32_f16_e32 v86, v16
	v_cvt_f32_f16_e32 v87, v17
	;; [unrolled: 1-line block ×3, first 2 shown]
	v_cvt_f16_f32_e32 v17, v20
	v_cvt_f16_f32_e32 v22, v21
	v_mfma_f32_16x16x16_f16 v[18:21], v[18:19], v[24:25], v[86:89]
	v_pack_b32_f16 v16, v11, v13
	v_pack_b32_f16 v11, v17, v22
	s_nop 4
	v_cvt_f16_f32_e32 v17, v20
	ds_bpermute_b32 v20, v23, v15
	v_cvt_f16_f32_e32 v13, v18
	v_cvt_f16_f32_e32 v18, v19
	;; [unrolled: 1-line block ×3, first 2 shown]
	s_waitcnt lgkmcnt(0)
	v_add_f32_e32 v15, v15, v20
	v_pack_b32_f16 v18, v13, v18
	v_pack_b32_f16 v13, v17, v19
	s_and_saveexec_b64 s[38:39], s[36:37]
	s_xor_b64 s[36:37], exec, s[38:39]
	s_or_saveexec_b64 s[36:37], s[36:37]
	s_mov_b32 s64, s70
	s_mov_b32 s65, s68
	;; [unrolled: 1-line block ×3, first 2 shown]
	s_movk_i32 s70, 0x47
	s_mov_b64 s[58:59], s[56:57]
	s_xor_b64 exec, exec, s[36:37]
	s_cbranch_execz .LBB19_84
; %bb.83:                               ;   in Loop: Header=BB19_14 Depth=1
	v_readlane_b32 s38, v255, 11
	v_readlane_b32 s39, v255, 12
	v_max_f32_e32 v20, v14, v14
	s_nop 3
	global_load_dword v17, v2, s[38:39]
	s_waitcnt vmcnt(0)
	v_max_f32_e32 v19, v17, v17
	v_max_f32_e32 v20, v20, v19
	v_sub_f32_e32 v14, v14, v20
	v_mul_f32_e32 v19, 0x3fb8aa3b, v14
	v_fma_f32 v21, v14, s67, -v19
	v_rndne_f32_e32 v22, v19
	v_fmac_f32_e32 v21, 0x32a5705f, v14
	v_sub_f32_e32 v19, v19, v22
	v_add_f32_e32 v19, v19, v21
	v_exp_f32_e32 v19, v19
	v_cvt_i32_f32_e32 v21, v22
	v_cmp_ngt_f32_e32 vcc, s77, v14
	v_sub_f32_e32 v17, v17, v20
	v_ldexp_f32 v19, v19, v21
	v_cndmask_b32_e32 v19, 0, v19, vcc
	v_cmp_nlt_f32_e32 vcc, s71, v14
	s_nop 1
	v_cndmask_b32_e32 v19, v241, v19, vcc
	v_cmp_le_f32_e32 vcc, s66, v14
	s_nop 1
	v_cndmask_b32_e32 v14, 0, v19, vcc
	v_cvt_f16_f32_e32 v19, v14
	v_cmp_ngt_f32_e32 vcc, s77, v17
	v_pk_mul_f16 v4, v19, v4 op_sel_hi:[0,1]
	v_pk_mul_f16 v1, v19, v1 op_sel_hi:[0,1]
	v_pk_mul_f16 v6, v19, v6 op_sel_hi:[0,1]
	v_pk_mul_f16 v3, v19, v3 op_sel_hi:[0,1]
	v_pk_mul_f16 v8, v19, v8 op_sel_hi:[0,1]
	v_pk_mul_f16 v5, v19, v5 op_sel_hi:[0,1]
	v_pk_mul_f16 v10, v19, v10 op_sel_hi:[0,1]
	v_pk_mul_f16 v7, v19, v7 op_sel_hi:[0,1]
	v_pk_mul_f16 v12, v19, v12 op_sel_hi:[0,1]
	v_pk_mul_f16 v9, v19, v9 op_sel_hi:[0,1]
	v_pk_mul_f16 v16, v19, v16 op_sel_hi:[0,1]
	v_pk_mul_f16 v11, v19, v11 op_sel_hi:[0,1]
	v_pk_mul_f16 v18, v19, v18 op_sel_hi:[0,1]
	v_pk_mul_f16 v13, v19, v13 op_sel_hi:[0,1]
	v_mul_f32_e32 v19, 0x3fb8aa3b, v17
	v_fma_f32 v21, v17, s67, -v19
	v_rndne_f32_e32 v22, v19
	v_fmac_f32_e32 v21, 0x32a5705f, v17
	v_sub_f32_e32 v19, v19, v22
	v_add_f32_e32 v19, v19, v21
	v_exp_f32_e32 v19, v19
	v_cvt_i32_f32_e32 v21, v22
	v_ldexp_f32 v19, v19, v21
	v_cndmask_b32_e32 v19, 0, v19, vcc
	v_cmp_nlt_f32_e32 vcc, s71, v17
	s_nop 1
	v_cndmask_b32_e32 v21, v241, v19, vcc
	v_fmac_f32_e32 v21, v15, v14
	v_mov_b64_e32 v[14:15], v[20:21]
.LBB19_84:                              ;   in Loop: Header=BB19_14 Depth=1
	s_or_b64 exec, exec, s[36:37]
	s_mov_b64 s[36:37], exec
	v_readlane_b32 s38, v254, 56
	v_readlane_b32 s39, v254, 57
	s_and_b64 s[38:39], s[36:37], s[38:39]
	s_mov_b64 exec, s[38:39]
	s_cbranch_execz .LBB19_86
; %bb.85:                               ;   in Loop: Header=BB19_14 Depth=1
	v_add_u32_e32 v17, 0, v187
	ds_write2_b32 v17, v14, v15 offset0:56 offset1:57
.LBB19_86:                              ;   in Loop: Header=BB19_14 Depth=1
	s_or_b64 exec, exec, s[36:37]
	s_waitcnt lgkmcnt(0)
	s_barrier
	s_mov_b64 s[36:37], exec
	v_readlane_b32 s38, v254, 54
	v_readlane_b32 s39, v254, 55
	s_and_b64 s[38:39], s[36:37], s[38:39]
	s_xor_b64 s[36:37], s[38:39], s[36:37]
	s_mov_b64 exec, s[38:39]
	s_cbranch_execz .LBB19_88
; %bb.87:                               ;   in Loop: Header=BB19_14 Depth=1
	s_barrier
	s_waitcnt lgkmcnt(0)
                                        ; implicit-def: $vgpr23
.LBB19_88:                              ;   in Loop: Header=BB19_14 Depth=1
	s_andn2_saveexec_b64 s[36:37], s[36:37]
	s_cbranch_execz .LBB19_94
; %bb.89:                               ;   in Loop: Header=BB19_14 Depth=1
	v_add_u32_e32 v15, 0, v188
	ds_read_b64 v[24:25], v15 offset:224
	s_waitcnt lgkmcnt(0)
	s_barrier
	ds_bpermute_b32 v14, v23, v24
	v_max_f32_e32 v17, v24, v24
	s_waitcnt lgkmcnt(0)
	v_max_f32_e32 v14, v14, v14
	v_max_f32_e32 v14, v17, v14
	v_sub_f32_e32 v17, v24, v14
	v_mul_f32_e32 v19, 0x3fb8aa3b, v17
	v_fma_f32 v20, v17, s67, -v19
	v_rndne_f32_e32 v21, v19
	v_fmac_f32_e32 v20, 0x32a5705f, v17
	v_sub_f32_e32 v19, v19, v21
	v_add_f32_e32 v19, v19, v20
	v_cvt_i32_f32_e32 v21, v21
	v_exp_f32_e32 v19, v19
	v_cmp_ngt_f32_e32 vcc, s77, v17
	v_ldexp_f32 v19, v19, v21
	s_nop 0
	v_cndmask_b32_e32 v19, 0, v19, vcc
	v_cmp_nlt_f32_e32 vcc, s71, v17
	s_nop 1
	v_cndmask_b32_e32 v20, v241, v19, vcc
	v_mul_f32_e32 v17, v25, v20
	ds_bpermute_b32 v21, v23, v17
	s_waitcnt lgkmcnt(0)
	v_fmac_f32_e32 v21, v25, v20
	s_mov_b64 s[38:39], exec
	v_readlane_b32 s40, v254, 58
	v_readlane_b32 s41, v254, 59
	s_and_b64 s[40:41], s[38:39], s[40:41]
	s_mov_b64 exec, s[40:41]
	s_cbranch_execz .LBB19_91
; %bb.90:                               ;   in Loop: Header=BB19_14 Depth=1
	ds_write_b64 v15, v[20:21] offset:224
.LBB19_91:                              ;   in Loop: Header=BB19_14 Depth=1
	s_or_b64 exec, exec, s[38:39]
	s_mov_b64 s[38:39], exec
	v_readlane_b32 s40, v254, 56
	v_readlane_b32 s41, v254, 57
	s_and_b64 s[40:41], s[38:39], s[40:41]
	s_mov_b64 exec, s[40:41]
	s_cbranch_execz .LBB19_93
; %bb.92:                               ;   in Loop: Header=BB19_14 Depth=1
	v_mov_b32_e32 v15, v21
	global_store_dwordx2 v[60:61], v[14:15], off
.LBB19_93:                              ;   in Loop: Header=BB19_14 Depth=1
	s_or_b64 exec, exec, s[38:39]
.LBB19_94:                              ;   in Loop: Header=BB19_14 Depth=1
	s_or_b64 exec, exec, s[36:37]
	ds_write2_b32 v189, v4, v1 offset1:1
	ds_write2_b32 v189, v6, v3 offset0:8 offset1:9
	ds_write2_b32 v189, v8, v5 offset0:16 offset1:17
	;; [unrolled: 1-line block ×6, first 2 shown]
	s_waitcnt lgkmcnt(0)
	s_barrier
	s_mov_b64 s[36:37], exec
	v_readlane_b32 s38, v254, 52
	v_readlane_b32 s39, v254, 53
	s_and_b64 s[38:39], s[36:37], s[38:39]
	s_mov_b64 exec, s[38:39]
	s_cbranch_execz .LBB19_156
; %bb.95:                               ;   in Loop: Header=BB19_14 Depth=1
	v_add_u32_e32 v1, s86, v190
	v_cmp_gt_i32_e32 vcc, s76, v1
	v_mov_b32_e32 v3, 0x47
	s_and_saveexec_b64 s[38:39], vcc
	s_cbranch_execz .LBB19_97
; %bb.96:                               ;   in Loop: Header=BB19_14 Depth=1
	v_add_u32_e32 v3, 0, v199
	v_add_u32_e32 v3, 0xe0, v3
	ds_read2st64_b32 v[4:5], v3 offset1:15
	ds_read2st64_b32 v[6:7], v200 offset1:15
	v_mad_u64_u32 v[8:9], s[40:41], v1, s65, v[30:31]
	v_ashrrev_i32_e32 v9, 31, v8
	v_lshl_add_u64 v[8:9], v[8:9], 3, s[58:59]
	s_waitcnt lgkmcnt(0)
	v_cvt_f32_f16_sdwa v11, v6 dst_sel:DWORD dst_unused:UNUSED_PAD src0_sel:WORD_1
	v_cvt_f32_f16_e32 v10, v6
	v_cvt_f32_f16_sdwa v13, v7 dst_sel:DWORD dst_unused:UNUSED_PAD src0_sel:WORD_1
	v_cvt_f32_f16_e32 v12, v7
	v_mov_b32_e32 v3, 0
	v_pk_fma_f32 v[10:11], v[4:5], v[10:11], 0 op_sel_hi:[0,1,0]
	v_mov_b32_e32 v4, v5
	v_pk_fma_f32 v[4:5], v[4:5], v[12:13], v[10:11] op_sel_hi:[0,1,1]
	global_store_dwordx2 v[8:9], v[4:5], off
.LBB19_97:                              ;   in Loop: Header=BB19_14 Depth=1
	s_or_b64 exec, exec, s[38:39]
	v_cmp_gt_i32_e32 vcc, s70, v3
	s_mov_b64 s[40:41], -1
	s_and_saveexec_b64 s[38:39], vcc
; %bb.98:                               ;   in Loop: Header=BB19_14 Depth=1
	v_cmp_eq_u32_e32 vcc, 0, v3
	s_orn2_b64 s[40:41], vcc, exec
; %bb.99:                               ;   in Loop: Header=BB19_14 Depth=1
	s_or_b64 exec, exec, s[38:39]
	s_and_saveexec_b64 s[38:39], s[40:41]
	s_cbranch_execz .LBB19_132
; %bb.100:                              ;   in Loop: Header=BB19_14 Depth=1
	v_add_u32_e32 v1, s86, v201
	v_cmp_gt_i32_e32 vcc, s76, v1
	v_mov_b32_e32 v3, 0x47
	s_and_saveexec_b64 s[40:41], vcc
	s_cbranch_execz .LBB19_102
; %bb.101:                              ;   in Loop: Header=BB19_14 Depth=1
	v_add_u32_e32 v3, 0, v202
	v_add_u32_e32 v3, 0xe0, v3
	ds_read2st64_b32 v[4:5], v3 offset1:15
	ds_read2st64_b32 v[6:7], v203 offset1:15
	v_mad_u64_u32 v[8:9], s[42:43], v1, s65, v[30:31]
	v_ashrrev_i32_e32 v9, 31, v8
	v_lshl_add_u64 v[8:9], v[8:9], 3, s[58:59]
	s_waitcnt lgkmcnt(0)
	v_cvt_f32_f16_sdwa v11, v6 dst_sel:DWORD dst_unused:UNUSED_PAD src0_sel:WORD_1
	v_cvt_f32_f16_e32 v10, v6
	v_cvt_f32_f16_sdwa v13, v7 dst_sel:DWORD dst_unused:UNUSED_PAD src0_sel:WORD_1
	v_cvt_f32_f16_e32 v12, v7
	v_mov_b32_e32 v3, 0
	v_pk_fma_f32 v[10:11], v[4:5], v[10:11], 0 op_sel_hi:[0,1,0]
	v_mov_b32_e32 v4, v5
	v_pk_fma_f32 v[4:5], v[4:5], v[12:13], v[10:11] op_sel_hi:[0,1,1]
	global_store_dwordx2 v[8:9], v[4:5], off
.LBB19_102:                             ;   in Loop: Header=BB19_14 Depth=1
	s_or_b64 exec, exec, s[40:41]
	v_cmp_gt_i32_e32 vcc, s70, v3
	s_mov_b64 s[40:41], -1
	s_and_saveexec_b64 s[42:43], vcc
; %bb.103:                              ;   in Loop: Header=BB19_14 Depth=1
	v_cmp_eq_u32_e32 vcc, 0, v3
	s_orn2_b64 s[40:41], vcc, exec
; %bb.104:                              ;   in Loop: Header=BB19_14 Depth=1
	s_or_b64 exec, exec, s[42:43]
	s_and_b64 exec, exec, s[40:41]
	s_cbranch_execz .LBB19_132
; %bb.105:                              ;   in Loop: Header=BB19_14 Depth=1
	v_add_u32_e32 v1, s86, v204
	v_cmp_gt_i32_e32 vcc, s76, v1
	v_mov_b32_e32 v3, 0x47
	s_and_saveexec_b64 s[40:41], vcc
	s_cbranch_execz .LBB19_107
; %bb.106:                              ;   in Loop: Header=BB19_14 Depth=1
	v_add_u32_e32 v3, 0, v205
	v_add_u32_e32 v3, 0xe0, v3
	ds_read2st64_b32 v[4:5], v3 offset1:15
	ds_read2st64_b32 v[6:7], v206 offset1:15
	v_mad_u64_u32 v[8:9], s[42:43], v1, s65, v[30:31]
	v_ashrrev_i32_e32 v9, 31, v8
	v_lshl_add_u64 v[8:9], v[8:9], 3, s[58:59]
	s_waitcnt lgkmcnt(0)
	v_cvt_f32_f16_sdwa v11, v6 dst_sel:DWORD dst_unused:UNUSED_PAD src0_sel:WORD_1
	v_cvt_f32_f16_e32 v10, v6
	v_cvt_f32_f16_sdwa v13, v7 dst_sel:DWORD dst_unused:UNUSED_PAD src0_sel:WORD_1
	v_cvt_f32_f16_e32 v12, v7
	v_mov_b32_e32 v3, 0
	v_pk_fma_f32 v[10:11], v[4:5], v[10:11], 0 op_sel_hi:[0,1,0]
	v_mov_b32_e32 v4, v5
	v_pk_fma_f32 v[4:5], v[4:5], v[12:13], v[10:11] op_sel_hi:[0,1,1]
	global_store_dwordx2 v[8:9], v[4:5], off
.LBB19_107:                             ;   in Loop: Header=BB19_14 Depth=1
	s_or_b64 exec, exec, s[40:41]
	v_cmp_gt_i32_e32 vcc, s70, v3
	s_mov_b64 s[40:41], -1
	s_and_saveexec_b64 s[42:43], vcc
; %bb.108:                              ;   in Loop: Header=BB19_14 Depth=1
	v_cmp_eq_u32_e32 vcc, 0, v3
	s_orn2_b64 s[40:41], vcc, exec
; %bb.109:                              ;   in Loop: Header=BB19_14 Depth=1
	s_or_b64 exec, exec, s[42:43]
	s_and_b64 exec, exec, s[40:41]
	s_cbranch_execz .LBB19_132
; %bb.110:                              ;   in Loop: Header=BB19_14 Depth=1
	v_add_u32_e32 v1, s86, v207
	v_cmp_gt_i32_e32 vcc, s76, v1
	v_mov_b32_e32 v3, 0x47
	s_and_saveexec_b64 s[40:41], vcc
	s_cbranch_execz .LBB19_112
; %bb.111:                              ;   in Loop: Header=BB19_14 Depth=1
	scratch_load_dword v3, off, off offset:16 ; 4-byte Folded Reload
	v_mad_u64_u32 v[8:9], s[42:43], v1, s65, v[30:31]
	v_ashrrev_i32_e32 v9, 31, v8
	v_lshl_add_u64 v[8:9], v[8:9], 3, s[58:59]
	s_waitcnt vmcnt(0)
	v_add_u32_e32 v3, 0, v3
	v_add_u32_e32 v3, 0xe0, v3
	ds_read2st64_b32 v[4:5], v3 offset1:15
	scratch_load_dword v3, off, off offset:20 ; 4-byte Folded Reload
	s_waitcnt vmcnt(0)
	ds_read2st64_b32 v[6:7], v3 offset1:15
	v_mov_b32_e32 v3, 0
	s_waitcnt lgkmcnt(0)
	v_cvt_f32_f16_sdwa v11, v6 dst_sel:DWORD dst_unused:UNUSED_PAD src0_sel:WORD_1
	v_cvt_f32_f16_e32 v10, v6
	v_cvt_f32_f16_sdwa v13, v7 dst_sel:DWORD dst_unused:UNUSED_PAD src0_sel:WORD_1
	v_cvt_f32_f16_e32 v12, v7
	v_pk_fma_f32 v[10:11], v[4:5], v[10:11], 0 op_sel_hi:[0,1,0]
	v_mov_b32_e32 v4, v5
	v_pk_fma_f32 v[4:5], v[4:5], v[12:13], v[10:11] op_sel_hi:[0,1,1]
	global_store_dwordx2 v[8:9], v[4:5], off
.LBB19_112:                             ;   in Loop: Header=BB19_14 Depth=1
	s_or_b64 exec, exec, s[40:41]
	v_cmp_gt_i32_e32 vcc, s70, v3
	s_mov_b64 s[40:41], -1
	s_and_saveexec_b64 s[42:43], vcc
; %bb.113:                              ;   in Loop: Header=BB19_14 Depth=1
	v_cmp_eq_u32_e32 vcc, 0, v3
	s_orn2_b64 s[40:41], vcc, exec
; %bb.114:                              ;   in Loop: Header=BB19_14 Depth=1
	s_or_b64 exec, exec, s[42:43]
	s_and_b64 exec, exec, s[40:41]
	s_cbranch_execz .LBB19_132
; %bb.115:                              ;   in Loop: Header=BB19_14 Depth=1
	v_add_u32_e32 v1, 16, v190
	v_add_u32_e32 v1, s86, v1
	v_cmp_gt_i32_e32 vcc, s76, v1
	v_mov_b32_e32 v3, 0x47
	s_and_saveexec_b64 s[40:41], vcc
	s_cbranch_execz .LBB19_117
; %bb.116:                              ;   in Loop: Header=BB19_14 Depth=1
	scratch_load_dword v3, off, off offset:32 ; 4-byte Folded Reload
	v_mad_u64_u32 v[8:9], s[42:43], v1, s65, v[30:31]
	v_ashrrev_i32_e32 v9, 31, v8
	v_lshl_add_u64 v[8:9], v[8:9], 3, s[58:59]
	s_waitcnt vmcnt(0)
	v_add_u32_e32 v3, 0, v3
	v_add_u32_e32 v3, 0xe0, v3
	ds_read2st64_b32 v[4:5], v3 offset1:15
	scratch_load_dword v3, off, off offset:36 ; 4-byte Folded Reload
	s_waitcnt vmcnt(0)
	ds_read2st64_b32 v[6:7], v3 offset1:15
	v_mov_b32_e32 v3, 0
	s_waitcnt lgkmcnt(0)
	v_cvt_f32_f16_sdwa v11, v6 dst_sel:DWORD dst_unused:UNUSED_PAD src0_sel:WORD_1
	v_cvt_f32_f16_e32 v10, v6
	v_cvt_f32_f16_sdwa v13, v7 dst_sel:DWORD dst_unused:UNUSED_PAD src0_sel:WORD_1
	v_cvt_f32_f16_e32 v12, v7
	v_pk_fma_f32 v[10:11], v[4:5], v[10:11], 0 op_sel_hi:[0,1,0]
	v_mov_b32_e32 v4, v5
	v_pk_fma_f32 v[4:5], v[4:5], v[12:13], v[10:11] op_sel_hi:[0,1,1]
	global_store_dwordx2 v[8:9], v[4:5], off
.LBB19_117:                             ;   in Loop: Header=BB19_14 Depth=1
	s_or_b64 exec, exec, s[40:41]
	v_cmp_gt_i32_e32 vcc, s70, v3
	s_mov_b64 s[40:41], -1
	s_and_saveexec_b64 s[42:43], vcc
; %bb.118:                              ;   in Loop: Header=BB19_14 Depth=1
	v_cmp_eq_u32_e32 vcc, 0, v3
	s_orn2_b64 s[40:41], vcc, exec
; %bb.119:                              ;   in Loop: Header=BB19_14 Depth=1
	s_or_b64 exec, exec, s[42:43]
	s_and_b64 exec, exec, s[40:41]
	s_cbranch_execz .LBB19_132
; %bb.120:                              ;   in Loop: Header=BB19_14 Depth=1
	v_add_u32_e32 v1, s86, v213
	v_cmp_gt_i32_e32 vcc, s76, v1
	v_mov_b32_e32 v3, 0x47
	s_and_saveexec_b64 s[40:41], vcc
	s_cbranch_execz .LBB19_122
; %bb.121:                              ;   in Loop: Header=BB19_14 Depth=1
	scratch_load_dword v3, off, off offset:40 ; 4-byte Folded Reload
	v_mad_u64_u32 v[8:9], s[42:43], v1, s65, v[30:31]
	v_ashrrev_i32_e32 v9, 31, v8
	v_lshl_add_u64 v[8:9], v[8:9], 3, s[58:59]
	s_waitcnt vmcnt(0)
	v_add_u32_e32 v3, 0, v3
	v_add_u32_e32 v3, 0xe0, v3
	ds_read2st64_b32 v[4:5], v3 offset1:15
	scratch_load_dword v3, off, off offset:44 ; 4-byte Folded Reload
	s_waitcnt vmcnt(0)
	ds_read2st64_b32 v[6:7], v3 offset1:15
	v_mov_b32_e32 v3, 0
	s_waitcnt lgkmcnt(0)
	v_cvt_f32_f16_sdwa v11, v6 dst_sel:DWORD dst_unused:UNUSED_PAD src0_sel:WORD_1
	v_cvt_f32_f16_e32 v10, v6
	v_cvt_f32_f16_sdwa v13, v7 dst_sel:DWORD dst_unused:UNUSED_PAD src0_sel:WORD_1
	v_cvt_f32_f16_e32 v12, v7
	v_pk_fma_f32 v[10:11], v[4:5], v[10:11], 0 op_sel_hi:[0,1,0]
	v_mov_b32_e32 v4, v5
	v_pk_fma_f32 v[4:5], v[4:5], v[12:13], v[10:11] op_sel_hi:[0,1,1]
	global_store_dwordx2 v[8:9], v[4:5], off
.LBB19_122:                             ;   in Loop: Header=BB19_14 Depth=1
	s_or_b64 exec, exec, s[40:41]
	v_cmp_gt_i32_e32 vcc, s70, v3
	s_mov_b64 s[40:41], -1
	s_and_saveexec_b64 s[42:43], vcc
; %bb.123:                              ;   in Loop: Header=BB19_14 Depth=1
	v_cmp_eq_u32_e32 vcc, 0, v3
	s_orn2_b64 s[40:41], vcc, exec
; %bb.124:                              ;   in Loop: Header=BB19_14 Depth=1
	s_or_b64 exec, exec, s[42:43]
	s_and_b64 exec, exec, s[40:41]
	s_cbranch_execz .LBB19_132
; %bb.125:                              ;   in Loop: Header=BB19_14 Depth=1
	;; [unrolled: 40-line block ×3, first 2 shown]
	v_add_u32_e32 v1, 28, v190
	v_add_u32_e32 v1, s86, v1
	v_cmp_gt_i32_e32 vcc, s76, v1
	s_and_b64 exec, exec, vcc
	s_cbranch_execz .LBB19_132
; %bb.131:                              ;   in Loop: Header=BB19_14 Depth=1
	scratch_load_dword v3, off, off offset:56 ; 4-byte Folded Reload
	v_mad_u64_u32 v[8:9], s[40:41], v1, s65, v[30:31]
	v_ashrrev_i32_e32 v9, 31, v8
	v_lshl_add_u64 v[8:9], v[8:9], 3, s[58:59]
	s_waitcnt vmcnt(0)
	v_add_u32_e32 v3, 0, v3
	v_add_u32_e32 v3, 0xe0, v3
	ds_read2st64_b32 v[4:5], v3 offset1:15
	scratch_load_dword v3, off, off offset:60 ; 4-byte Folded Reload
	s_waitcnt vmcnt(0)
	ds_read2st64_b32 v[6:7], v3 offset1:15
	s_waitcnt lgkmcnt(0)
	v_cvt_f32_f16_sdwa v11, v6 dst_sel:DWORD dst_unused:UNUSED_PAD src0_sel:WORD_1
	v_cvt_f32_f16_e32 v10, v6
	v_cvt_f32_f16_sdwa v13, v7 dst_sel:DWORD dst_unused:UNUSED_PAD src0_sel:WORD_1
	v_cvt_f32_f16_e32 v12, v7
	v_pk_fma_f32 v[10:11], v[4:5], v[10:11], 0 op_sel_hi:[0,1,0]
	v_mov_b32_e32 v4, v5
	v_pk_fma_f32 v[4:5], v[4:5], v[12:13], v[10:11] op_sel_hi:[0,1,1]
	global_store_dwordx2 v[8:9], v[4:5], off
.LBB19_132:                             ;   in Loop: Header=BB19_14 Depth=1
	s_or_b64 exec, exec, s[38:39]
	v_add_u32_e32 v3, s86, v191
	v_cmp_gt_i32_e32 vcc, s76, v3
	v_mov_b32_e32 v1, 0x47
	s_and_saveexec_b64 s[38:39], vcc
	s_cbranch_execz .LBB19_134
; %bb.133:                              ;   in Loop: Header=BB19_14 Depth=1
	v_add_u32_e32 v1, 0, v222
	v_add_u32_e32 v1, 0xe0, v1
	ds_read2st64_b32 v[6:7], v1 offset1:15
	v_add_u32_e32 v1, 0x80, v223
	ds_read2st64_b32 v[8:9], v1 offset1:15
	v_mul_lo_u32 v4, v3, s65
	v_ashrrev_i32_e32 v5, 31, v4
	v_lshl_add_u64 v[4:5], v[4:5], 0, v[32:33]
	v_lshl_add_u64 v[4:5], v[4:5], 3, s[58:59]
	s_waitcnt lgkmcnt(0)
	v_cvt_f32_f16_sdwa v11, v8 dst_sel:DWORD dst_unused:UNUSED_PAD src0_sel:WORD_1
	v_cvt_f32_f16_e32 v10, v8
	v_cvt_f32_f16_sdwa v13, v9 dst_sel:DWORD dst_unused:UNUSED_PAD src0_sel:WORD_1
	v_cvt_f32_f16_e32 v12, v9
	v_mov_b32_e32 v1, 0
	v_pk_fma_f32 v[10:11], v[6:7], v[10:11], 0 op_sel_hi:[0,1,0]
	v_mov_b32_e32 v6, v7
	v_pk_fma_f32 v[6:7], v[6:7], v[12:13], v[10:11] op_sel_hi:[0,1,1]
	global_store_dwordx2 v[4:5], v[6:7], off offset:256
.LBB19_134:                             ;   in Loop: Header=BB19_14 Depth=1
	s_or_b64 exec, exec, s[38:39]
	v_cmp_gt_i32_e32 vcc, s70, v1
	s_mov_b64 s[40:41], -1
	s_and_saveexec_b64 s[38:39], vcc
; %bb.135:                              ;   in Loop: Header=BB19_14 Depth=1
	v_cmp_eq_u32_e32 vcc, 0, v1
	s_orn2_b64 s[40:41], vcc, exec
; %bb.136:                              ;   in Loop: Header=BB19_14 Depth=1
	s_or_b64 exec, exec, s[38:39]
	s_and_saveexec_b64 s[38:39], s[40:41]
	s_cbranch_execz .LBB19_149
; %bb.137:                              ;   in Loop: Header=BB19_14 Depth=1
	v_add_u32_e32 v3, s86, v224
	v_cmp_gt_i32_e32 vcc, s76, v3
	v_mov_b32_e32 v1, 0x47
	s_and_saveexec_b64 s[40:41], vcc
	s_cbranch_execz .LBB19_139
; %bb.138:                              ;   in Loop: Header=BB19_14 Depth=1
	v_add_u32_e32 v1, 0, v225
	v_add_u32_e32 v1, 0xe0, v1
	ds_read2st64_b32 v[6:7], v1 offset1:15
	v_add_u32_e32 v1, 0x80, v226
	ds_read2st64_b32 v[8:9], v1 offset1:15
	v_mul_lo_u32 v4, v3, s65
	v_ashrrev_i32_e32 v5, 31, v4
	v_lshl_add_u64 v[4:5], v[4:5], 0, v[32:33]
	v_lshl_add_u64 v[4:5], v[4:5], 3, s[58:59]
	s_waitcnt lgkmcnt(0)
	v_cvt_f32_f16_sdwa v11, v8 dst_sel:DWORD dst_unused:UNUSED_PAD src0_sel:WORD_1
	v_cvt_f32_f16_e32 v10, v8
	v_cvt_f32_f16_sdwa v13, v9 dst_sel:DWORD dst_unused:UNUSED_PAD src0_sel:WORD_1
	v_cvt_f32_f16_e32 v12, v9
	v_mov_b32_e32 v1, 0
	v_pk_fma_f32 v[10:11], v[6:7], v[10:11], 0 op_sel_hi:[0,1,0]
	v_mov_b32_e32 v6, v7
	v_pk_fma_f32 v[6:7], v[6:7], v[12:13], v[10:11] op_sel_hi:[0,1,1]
	global_store_dwordx2 v[4:5], v[6:7], off offset:256
.LBB19_139:                             ;   in Loop: Header=BB19_14 Depth=1
	s_or_b64 exec, exec, s[40:41]
	v_cmp_gt_i32_e32 vcc, s70, v1
	s_mov_b64 s[40:41], -1
	s_and_saveexec_b64 s[42:43], vcc
; %bb.140:                              ;   in Loop: Header=BB19_14 Depth=1
	v_cmp_eq_u32_e32 vcc, 0, v1
	s_orn2_b64 s[40:41], vcc, exec
; %bb.141:                              ;   in Loop: Header=BB19_14 Depth=1
	s_or_b64 exec, exec, s[42:43]
	s_and_b64 exec, exec, s[40:41]
	s_cbranch_execz .LBB19_149
; %bb.142:                              ;   in Loop: Header=BB19_14 Depth=1
	v_add_u32_e32 v3, s86, v227
	v_cmp_gt_i32_e32 vcc, s76, v3
	v_mov_b32_e32 v1, 0x47
	s_and_saveexec_b64 s[40:41], vcc
	s_cbranch_execz .LBB19_144
; %bb.143:                              ;   in Loop: Header=BB19_14 Depth=1
	v_add_u32_e32 v1, 0, v232
	v_add_u32_e32 v1, 0xe0, v1
	ds_read2st64_b32 v[6:7], v1 offset1:15
	v_add_u32_e32 v1, 0x80, v210
	ds_read2st64_b32 v[8:9], v1 offset1:15
	v_mul_lo_u32 v4, v3, s65
	v_ashrrev_i32_e32 v5, 31, v4
	v_lshl_add_u64 v[4:5], v[4:5], 0, v[32:33]
	v_lshl_add_u64 v[4:5], v[4:5], 3, s[58:59]
	s_waitcnt lgkmcnt(0)
	v_cvt_f32_f16_sdwa v11, v8 dst_sel:DWORD dst_unused:UNUSED_PAD src0_sel:WORD_1
	v_cvt_f32_f16_e32 v10, v8
	v_cvt_f32_f16_sdwa v13, v9 dst_sel:DWORD dst_unused:UNUSED_PAD src0_sel:WORD_1
	v_cvt_f32_f16_e32 v12, v9
	v_mov_b32_e32 v1, 0
	v_pk_fma_f32 v[10:11], v[6:7], v[10:11], 0 op_sel_hi:[0,1,0]
	v_mov_b32_e32 v6, v7
	v_pk_fma_f32 v[6:7], v[6:7], v[12:13], v[10:11] op_sel_hi:[0,1,1]
	global_store_dwordx2 v[4:5], v[6:7], off offset:256
.LBB19_144:                             ;   in Loop: Header=BB19_14 Depth=1
	s_or_b64 exec, exec, s[40:41]
	v_cmp_gt_i32_e32 vcc, s70, v1
	s_mov_b64 s[40:41], -1
	s_and_saveexec_b64 s[42:43], vcc
; %bb.145:                              ;   in Loop: Header=BB19_14 Depth=1
	v_cmp_eq_u32_e32 vcc, 0, v1
	s_orn2_b64 s[40:41], vcc, exec
; %bb.146:                              ;   in Loop: Header=BB19_14 Depth=1
	s_or_b64 exec, exec, s[42:43]
	s_and_b64 exec, exec, s[40:41]
	s_cbranch_execz .LBB19_149
; %bb.147:                              ;   in Loop: Header=BB19_14 Depth=1
	v_add_u32_e32 v1, s86, v219
	v_cmp_gt_i32_e32 vcc, s76, v1
	s_and_b64 exec, exec, vcc
	s_cbranch_execz .LBB19_149
; %bb.148:                              ;   in Loop: Header=BB19_14 Depth=1
	v_mul_lo_u32 v4, v1, s65
	scratch_load_dword v1, off, off offset:24 ; 4-byte Folded Reload
	v_ashrrev_i32_e32 v5, 31, v4
	v_lshl_add_u64 v[4:5], v[4:5], 0, v[32:33]
	v_lshl_add_u64 v[4:5], v[4:5], 3, s[58:59]
	s_waitcnt vmcnt(0)
	v_add_u32_e32 v1, 0, v1
	v_add_u32_e32 v1, 0xe0, v1
	ds_read2st64_b32 v[6:7], v1 offset1:15
	scratch_load_dword v1, off, off offset:28 ; 4-byte Folded Reload
	s_waitcnt vmcnt(0)
	v_add_u32_e32 v1, 0x80, v1
	ds_read2st64_b32 v[8:9], v1 offset1:15
	s_waitcnt lgkmcnt(0)
	v_cvt_f32_f16_sdwa v11, v8 dst_sel:DWORD dst_unused:UNUSED_PAD src0_sel:WORD_1
	v_cvt_f32_f16_e32 v10, v8
	v_cvt_f32_f16_sdwa v13, v9 dst_sel:DWORD dst_unused:UNUSED_PAD src0_sel:WORD_1
	v_cvt_f32_f16_e32 v12, v9
	v_pk_fma_f32 v[10:11], v[6:7], v[10:11], 0 op_sel_hi:[0,1,0]
	v_mov_b32_e32 v6, v7
	v_pk_fma_f32 v[6:7], v[6:7], v[12:13], v[10:11] op_sel_hi:[0,1,1]
	global_store_dwordx2 v[4:5], v[6:7], off offset:256
.LBB19_149:                             ;   in Loop: Header=BB19_14 Depth=1
	s_or_b64 exec, exec, s[38:39]
	v_add_u32_e32 v3, s86, v192
	v_cmp_gt_i32_e32 vcc, s76, v3
	v_mov_b32_e32 v1, 0x47
	s_and_saveexec_b64 s[38:39], vcc
	s_cbranch_execz .LBB19_151
; %bb.150:                              ;   in Loop: Header=BB19_14 Depth=1
	v_add_u32_e32 v1, 0, v233
	v_add_u32_e32 v1, 0xe0, v1
	ds_read2st64_b32 v[6:7], v1 offset1:15
	v_add_u32_e32 v1, 0xc0, v234
	ds_read2st64_b32 v[8:9], v1 offset1:15
	v_mul_lo_u32 v4, v3, s65
	v_ashrrev_i32_e32 v5, 31, v4
	v_lshl_add_u64 v[4:5], v[4:5], 0, v[34:35]
	v_lshl_add_u64 v[4:5], v[4:5], 3, s[58:59]
	s_waitcnt lgkmcnt(0)
	v_cvt_f32_f16_sdwa v11, v8 dst_sel:DWORD dst_unused:UNUSED_PAD src0_sel:WORD_1
	v_cvt_f32_f16_e32 v10, v8
	v_cvt_f32_f16_sdwa v13, v9 dst_sel:DWORD dst_unused:UNUSED_PAD src0_sel:WORD_1
	v_cvt_f32_f16_e32 v12, v9
	v_mov_b32_e32 v1, 0
	v_pk_fma_f32 v[10:11], v[6:7], v[10:11], 0 op_sel_hi:[0,1,0]
	v_mov_b32_e32 v6, v7
	v_pk_fma_f32 v[6:7], v[6:7], v[12:13], v[10:11] op_sel_hi:[0,1,1]
	global_store_dwordx2 v[4:5], v[6:7], off offset:384
.LBB19_151:                             ;   in Loop: Header=BB19_14 Depth=1
	s_or_b64 exec, exec, s[38:39]
	v_cmp_gt_i32_e32 vcc, s70, v1
	s_mov_b64 s[38:39], -1
	s_and_saveexec_b64 s[40:41], vcc
; %bb.152:                              ;   in Loop: Header=BB19_14 Depth=1
	v_cmp_eq_u32_e32 vcc, 0, v1
	s_orn2_b64 s[38:39], vcc, exec
; %bb.153:                              ;   in Loop: Header=BB19_14 Depth=1
	s_or_b64 exec, exec, s[40:41]
	s_and_b64 exec, exec, s[38:39]
	s_cbranch_execz .LBB19_156
; %bb.154:                              ;   in Loop: Header=BB19_14 Depth=1
	v_add_u32_e32 v1, s86, v235
	v_cmp_gt_i32_e32 vcc, s76, v1
	s_and_b64 exec, exec, vcc
	s_cbranch_execz .LBB19_156
; %bb.155:                              ;   in Loop: Header=BB19_14 Depth=1
	v_mul_lo_u32 v4, v1, s65
	v_add_u32_e32 v1, 0, v236
	v_add_u32_e32 v1, 0xe0, v1
	ds_read2st64_b32 v[6:7], v1 offset1:15
	v_add_u32_e32 v1, 0xc0, v237
	ds_read2st64_b32 v[8:9], v1 offset1:15
	v_ashrrev_i32_e32 v5, 31, v4
	v_lshl_add_u64 v[4:5], v[4:5], 0, v[34:35]
	v_lshl_add_u64 v[4:5], v[4:5], 3, s[58:59]
	s_waitcnt lgkmcnt(0)
	v_cvt_f32_f16_sdwa v11, v8 dst_sel:DWORD dst_unused:UNUSED_PAD src0_sel:WORD_1
	v_cvt_f32_f16_e32 v10, v8
	v_cvt_f32_f16_sdwa v13, v9 dst_sel:DWORD dst_unused:UNUSED_PAD src0_sel:WORD_1
	v_cvt_f32_f16_e32 v12, v9
	v_pk_fma_f32 v[10:11], v[6:7], v[10:11], 0 op_sel_hi:[0,1,0]
	v_mov_b32_e32 v6, v7
	v_pk_fma_f32 v[6:7], v[6:7], v[12:13], v[10:11] op_sel_hi:[0,1,1]
	global_store_dwordx2 v[4:5], v[6:7], off offset:384
.LBB19_156:                             ;   in Loop: Header=BB19_14 Depth=1
	s_or_b64 exec, exec, s[36:37]
	s_barrier
	s_branch .LBB19_13
.LBB19_157:                             ;   in Loop: Header=BB19_14 Depth=1
	s_lshl_b32 s62, s3, 5
	v_add_u32_e32 v1, s62, v29
	v_cmp_le_i32_e32 vcc, s76, v1
	s_and_saveexec_b64 s[36:37], vcc
	s_xor_b64 s[36:37], exec, s[36:37]
	s_cbranch_execz .LBB19_159
; %bb.158:                              ;   in Loop: Header=BB19_14 Depth=1
	ds_write_b32 v193, v2
                                        ; implicit-def: $vgpr1
.LBB19_159:                             ;   in Loop: Header=BB19_14 Depth=1
	s_andn2_saveexec_b64 s[36:37], s[36:37]
	s_cbranch_execz .LBB19_161
; %bb.160:                              ;   in Loop: Header=BB19_14 Depth=1
	v_mad_u64_u32 v[4:5], s[38:39], v1, s68, v[30:31]
	v_ashrrev_i32_e32 v5, 31, v4
	v_lshl_add_u64 v[4:5], v[4:5], 3, s[60:61]
	global_load_dwordx2 v[4:5], v[4:5], off
	s_waitcnt vmcnt(0)
	v_cvt_f16_f32_e32 v1, v4
	v_cvt_f16_f32_e32 v3, v5
	v_pack_b32_f16 v1, v1, v3
	v_pk_mul_f16 v1, v27, v1
	ds_write_b32 v193, v1
.LBB19_161:                             ;   in Loop: Header=BB19_14 Depth=1
	s_or_b64 exec, exec, s[36:37]
	v_add_u32_e32 v1, s62, v194
	v_cmp_le_i32_e32 vcc, s76, v1
	s_and_saveexec_b64 s[36:37], vcc
	s_xor_b64 s[36:37], exec, s[36:37]
	s_cbranch_execz .LBB19_163
; %bb.162:                              ;   in Loop: Header=BB19_14 Depth=1
	ds_write_b32 v193, v2 offset:1920
                                        ; implicit-def: $vgpr1
.LBB19_163:                             ;   in Loop: Header=BB19_14 Depth=1
	s_andn2_saveexec_b64 s[36:37], s[36:37]
	s_cbranch_execz .LBB19_165
; %bb.164:                              ;   in Loop: Header=BB19_14 Depth=1
	v_mad_u64_u32 v[4:5], s[38:39], v1, s68, v[30:31]
	v_ashrrev_i32_e32 v5, 31, v4
	v_lshl_add_u64 v[4:5], v[4:5], 3, s[60:61]
	global_load_dwordx2 v[4:5], v[4:5], off
	s_waitcnt vmcnt(0)
	v_cvt_f16_f32_e32 v1, v4
	v_cvt_f16_f32_e32 v3, v5
	v_pack_b32_f16 v1, v1, v3
	v_pk_mul_f16 v1, v27, v1
	ds_write_b32 v193, v1 offset:1920
.LBB19_165:                             ;   in Loop: Header=BB19_14 Depth=1
	s_or_b64 exec, exec, s[36:37]
	v_add_u32_e32 v1, s62, v195
	v_cmp_le_i32_e32 vcc, s76, v1
	s_and_saveexec_b64 s[36:37], vcc
	s_xor_b64 s[36:37], exec, s[36:37]
	s_cbranch_execz .LBB19_167
; %bb.166:                              ;   in Loop: Header=BB19_14 Depth=1
	ds_write_b32 v193, v2 offset:3840
                                        ; implicit-def: $vgpr1
.LBB19_167:                             ;   in Loop: Header=BB19_14 Depth=1
	s_andn2_saveexec_b64 s[36:37], s[36:37]
	s_cbranch_execz .LBB19_169
; %bb.168:                              ;   in Loop: Header=BB19_14 Depth=1
	v_mad_u64_u32 v[4:5], s[38:39], v1, s68, v[30:31]
	v_ashrrev_i32_e32 v5, 31, v4
	v_lshl_add_u64 v[4:5], v[4:5], 3, s[60:61]
	global_load_dwordx2 v[4:5], v[4:5], off
	s_waitcnt vmcnt(0)
	v_cvt_f16_f32_e32 v1, v4
	v_cvt_f16_f32_e32 v3, v5
	v_pack_b32_f16 v1, v1, v3
	v_pk_mul_f16 v1, v27, v1
	ds_write_b32 v193, v1 offset:3840
.LBB19_169:                             ;   in Loop: Header=BB19_14 Depth=1
	;; [unrolled: 24-line block ×3, first 2 shown]
	s_or_b64 exec, exec, s[36:37]
	v_add_u32_e32 v1, s62, v31
	v_cmp_le_i32_e32 vcc, s76, v1
	s_and_saveexec_b64 s[36:37], vcc
	s_xor_b64 s[36:37], exec, s[36:37]
	s_cbranch_execz .LBB19_175
; %bb.174:                              ;   in Loop: Header=BB19_14 Depth=1
	ds_write_b32 v197, v2 offset:128
                                        ; implicit-def: $vgpr1
.LBB19_175:                             ;   in Loop: Header=BB19_14 Depth=1
	s_andn2_saveexec_b64 s[36:37], s[36:37]
	s_cbranch_execz .LBB19_177
; %bb.176:                              ;   in Loop: Header=BB19_14 Depth=1
	v_mul_lo_u32 v4, v1, s68
	v_ashrrev_i32_e32 v5, 31, v4
	v_lshl_add_u64 v[4:5], v[4:5], 0, v[32:33]
	v_lshl_add_u64 v[4:5], v[4:5], 3, s[60:61]
	global_load_dwordx2 v[4:5], v[4:5], off offset:256
	s_waitcnt vmcnt(0)
	v_cvt_f16_f32_e32 v1, v4
	v_cvt_f16_f32_e32 v3, v5
	v_pack_b32_f16 v1, v1, v3
	v_pk_mul_f16 v1, v27, v1
	ds_write_b32 v197, v1 offset:128
.LBB19_177:                             ;   in Loop: Header=BB19_14 Depth=1
	s_or_b64 exec, exec, s[36:37]
	v_add_u32_e32 v1, s62, v198
	v_cmp_le_i32_e32 vcc, s76, v1
	s_and_saveexec_b64 s[36:37], vcc
	s_xor_b64 s[36:37], exec, s[36:37]
	s_cbranch_execz .LBB19_179
; %bb.178:                              ;   in Loop: Header=BB19_14 Depth=1
	ds_write_b32 v197, v2 offset:3968
                                        ; implicit-def: $vgpr1
.LBB19_179:                             ;   in Loop: Header=BB19_14 Depth=1
	s_andn2_saveexec_b64 s[36:37], s[36:37]
	s_cbranch_execz .LBB19_181
; %bb.180:                              ;   in Loop: Header=BB19_14 Depth=1
	v_mul_lo_u32 v4, v1, s68
	v_ashrrev_i32_e32 v5, 31, v4
	v_lshl_add_u64 v[4:5], v[4:5], 0, v[32:33]
	v_lshl_add_u64 v[4:5], v[4:5], 3, s[60:61]
	global_load_dwordx2 v[4:5], v[4:5], off offset:256
	s_waitcnt vmcnt(0)
	v_cvt_f16_f32_e32 v1, v4
	v_cvt_f16_f32_e32 v3, v5
	v_pack_b32_f16 v1, v1, v3
	v_pk_mul_f16 v1, v27, v1
	ds_write_b32 v197, v1 offset:3968
.LBB19_181:                             ;   in Loop: Header=BB19_14 Depth=1
	s_or_b64 exec, exec, s[36:37]
	v_add_u32_e32 v3, s62, v41
	v_cmp_gt_i32_e32 vcc, s76, v3
	v_mov_b32_e32 v211, 0
	v_mov_b32_e32 v1, 0
	s_and_saveexec_b64 s[36:37], vcc
	s_cbranch_execz .LBB19_183
; %bb.182:                              ;   in Loop: Header=BB19_14 Depth=1
	v_mul_lo_u32 v4, v3, s68
	v_ashrrev_i32_e32 v5, 31, v4
	v_lshl_add_u64 v[4:5], v[4:5], 0, v[34:35]
	v_lshl_add_u64 v[4:5], v[4:5], 3, s[60:61]
	global_load_dwordx2 v[4:5], v[4:5], off offset:384
	s_waitcnt vmcnt(0)
	v_cvt_f16_f32_e32 v1, v4
	v_cvt_f16_f32_e32 v3, v5
	v_pack_b32_f16 v1, v1, v3
	v_pk_mul_f16 v1, v27, v1
.LBB19_183:                             ;   in Loop: Header=BB19_14 Depth=1
	s_or_b64 exec, exec, s[36:37]
	ds_write_b32 v57, v1 offset:192
	s_waitcnt lgkmcnt(0)
	s_barrier
	ds_read2_b64 v[14:17], v124 offset1:4
	ds_read2_b64 v[10:13], v124 offset0:8 offset1:12
	ds_read2_b64 v[6:9], v124 offset0:16 offset1:20
	ds_read_b64 v[82:83], v124 offset:192
	v_cmp_gt_i32_e32 vcc, 2, v108
	s_and_b64 vcc, exec, vcc
	v_mov_b32_e32 v85, 0xfeffffff
	v_cmp_ne_u64_e64 s[36:37], 0, v[80:81]
	v_mov_b32_e32 v212, 0
	v_mov_b32_e32 v245, 0
	;; [unrolled: 1-line block ×15, first 2 shown]
	s_waitcnt lgkmcnt(0)
	s_barrier
	s_cbranch_vccnz .LBB19_198
; %bb.184:                              ;   in Loop: Header=BB19_14 Depth=1
	v_add_u32_e32 v3, s62, v120
	v_mul_hi_u32 v4, s92, v3
	v_add_u32_e32 v4, v3, v4
	v_lshrrev_b32_e32 v4, s93, v4
	v_mul_lo_u32 v4, v4, s76
	v_sub_u32_e32 v3, v3, v4
	v_add_u32_e32 v4, s62, v126
	v_mul_hi_u32 v5, s92, v4
	v_add_u32_e32 v5, v4, v5
	v_lshrrev_b32_e32 v5, s93, v5
	v_mul_lo_u32 v5, v5, s76
	v_sub_u32_e32 v4, v4, v5
	;; [unrolled: 6-line block ×8, first 2 shown]
	v_and_b32_e32 v23, 64, v243
	v_add_u32_e32 v23, 64, v23
	v_xor_b32_e32 v24, 32, v243
	v_cmp_lt_i32_e32 vcc, v24, v23
	v_lshl_add_u64 v[94:95], v[70:71], 0, s[30:31]
	v_lshl_add_u64 v[96:97], v[72:73], 0, s[30:31]
	v_cndmask_b32_e32 v24, v243, v24, vcc
	v_lshlrev_b32_e32 v247, 2, v24
	v_xor_b32_e32 v24, 16, v243
	v_cmp_lt_i32_e32 vcc, v24, v23
	v_lshl_add_u64 v[98:99], v[74:75], 0, s[30:31]
	v_lshl_add_u64 v[100:101], v[76:77], 0, s[30:31]
	v_readlane_b32 s30, v255, 9
	v_add_u32_e32 v1, -1, v108
	v_cndmask_b32_e32 v23, v243, v24, vcc
	v_readlane_b32 s31, v255, 10
	s_mov_b32 s38, s30
	v_mov_b32_e32 v214, 0
	v_lshlrev_b32_e32 v248, 2, v23
	v_mov_b32_e32 v208, v84
	v_mov_b32_e32 v209, v84
	v_lshl_add_u64 v[86:87], v[62:63], 0, s[94:95]
	v_lshl_add_u64 v[88:89], v[64:65], 0, s[94:95]
	;; [unrolled: 1-line block ×4, first 2 shown]
	v_mad_i64_i32 v[102:103], s[30:31], s38, v18, v[80:81]
	v_mad_i64_i32 v[104:105], s[30:31], s38, v5, v[80:81]
	;; [unrolled: 1-line block ×8, first 2 shown]
	v_mov_b32_e32 v79, 0
	v_mov_b32_e32 v244, 0xfeffffff
	;; [unrolled: 1-line block ×16, first 2 shown]
	v_cndmask_b32_e64 v3, 0, 1, s[36:37]
	v_cmp_ne_u32_e64 s[38:39], 1, v3
	s_andn2_b64 vcc, exec, s[36:37]
	s_cbranch_vccnz .LBB19_190
.LBB19_185:                             ;   in Loop: Header=BB19_14 Depth=1
                                        ; implicit-def: $sgpr3
	s_and_saveexec_b64 s[30:31], s[0:1]
	s_xor_b64 s[30:31], exec, s[30:31]
	s_cbranch_execz .LBB19_187
; %bb.186:                              ;   in Loop: Header=BB19_14 Depth=1
	ds_write_b16 v125, v2 offset:15360
	ds_write_b16 v127, v2 offset:15360
	;; [unrolled: 1-line block ×4, first 2 shown]
	s_mov_b32 s3, 0
.LBB19_187:                             ;   in Loop: Header=BB19_14 Depth=1
	s_or_saveexec_b64 s[30:31], s[30:31]
	v_mov_b32_e32 v3, s3
	v_mov_b32_e32 v4, s3
	v_mov_b32_e32 v5, s3
	v_mov_b32_e32 v18, s3
	s_xor_b64 exec, exec, s[30:31]
	s_cbranch_execz .LBB19_189
; %bb.188:                              ;   in Loop: Header=BB19_14 Depth=1
	v_lshl_add_u64 v[4:5], v[108:109], 0, v[36:37]
	flat_load_ushort v3, v[4:5]
	v_lshl_add_u64 v[4:5], v[106:107], 0, v[36:37]
	flat_load_ushort v18, v[4:5]
	;; [unrolled: 2-line block ×4, first 2 shown]
	s_waitcnt vmcnt(0) lgkmcnt(0)
	ds_write_b16 v125, v3 offset:15360
	ds_write_b16 v127, v18 offset:15360
	;; [unrolled: 1-line block ×4, first 2 shown]
	v_lshl_add_u64 v[4:5], v[116:117], 0, v[36:37]
	flat_load_ushort v3, v[4:5]
	v_lshl_add_u64 v[4:5], v[114:115], 0, v[36:37]
	v_lshl_add_u64 v[18:19], v[112:113], 0, v[36:37]
	flat_load_ushort v4, v[4:5]
	s_nop 0
	flat_load_ushort v5, v[18:19]
	v_lshl_add_u64 v[18:19], v[110:111], 0, v[36:37]
	flat_load_ushort v18, v[18:19]
.LBB19_189:                             ;   in Loop: Header=BB19_14 Depth=1
	s_or_b64 exec, exec, s[30:31]
	s_waitcnt vmcnt(0) lgkmcnt(0)
	ds_write_b16 v133, v3 offset:15360
	ds_write_b16 v135, v4 offset:15360
	;; [unrolled: 1-line block ×4, first 2 shown]
.LBB19_190:                             ;   Parent Loop BB19_14 Depth=1
                                        ; =>  This Inner Loop Header: Depth=2
	v_mov_b32_e32 v3, v2
	v_mov_b32_e32 v4, v2
	;; [unrolled: 1-line block ×3, first 2 shown]
	scratch_store_dwordx4 off, v[2:5], off
	s_and_saveexec_b64 s[30:31], s[98:99]
	s_cbranch_execz .LBB19_192
; %bb.191:                              ;   in Loop: Header=BB19_190 Depth=2
	v_lshl_add_u64 v[4:5], v[94:95], 0, s[82:83]
	global_load_dwordx4 v[18:21], v[4:5], off
	s_waitcnt vmcnt(0)
	ds_write_b128 v141, v[18:21]
.LBB19_192:                             ;   in Loop: Header=BB19_190 Depth=2
	s_or_b64 exec, exec, s[30:31]
	v_lshl_add_u64 v[4:5], v[96:97], 0, s[82:83]
	v_mov_b32_e32 v3, s89
	v_mov_b32_e32 v22, s88
	v_cndmask_b32_e64 v5, v3, v5, s[4:5]
	v_cndmask_b32_e64 v4, v22, v4, s[4:5]
	flat_load_dwordx4 v[18:21], v[4:5]
	v_lshl_add_u64 v[4:5], v[98:99], 0, s[82:83]
	v_cndmask_b32_e64 v5, v3, v5, s[6:7]
	v_cndmask_b32_e64 v4, v22, v4, s[6:7]
	s_and_b64 vcc, exec, s[38:39]
	s_waitcnt vmcnt(0) lgkmcnt(0)
	ds_write_b128 v179, v[18:21]
	flat_load_dwordx4 v[18:21], v[4:5]
	v_lshl_add_u64 v[4:5], v[100:101], 0, s[82:83]
	v_cndmask_b32_e64 v5, v3, v5, s[8:9]
	v_cndmask_b32_e64 v4, v22, v4, s[8:9]
	v_add_u32_e32 v3, v59, v144
	s_waitcnt vmcnt(0) lgkmcnt(0)
	ds_write_b128 v180, v[18:21]
	flat_load_dwordx4 v[18:21], v[4:5]
	s_waitcnt vmcnt(0) lgkmcnt(0)
	ds_write_b128 v181, v[18:21]
	s_waitcnt lgkmcnt(0)
	s_barrier
	ds_read2_b64 v[18:21], v3 offset1:4
	ds_read_b64 v[4:5], v3 offset:192
	s_waitcnt lgkmcnt(1)
	v_mfma_f32_16x16x16_f16 v[22:25], v[18:19], v[14:15], 0
	v_mfma_f32_16x16x16_f16 v[18:21], v[20:21], v[16:17], v[22:25]
	s_nop 5
	ds_read2_b64 v[22:25], v3 offset0:8 offset1:12
	s_waitcnt lgkmcnt(0)
	v_mfma_f32_16x16x16_f16 v[18:21], v[22:23], v[10:11], v[18:21]
	v_mfma_f32_16x16x16_f16 v[18:21], v[24:25], v[12:13], v[18:21]
	ds_read2_b64 v[22:25], v3 offset0:16 offset1:20
	s_waitcnt lgkmcnt(0)
	v_mfma_f32_16x16x16_f16 v[18:21], v[22:23], v[6:7], v[18:21]
	v_mfma_f32_16x16x16_f16 v[18:21], v[24:25], v[8:9], v[18:21]
	;; [unrolled: 1-line block ×3, first 2 shown]
	v_add_u32_e32 v4, 0x1800, v3
	ds_read2_b64 v[22:25], v4 offset0:192 offset1:196
	s_waitcnt lgkmcnt(0)
	v_mfma_f32_16x16x16_f16 v[228:231], v[22:23], v[14:15], 0
	v_mfma_f32_16x16x16_f16 v[22:25], v[24:25], v[16:17], v[228:231]
	s_nop 5
	ds_read2_b64 v[228:231], v4 offset0:200 offset1:204
	s_waitcnt lgkmcnt(0)
	v_mfma_f32_16x16x16_f16 v[22:25], v[228:229], v[10:11], v[22:25]
	v_mfma_f32_16x16x16_f16 v[22:25], v[230:231], v[12:13], v[22:25]
	ds_read2_b64 v[228:231], v4 offset0:208 offset1:212
	ds_read_b64 v[4:5], v3 offset:7872
	s_waitcnt lgkmcnt(0)
	v_mfma_f32_16x16x16_f16 v[22:25], v[228:229], v[6:7], v[22:25]
	s_barrier
	v_mfma_f32_16x16x16_f16 v[22:25], v[230:231], v[8:9], v[22:25]
	v_mfma_f32_16x16x16_f16 v[22:25], v[4:5], v[82:83], v[22:25]
	s_cbranch_vccnz .LBB19_194
; %bb.193:                              ;   in Loop: Header=BB19_190 Depth=2
	v_add_u32_e32 v3, 0x3c00, v146
	ds_read2_b32 v[4:5], v3 offset1:1
	ds_read_b32 v3, v148 offset:15360
	v_mov_b32_e32 v85, v84
	s_waitcnt lgkmcnt(1)
	v_cvt_f32_f16_e32 v228, v4
	v_cvt_f32_f16_sdwa v229, v4 dst_sel:DWORD dst_unused:UNUSED_PAD src0_sel:WORD_1
	v_cvt_f32_f16_e32 v4, v5
	v_cvt_f32_f16_sdwa v5, v5 dst_sel:DWORD dst_unused:UNUSED_PAD src0_sel:WORD_1
	v_pk_fma_f32 v[18:19], v[208:209], v[228:229], v[18:19]
	v_pk_fma_f32 v[20:21], v[84:85], v[4:5], v[20:21]
	s_waitcnt lgkmcnt(0)
	v_cvt_f32_f16_sdwa v5, v3 dst_sel:DWORD dst_unused:UNUSED_PAD src0_sel:WORD_1
	v_cvt_f32_f16_e32 v4, v3
	ds_read_b32 v3, v150 offset:15360
	v_pk_fma_f32 v[22:23], v[208:209], v[4:5], v[22:23]
	s_waitcnt lgkmcnt(0)
	v_cvt_f32_f16_sdwa v229, v3 dst_sel:DWORD dst_unused:UNUSED_PAD src0_sel:WORD_1
	v_cvt_f32_f16_e32 v228, v3
	v_pk_fma_f32 v[24:25], v[84:85], v[228:229], v[24:25]
.LBB19_194:                             ;   in Loop: Header=BB19_190 Depth=2
	v_add_f32_e32 v3, 0x40051340, v18
	v_max_f32_e32 v4, v244, v244
	v_max_f32_e32 v3, v4, v3
	v_cndmask_b32_e64 v3, v244, v3, s[10:11]
	v_add_f32_e32 v4, 0x40051340, v19
	v_max_f32_e32 v5, v3, v3
	v_max_f32_e32 v4, v5, v4
	v_cndmask_b32_e64 v3, v3, v4, s[12:13]
	v_add_f32_e32 v4, 0x40051340, v20
	v_max_f32_e32 v5, v3, v3
	v_max_f32_e32 v4, v5, v4
	v_cndmask_b32_e64 v3, v3, v4, s[14:15]
	v_add_f32_e32 v4, 0x40051340, v21
	v_max_f32_e32 v5, v3, v3
	v_max_f32_e32 v4, v5, v4
	v_cndmask_b32_e64 v3, v3, v4, s[16:17]
	v_add_f32_e32 v4, 0x40051340, v22
	v_max_f32_e32 v5, v3, v3
	v_max_f32_e32 v4, v5, v4
	v_cndmask_b32_e64 v3, v3, v4, s[18:19]
	v_add_f32_e32 v4, 0x40051340, v23
	v_max_f32_e32 v5, v3, v3
	v_max_f32_e32 v4, v5, v4
	v_cndmask_b32_e64 v3, v3, v4, s[20:21]
	v_add_f32_e32 v4, 0x40051340, v24
	v_max_f32_e32 v5, v3, v3
	v_max_f32_e32 v4, v5, v4
	v_cndmask_b32_e64 v3, v3, v4, s[22:23]
	v_add_f32_e32 v4, 0x40051340, v25
	v_max_f32_e32 v5, v3, v3
	v_max_f32_e32 v4, v5, v4
	v_cndmask_b32_e64 v3, v3, v4, s[24:25]
	ds_bpermute_b32 v4, v247, v3
	v_max_f32_e32 v3, v3, v3
	v_mov_b32_e32 v5, v2
	s_waitcnt lgkmcnt(0)
	v_max_f32_e32 v4, v4, v4
	v_max_f32_e32 v78, v3, v4
	ds_bpermute_b32 v85, v248, v78
	v_mov_b32_e32 v3, v2
	v_mov_b32_e32 v4, v2
	scratch_store_dwordx4 off, v[2:5], off
	s_and_saveexec_b64 s[30:31], s[98:99]
	s_cbranch_execz .LBB19_196
; %bb.195:                              ;   in Loop: Header=BB19_190 Depth=2
	v_lshl_add_u64 v[4:5], v[86:87], 0, s[80:81]
	global_load_dwordx4 v[228:231], v[4:5], off
	s_waitcnt vmcnt(0)
	ds_write_b128 v141, v[228:231]
.LBB19_196:                             ;   in Loop: Header=BB19_190 Depth=2
	s_or_b64 exec, exec, s[30:31]
	s_waitcnt lgkmcnt(0)
	v_max_f32_e32 v3, v85, v85
	v_max_f32_e32 v4, v78, v78
	;; [unrolled: 1-line block ×3, first 2 shown]
	v_sub_f32_e32 v3, v18, v85
	v_mul_f32_e32 v4, 0x3fb8aa3b, v3
	v_fma_f32 v5, v3, s67, -v4
	v_rndne_f32_e32 v18, v4
	v_fmac_f32_e32 v5, 0x32a5705f, v3
	v_sub_f32_e32 v4, v4, v18
	v_add_f32_e32 v4, v4, v5
	v_exp_f32_e32 v4, v4
	v_cvt_i32_f32_e32 v5, v18
	v_cmp_ngt_f32_e32 vcc, s77, v3
	v_cndmask_b32_e64 v20, v20, v20, s[12:13]
	v_cndmask_b32_e64 v23, v23, v23, s[18:19]
	v_ldexp_f32 v4, v4, v5
	v_cndmask_b32_e32 v4, 0, v4, vcc
	v_cmp_nlt_f32_e32 vcc, s71, v3
	v_cndmask_b32_e64 v24, v24, v24, s[18:19]
	v_add_u32_e32 v249, -1, v249
	v_cndmask_b32_e32 v3, v241, v4, vcc
	v_cndmask_b32_e64 v18, 0, v3, s[10:11]
	v_sub_f32_e32 v3, v19, v85
	v_mul_f32_e32 v4, 0x3fb8aa3b, v3
	v_fma_f32 v5, v3, s67, -v4
	v_rndne_f32_e32 v19, v4
	v_fmac_f32_e32 v5, 0x32a5705f, v3
	v_sub_f32_e32 v4, v4, v19
	v_add_f32_e32 v4, v4, v5
	v_exp_f32_e32 v4, v4
	v_cvt_i32_f32_e32 v5, v19
	v_cmp_ngt_f32_e32 vcc, s77, v3
	v_cndmask_b32_e64 v19, v21, v21, s[12:13]
	v_lshl_add_u64 v[86:87], v[86:87], 0, s[96:97]
	v_ldexp_f32 v4, v4, v5
	v_cndmask_b32_e32 v4, 0, v4, vcc
	v_cmp_nlt_f32_e32 vcc, s71, v3
	v_mov_b32_e32 v3, s87
	v_lshl_add_u64 v[94:95], v[94:95], 0, s[28:29]
	v_cndmask_b32_e32 v4, v241, v4, vcc
	v_add_f32_e32 v5, v4, v18
	v_cndmask_b32_e64 v21, v3, v4, s[12:13]
	v_sub_f32_e32 v4, v20, v85
	v_cndmask_b32_e64 v3, v18, v5, s[12:13]
	v_mul_f32_e32 v5, 0x3fb8aa3b, v4
	v_fma_f32 v20, v4, s67, -v5
	v_rndne_f32_e32 v78, v5
	v_fmac_f32_e32 v20, 0x32a5705f, v4
	v_sub_f32_e32 v5, v5, v78
	v_add_f32_e32 v5, v5, v20
	v_exp_f32_e32 v5, v5
	v_cvt_i32_f32_e32 v20, v78
	v_cmp_ngt_f32_e32 vcc, s77, v4
	v_cvt_f16_f32_e32 v18, v18
	v_lshl_add_u64 v[96:97], v[96:97], 0, s[28:29]
	v_ldexp_f32 v5, v5, v20
	v_cndmask_b32_e32 v5, 0, v5, vcc
	v_cmp_nlt_f32_e32 vcc, s71, v4
	v_mov_b32_e32 v4, s87
	v_lshl_add_u64 v[98:99], v[98:99], 0, s[28:29]
	v_cndmask_b32_e32 v5, v241, v5, vcc
	v_cndmask_b32_e64 v228, v4, v5, s[14:15]
	v_sub_f32_e32 v4, v19, v85
	v_add_f32_e32 v20, v3, v5
	v_mul_f32_e32 v5, 0x3fb8aa3b, v4
	v_cndmask_b32_e64 v3, v3, v20, s[14:15]
	v_fma_f32 v19, v4, s67, -v5
	v_rndne_f32_e32 v20, v5
	v_fmac_f32_e32 v19, 0x32a5705f, v4
	v_sub_f32_e32 v5, v5, v20
	v_add_f32_e32 v5, v5, v19
	v_exp_f32_e32 v5, v5
	v_cvt_i32_f32_e32 v19, v20
	v_cmp_ngt_f32_e32 vcc, s77, v4
	v_lshl_add_u64 v[100:101], v[100:101], 0, s[28:29]
	v_lshl_add_u64 v[102:103], v[102:103], 0, s[34:35]
	v_ldexp_f32 v5, v5, v19
	v_cndmask_b32_e32 v5, 0, v5, vcc
	v_cmp_nlt_f32_e32 vcc, s71, v4
	v_lshl_add_u64 v[104:105], v[104:105], 0, s[34:35]
	v_lshl_add_u64 v[106:107], v[106:107], 0, s[34:35]
	v_cndmask_b32_e32 v19, v241, v5, vcc
	v_add_f32_e32 v4, v3, v19
	v_cndmask_b32_e64 v3, v3, v4, s[16:17]
	v_sub_f32_e32 v4, v22, v85
	v_mul_f32_e32 v5, 0x3fb8aa3b, v4
	v_fma_f32 v20, v4, s67, -v5
	v_rndne_f32_e32 v22, v5
	v_fmac_f32_e32 v20, 0x32a5705f, v4
	v_sub_f32_e32 v5, v5, v22
	v_add_f32_e32 v5, v5, v20
	v_exp_f32_e32 v5, v5
	v_cvt_i32_f32_e32 v20, v22
	v_cmp_ngt_f32_e32 vcc, s77, v4
	v_cndmask_b32_e64 v22, v25, v25, s[18:19]
	v_lshl_add_u64 v[108:109], v[108:109], 0, s[34:35]
	v_ldexp_f32 v5, v5, v20
	v_cndmask_b32_e32 v5, 0, v5, vcc
	v_cmp_nlt_f32_e32 vcc, s71, v4
	v_mov_b32_e32 v4, s87
	v_lshl_add_u64 v[110:111], v[110:111], 0, s[34:35]
	v_cndmask_b32_e32 v5, v241, v5, vcc
	v_add_f32_e32 v20, v5, v3
	v_cndmask_b32_e64 v229, v4, v5, s[18:19]
	v_cndmask_b32_e64 v4, v3, v20, s[18:19]
	v_sub_f32_e32 v3, v23, v85
	v_mul_f32_e32 v5, 0x3fb8aa3b, v3
	v_fma_f32 v20, v3, s67, -v5
	v_rndne_f32_e32 v23, v5
	v_fmac_f32_e32 v20, 0x32a5705f, v3
	v_sub_f32_e32 v5, v5, v23
	v_add_f32_e32 v5, v5, v20
	v_exp_f32_e32 v5, v5
	v_cvt_i32_f32_e32 v20, v23
	v_cmp_ngt_f32_e32 vcc, s77, v3
	v_lshl_add_u64 v[112:113], v[112:113], 0, s[34:35]
	v_lshl_add_u64 v[114:115], v[114:115], 0, s[34:35]
	v_ldexp_f32 v5, v5, v20
	v_cndmask_b32_e32 v5, 0, v5, vcc
	v_cmp_nlt_f32_e32 vcc, s71, v3
	v_mov_b32_e32 v3, s87
	v_lshl_add_u64 v[116:117], v[116:117], 0, s[34:35]
	v_cndmask_b32_e32 v5, v241, v5, vcc
	v_add_f32_e32 v20, v5, v4
	v_cndmask_b32_e64 v230, v3, v5, s[20:21]
	v_cndmask_b32_e64 v3, v4, v20, s[20:21]
	v_sub_f32_e32 v4, v24, v85
	v_mul_f32_e32 v5, 0x3fb8aa3b, v4
	v_fma_f32 v20, v4, s67, -v5
	v_rndne_f32_e32 v23, v5
	v_fmac_f32_e32 v20, 0x32a5705f, v4
	v_sub_f32_e32 v5, v5, v23
	v_add_f32_e32 v5, v5, v20
	v_exp_f32_e32 v5, v5
	v_cvt_i32_f32_e32 v20, v23
	v_cmp_ngt_f32_e32 vcc, s77, v4
	v_ldexp_f32 v5, v5, v20
	s_nop 0
	v_cndmask_b32_e32 v5, 0, v5, vcc
	v_cmp_nlt_f32_e32 vcc, s71, v4
	v_mov_b32_e32 v4, s87
	s_nop 0
	v_cndmask_b32_e32 v5, v241, v5, vcc
	v_cndmask_b32_e64 v231, v4, v5, s[22:23]
	v_sub_f32_e32 v4, v22, v85
	v_add_f32_e32 v20, v5, v3
	v_mul_f32_e32 v5, 0x3fb8aa3b, v4
	v_cndmask_b32_e64 v3, v3, v20, s[22:23]
	v_fma_f32 v20, v4, s67, -v5
	v_rndne_f32_e32 v22, v5
	v_fmac_f32_e32 v20, 0x32a5705f, v4
	v_sub_f32_e32 v5, v5, v22
	v_add_f32_e32 v5, v5, v20
	v_exp_f32_e32 v5, v5
	v_cvt_i32_f32_e32 v20, v22
	v_cmp_ngt_f32_e32 vcc, s77, v4
	v_ldexp_f32 v5, v5, v20
	s_nop 0
	v_cndmask_b32_e32 v5, 0, v5, vcc
	v_cmp_nlt_f32_e32 vcc, s71, v4
	s_nop 1
	v_cndmask_b32_e32 v4, v241, v5, vcc
	v_add_f32_e32 v5, v4, v3
	v_cndmask_b32_e64 v78, v3, v5, s[24:25]
	v_sub_f32_e32 v3, v244, v85
	v_mul_f32_e32 v5, 0x3fb8aa3b, v3
	v_fma_f32 v20, v3, s67, -v5
	v_rndne_f32_e32 v22, v5
	v_fmac_f32_e32 v20, 0x32a5705f, v3
	v_sub_f32_e32 v5, v5, v22
	v_add_f32_e32 v5, v5, v20
	v_exp_f32_e32 v5, v5
	v_cvt_i32_f32_e32 v20, v22
	v_cmp_ngt_f32_e32 vcc, s77, v3
	v_ldexp_f32 v5, v5, v20
	s_nop 0
	v_cndmask_b32_e32 v5, 0, v5, vcc
	v_cmp_nlt_f32_e32 vcc, s71, v3
	s_nop 1
	v_cndmask_b32_e32 v5, v241, v5, vcc
	v_cmp_le_f32_e32 vcc, s66, v3
	s_nop 1
	v_cndmask_b32_e32 v3, 0, v5, vcc
	v_mov_b32_e32 v5, s87
	v_cndmask_b32_e64 v20, v5, v4, s[24:25]
	v_cndmask_b32_e64 v19, v5, v19, s[16:17]
	v_cvt_f16_f32_e32 v4, v229
	v_cvt_f16_f32_e32 v5, v230
	;; [unrolled: 1-line block ×3, first 2 shown]
	v_fmac_f32_e32 v78, v79, v3
	v_cvt_f16_f32_e32 v3, v3
	v_pack_b32_f16 v4, v4, v5
	v_cvt_f16_f32_e32 v5, v231
	v_cvt_f16_f32_e32 v19, v19
	v_pk_mul_f16 v246, v3, v246 op_sel_hi:[0,1]
	v_pk_mul_f16 v245, v3, v245 op_sel_hi:[0,1]
	v_pack_b32_f16 v5, v5, v20
	v_cvt_f16_f32_e32 v20, v21
	v_pk_mul_f16 v251, v3, v251 op_sel_hi:[0,1]
	v_pk_mul_f16 v250, v3, v250 op_sel_hi:[0,1]
	;; [unrolled: 1-line block ×3, first 2 shown]
	v_pack_b32_f16 v18, v18, v20
	v_cvt_f16_f32_e32 v20, v228
	v_pk_mul_f16 v252, v3, v252 op_sel_hi:[0,1]
	v_pk_mul_f16 v221, v3, v221 op_sel_hi:[0,1]
	;; [unrolled: 1-line block ×9, first 2 shown]
	v_pack_b32_f16 v19, v20, v19
	v_lshl_add_u64 v[20:21], v[88:89], 0, s[80:81]
	v_mov_b32_e32 v79, s89
	v_mov_b32_e32 v211, s88
	v_cndmask_b32_e64 v21, v79, v21, s[4:5]
	v_cndmask_b32_e64 v20, v211, v20, s[4:5]
	flat_load_dwordx4 v[228:231], v[20:21]
	v_lshl_add_u64 v[20:21], v[90:91], 0, s[80:81]
	v_cndmask_b32_e64 v21, v79, v21, s[6:7]
	v_cndmask_b32_e64 v20, v211, v20, s[6:7]
	v_cmp_ne_u32_e32 vcc, 0, v249
	v_lshl_add_u64 v[88:89], v[88:89], 0, s[96:97]
	v_lshl_add_u64 v[90:91], v[90:91], 0, s[96:97]
	s_and_b64 vcc, exec, vcc
	s_waitcnt vmcnt(0) lgkmcnt(0)
	ds_write_b128 v179, v[228:231]
	flat_load_dwordx4 v[228:231], v[20:21]
	v_lshl_add_u64 v[20:21], v[92:93], 0, s[80:81]
	v_cndmask_b32_e64 v21, v79, v21, s[8:9]
	v_cndmask_b32_e64 v20, v211, v20, s[8:9]
	v_lshl_add_u64 v[92:93], v[92:93], 0, s[96:97]
	s_waitcnt vmcnt(0) lgkmcnt(0)
	ds_write_b128 v180, v[228:231]
	flat_load_dwordx4 v[228:231], v[20:21]
	s_waitcnt vmcnt(0) lgkmcnt(0)
	ds_write_b128 v181, v[228:231]
	s_waitcnt lgkmcnt(0)
	s_barrier
	ds_read_u16 v20, v152 offset:240
	ds_read_u16 v21, v152 offset:480
	ds_read_u16 v79, v153
	ds_read_u16 v211, v153 offset:32
	v_cvt_f32_f16_e32 v228, v246
	v_cvt_f32_f16_sdwa v229, v246 dst_sel:DWORD dst_unused:UNUSED_PAD src0_sel:WORD_1
	v_cvt_f32_f16_e32 v230, v245
	s_waitcnt lgkmcnt(1)
	v_perm_b32 v21, v79, v21, s69
	ds_read_u16 v79, v151
	ds_read_u16 v212, v151 offset:32
	v_cvt_f32_f16_sdwa v231, v245 dst_sel:DWORD dst_unused:UNUSED_PAD src0_sel:WORD_1
	ds_read_u16 v215, v151 offset:7680
	ds_read_u16 v217, v154 offset:240
	;; [unrolled: 1-line block ×4, first 2 shown]
	s_waitcnt lgkmcnt(5)
	v_perm_b32 v20, v20, v79, s69
	s_nop 1
	v_mfma_f32_16x16x16_f16 v[228:231], v[20:21], v[18:19], v[228:231]
	s_nop 6
	v_cvt_f16_f32_e32 v20, v228
	v_cvt_f16_f32_e32 v21, v229
	;; [unrolled: 1-line block ×4, first 2 shown]
	v_cvt_f32_f16_e32 v228, v20
	v_cvt_f32_f16_e32 v229, v21
	s_waitcnt lgkmcnt(0)
	v_perm_b32 v21, v245, v244, s69
	v_perm_b32 v20, v217, v215, s69
	v_cvt_f32_f16_e32 v230, v79
	v_cvt_f32_f16_e32 v231, v214
	s_nop 1
	v_mfma_f32_16x16x16_f16 v[228:231], v[20:21], v[4:5], v[228:231]
	s_nop 6
	v_cvt_f16_f32_e32 v20, v228
	v_cvt_f16_f32_e32 v21, v229
	v_cvt_f16_f32_e32 v79, v230
	v_cvt_f16_f32_e32 v214, v231
	v_cvt_f32_f16_e32 v228, v251
	v_pack_b32_f16 v246, v20, v21
	ds_read_u16 v20, v155 offset:240
	ds_read_u16 v21, v155 offset:480
	v_cvt_f32_f16_sdwa v229, v251 dst_sel:DWORD dst_unused:UNUSED_PAD src0_sel:WORD_1
	v_cvt_f32_f16_e32 v230, v250
	v_cvt_f32_f16_sdwa v231, v250 dst_sel:DWORD dst_unused:UNUSED_PAD src0_sel:WORD_1
	s_waitcnt lgkmcnt(1)
	v_perm_b32 v20, v20, v212, s69
	s_waitcnt lgkmcnt(0)
	v_perm_b32 v21, v211, v21, s69
	v_pack_b32_f16 v245, v79, v214
	ds_read_u16 v212, v156 offset:7680
	ds_read_u16 v214, v157 offset:240
	;; [unrolled: 1-line block ×4, first 2 shown]
	v_mfma_f32_16x16x16_f16 v[228:231], v[20:21], v[18:19], v[228:231]
	s_nop 6
	v_cvt_f16_f32_e32 v20, v228
	v_cvt_f16_f32_e32 v21, v229
	;; [unrolled: 1-line block ×4, first 2 shown]
	v_cvt_f32_f16_e32 v228, v20
	v_cvt_f32_f16_e32 v229, v21
	s_waitcnt lgkmcnt(0)
	v_perm_b32 v21, v217, v215, s69
	v_perm_b32 v20, v214, v212, s69
	v_cvt_f32_f16_e32 v230, v79
	v_cvt_f32_f16_e32 v231, v211
	s_nop 1
	v_mfma_f32_16x16x16_f16 v[228:231], v[20:21], v[4:5], v[228:231]
	s_nop 6
	v_cvt_f16_f32_e32 v20, v228
	v_cvt_f16_f32_e32 v21, v229
	;; [unrolled: 1-line block ×4, first 2 shown]
	v_cvt_f32_f16_e32 v228, v253
	v_pack_b32_f16 v251, v20, v21
	v_cvt_f32_f16_sdwa v229, v253 dst_sel:DWORD dst_unused:UNUSED_PAD src0_sel:WORD_1
	v_pack_b32_f16 v250, v79, v211
	ds_read_u16 v20, v151 offset:64
	ds_read_u16 v79, v159 offset:240
	;; [unrolled: 1-line block ×4, first 2 shown]
	v_cvt_f32_f16_e32 v230, v252
	v_cvt_f32_f16_sdwa v231, v252 dst_sel:DWORD dst_unused:UNUSED_PAD src0_sel:WORD_1
	s_waitcnt lgkmcnt(2)
	v_perm_b32 v20, v79, v20, s69
	ds_read_u16 v212, v160 offset:7680
	ds_read_u16 v214, v161 offset:240
	;; [unrolled: 1-line block ×4, first 2 shown]
	s_waitcnt lgkmcnt(4)
	v_perm_b32 v21, v211, v21, s69
	s_nop 1
	v_mfma_f32_16x16x16_f16 v[228:231], v[20:21], v[18:19], v[228:231]
	s_nop 6
	v_cvt_f16_f32_e32 v20, v228
	v_cvt_f16_f32_e32 v21, v229
	;; [unrolled: 1-line block ×4, first 2 shown]
	v_cvt_f32_f16_e32 v228, v20
	v_cvt_f32_f16_e32 v229, v21
	s_waitcnt lgkmcnt(0)
	v_perm_b32 v21, v217, v215, s69
	v_perm_b32 v20, v214, v212, s69
	v_cvt_f32_f16_e32 v230, v79
	v_cvt_f32_f16_e32 v231, v211
	s_nop 1
	v_mfma_f32_16x16x16_f16 v[228:231], v[20:21], v[4:5], v[228:231]
	s_nop 6
	v_cvt_f16_f32_e32 v20, v228
	v_cvt_f16_f32_e32 v21, v229
	;; [unrolled: 1-line block ×4, first 2 shown]
	v_cvt_f32_f16_e32 v228, v221
	v_pack_b32_f16 v253, v20, v21
	v_cvt_f32_f16_sdwa v229, v221 dst_sel:DWORD dst_unused:UNUSED_PAD src0_sel:WORD_1
	v_pack_b32_f16 v252, v79, v211
	ds_read_u16 v20, v151 offset:96
	ds_read_u16 v79, v163 offset:240
	;; [unrolled: 1-line block ×4, first 2 shown]
	v_cvt_f32_f16_e32 v230, v220
	v_cvt_f32_f16_sdwa v231, v220 dst_sel:DWORD dst_unused:UNUSED_PAD src0_sel:WORD_1
	s_waitcnt lgkmcnt(2)
	v_perm_b32 v20, v79, v20, s69
	ds_read_u16 v212, v164 offset:7680
	ds_read_u16 v214, v165 offset:240
	;; [unrolled: 1-line block ×4, first 2 shown]
	s_waitcnt lgkmcnt(4)
	v_perm_b32 v21, v211, v21, s69
	s_nop 1
	v_mfma_f32_16x16x16_f16 v[228:231], v[20:21], v[18:19], v[228:231]
	s_nop 6
	v_cvt_f16_f32_e32 v20, v228
	v_cvt_f16_f32_e32 v21, v229
	v_cvt_f16_f32_e32 v79, v230
	v_cvt_f16_f32_e32 v211, v231
	v_cvt_f32_f16_e32 v228, v20
	v_cvt_f32_f16_e32 v229, v21
	s_waitcnt lgkmcnt(0)
	v_perm_b32 v21, v217, v215, s69
	v_perm_b32 v20, v214, v212, s69
	v_cvt_f32_f16_e32 v230, v79
	v_cvt_f32_f16_e32 v231, v211
	s_nop 1
	v_mfma_f32_16x16x16_f16 v[228:231], v[20:21], v[4:5], v[228:231]
	s_nop 6
	v_cvt_f16_f32_e32 v20, v228
	v_cvt_f16_f32_e32 v21, v229
	;; [unrolled: 1-line block ×4, first 2 shown]
	v_cvt_f32_f16_e32 v228, v218
	v_pack_b32_f16 v221, v20, v21
	v_cvt_f32_f16_sdwa v229, v218 dst_sel:DWORD dst_unused:UNUSED_PAD src0_sel:WORD_1
	v_pack_b32_f16 v220, v79, v211
	ds_read_u16 v20, v151 offset:128
	ds_read_u16 v79, v167 offset:240
	;; [unrolled: 1-line block ×4, first 2 shown]
	v_cvt_f32_f16_e32 v230, v25
	v_cvt_f32_f16_sdwa v231, v25 dst_sel:DWORD dst_unused:UNUSED_PAD src0_sel:WORD_1
	s_waitcnt lgkmcnt(2)
	v_perm_b32 v20, v79, v20, s69
	s_waitcnt lgkmcnt(0)
	v_perm_b32 v21, v211, v21, s69
	ds_read_u16 v211, v168 offset:7680
	ds_read_u16 v212, v169 offset:240
	;; [unrolled: 1-line block ×4, first 2 shown]
	v_mfma_f32_16x16x16_f16 v[228:231], v[20:21], v[18:19], v[228:231]
	s_nop 6
	v_cvt_f16_f32_e32 v20, v228
	v_cvt_f16_f32_e32 v21, v229
	;; [unrolled: 1-line block ×4, first 2 shown]
	v_cvt_f32_f16_e32 v228, v20
	v_cvt_f32_f16_e32 v229, v21
	s_waitcnt lgkmcnt(0)
	v_perm_b32 v21, v215, v214, s69
	v_perm_b32 v20, v212, v211, s69
	v_cvt_f32_f16_e32 v230, v25
	v_cvt_f32_f16_e32 v231, v79
	s_nop 1
	v_mfma_f32_16x16x16_f16 v[228:231], v[20:21], v[4:5], v[228:231]
	s_nop 6
	v_cvt_f16_f32_e32 v20, v228
	v_cvt_f16_f32_e32 v21, v229
	;; [unrolled: 1-line block ×4, first 2 shown]
	v_cvt_f32_f16_e32 v228, v24
	v_pack_b32_f16 v218, v20, v21
	v_cvt_f32_f16_sdwa v229, v24 dst_sel:DWORD dst_unused:UNUSED_PAD src0_sel:WORD_1
	v_pack_b32_f16 v217, v25, v79
	ds_read_u16 v20, v151 offset:160
	ds_read_u16 v25, v171 offset:240
	;; [unrolled: 1-line block ×4, first 2 shown]
	v_cvt_f32_f16_e32 v230, v23
	v_cvt_f32_f16_sdwa v231, v23 dst_sel:DWORD dst_unused:UNUSED_PAD src0_sel:WORD_1
	s_waitcnt lgkmcnt(2)
	v_perm_b32 v20, v25, v20, s69
	s_waitcnt lgkmcnt(0)
	v_perm_b32 v21, v79, v21, s69
	ds_read_u16 v25, v172 offset:7680
	ds_read_u16 v79, v173 offset:240
	;; [unrolled: 1-line block ×4, first 2 shown]
	v_mfma_f32_16x16x16_f16 v[228:231], v[20:21], v[18:19], v[228:231]
	s_nop 6
	v_cvt_f16_f32_e32 v20, v228
	v_cvt_f16_f32_e32 v21, v229
	;; [unrolled: 1-line block ×4, first 2 shown]
	v_cvt_f32_f16_e32 v228, v20
	v_cvt_f32_f16_e32 v229, v21
	s_waitcnt lgkmcnt(0)
	v_perm_b32 v21, v212, v211, s69
	v_perm_b32 v20, v79, v25, s69
	v_cvt_f32_f16_e32 v230, v23
	v_cvt_f32_f16_e32 v231, v24
	s_nop 1
	v_mfma_f32_16x16x16_f16 v[228:231], v[20:21], v[4:5], v[228:231]
	s_nop 6
	v_cvt_f16_f32_e32 v23, v230
	v_cvt_f16_f32_e32 v24, v231
	;; [unrolled: 1-line block ×4, first 2 shown]
	v_pack_b32_f16 v215, v23, v24
	ds_read_u16 v24, v151 offset:192
	ds_read_u16 v79, v175 offset:240
	ds_read_u16 v25, v175 offset:480
	ds_read_u16 v211, v153 offset:192
	v_pack_b32_f16 v214, v20, v21
	v_cvt_f32_f16_e32 v20, v22
	s_waitcnt lgkmcnt(2)
	v_perm_b32 v24, v79, v24, s69
	v_cvt_f32_f16_sdwa v21, v22 dst_sel:DWORD dst_unused:UNUSED_PAD src0_sel:WORD_1
	s_waitcnt lgkmcnt(0)
	v_perm_b32 v25, v211, v25, s69
	v_cvt_f32_f16_e32 v22, v3
	v_cvt_f32_f16_sdwa v23, v3 dst_sel:DWORD dst_unused:UNUSED_PAD src0_sel:WORD_1
	s_nop 1
	v_mfma_f32_16x16x16_f16 v[18:21], v[24:25], v[18:19], v[20:23]
	s_nop 2
	ds_read_u16 v22, v176 offset:7680
	ds_read_u16 v24, v177 offset:240
	;; [unrolled: 1-line block ×4, first 2 shown]
	s_waitcnt lgkmcnt(0)
	s_barrier
	v_cvt_f16_f32_e32 v3, v18
	v_cvt_f16_f32_e32 v19, v19
	;; [unrolled: 1-line block ×4, first 2 shown]
	v_perm_b32 v23, v25, v23, s69
	v_perm_b32 v22, v24, v22, s69
	v_cvt_f32_f16_e32 v18, v3
	v_cvt_f32_f16_e32 v19, v19
	;; [unrolled: 1-line block ×4, first 2 shown]
	s_nop 1
	v_mfma_f32_16x16x16_f16 v[18:21], v[22:23], v[4:5], v[18:21]
	s_nop 6
	v_cvt_f16_f32_e32 v3, v18
	v_cvt_f16_f32_e32 v4, v19
	;; [unrolled: 1-line block ×4, first 2 shown]
	v_pack_b32_f16 v212, v3, v4
	v_pack_b32_f16 v211, v5, v18
	s_cbranch_vccz .LBB19_198
; %bb.197:                              ;   in Loop: Header=BB19_190 Depth=2
	v_mov_b32_e32 v79, v78
	v_mov_b32_e32 v244, v85
	v_cndmask_b32_e64 v3, 0, 1, s[36:37]
	v_cmp_ne_u32_e64 s[38:39], 1, v3
	s_andn2_b64 vcc, exec, s[36:37]
	s_cbranch_vccz .LBB19_185
	s_branch .LBB19_190
.LBB19_198:                             ;   in Loop: Header=BB19_14 Depth=1
	v_lshlrev_b32_e32 v22, 6, v1
	v_readlane_b32 s30, v254, 4
	v_cmp_eq_u64_e32 vcc, 0, v[80:81]
	v_cmp_ne_u64_e64 s[36:37], 0, v[80:81]
	v_sub_u32_e32 v1, s30, v22
	v_readlane_b32 s31, v254, 5
	s_cbranch_vccnz .LBB19_208
; %bb.199:                              ;   in Loop: Header=BB19_14 Depth=1
	v_mov_b32_e32 v23, v2
	v_cmp_ge_i32_e32 vcc, v28, v1
                                        ; implicit-def: $sgpr3
	s_and_saveexec_b64 s[30:31], vcc
	s_xor_b64 s[30:31], exec, s[30:31]
	s_cbranch_execz .LBB19_201
; %bb.200:                              ;   in Loop: Header=BB19_14 Depth=1
	ds_write_b16 v125, v2 offset:15360
	ds_write_b16 v127, v2 offset:15360
	s_mov_b32 s3, 0
.LBB19_201:                             ;   in Loop: Header=BB19_14 Depth=1
	s_or_saveexec_b64 s[30:31], s[30:31]
	v_lshlrev_b64 v[4:5], 1, v[22:23]
	v_lshl_add_u64 v[4:5], v[80:81], 0, v[4:5]
	v_lshlrev_b32_e32 v18, 1, v28
	v_mov_b32_e32 v19, v2
	v_lshl_add_u64 v[4:5], v[4:5], 0, v[18:19]
	v_mov_b32_e32 v3, s3
	v_mov_b32_e32 v18, s3
	s_xor_b64 exec, exec, s[30:31]
	s_cbranch_execz .LBB19_203
; %bb.202:                              ;   in Loop: Header=BB19_14 Depth=1
	v_add_u32_e32 v3, s62, v120
	v_mul_hi_u32 v18, s92, v3
	v_add_u32_e32 v18, v3, v18
	v_lshrrev_b32_e32 v18, s93, v18
	v_mul_lo_u32 v18, v18, s76
	v_readlane_b32 s38, v255, 7
	v_sub_u32_e32 v3, v3, v18
	v_readlane_b32 s39, v255, 8
	s_mov_b32 s40, s38
	v_mad_i64_i32 v[18:19], s[38:39], v3, s40, 0
	v_lshl_add_u64 v[18:19], v[18:19], 1, v[4:5]
	flat_load_ushort v3, v[18:19]
	v_add_u32_e32 v18, s62, v126
	v_mul_hi_u32 v19, s92, v18
	v_add_u32_e32 v19, v18, v19
	v_lshrrev_b32_e32 v19, s93, v19
	v_mul_lo_u32 v19, v19, s76
	v_sub_u32_e32 v18, v18, v19
	v_mad_i64_i32 v[18:19], s[38:39], v18, s40, 0
	v_lshl_add_u64 v[18:19], v[18:19], 1, v[4:5]
	flat_load_ushort v18, v[18:19]
	s_waitcnt vmcnt(0) lgkmcnt(0)
	ds_write_b16 v125, v3 offset:15360
	ds_write_b16 v127, v18 offset:15360
	v_add_u32_e32 v3, s62, v128
	v_mul_hi_u32 v18, s92, v3
	v_add_u32_e32 v18, v3, v18
	v_lshrrev_b32_e32 v18, s93, v18
	v_mul_lo_u32 v18, v18, s76
	v_sub_u32_e32 v3, v3, v18
	v_mad_i64_i32 v[18:19], s[38:39], v3, s40, 0
	v_lshl_add_u64 v[18:19], v[18:19], 1, v[4:5]
	flat_load_ushort v3, v[18:19]
	v_add_u32_e32 v18, s62, v130
	v_mul_hi_u32 v19, s92, v18
	v_add_u32_e32 v19, v18, v19
	v_lshrrev_b32_e32 v19, s93, v19
	v_mul_lo_u32 v19, v19, s76
	v_sub_u32_e32 v18, v18, v19
	v_mad_i64_i32 v[18:19], s[38:39], v18, s40, 0
	v_lshl_add_u64 v[18:19], v[18:19], 1, v[4:5]
	flat_load_ushort v18, v[18:19]
.LBB19_203:                             ;   in Loop: Header=BB19_14 Depth=1
	s_or_b64 exec, exec, s[30:31]
	s_waitcnt vmcnt(0) lgkmcnt(0)
	ds_write_b16 v129, v3 offset:15360
	ds_write_b16 v131, v18 offset:15360
                                        ; implicit-def: $sgpr3
	s_and_saveexec_b64 s[30:31], vcc
	s_xor_b64 s[30:31], exec, s[30:31]
	s_cbranch_execz .LBB19_205
; %bb.204:                              ;   in Loop: Header=BB19_14 Depth=1
	ds_write_b16 v133, v2 offset:15360
	ds_write_b16 v135, v2 offset:15360
	s_mov_b32 s3, 0
                                        ; implicit-def: $vgpr4_vgpr5
.LBB19_205:                             ;   in Loop: Header=BB19_14 Depth=1
	s_or_saveexec_b64 s[30:31], s[30:31]
	v_mov_b32_e32 v3, s3
	v_mov_b32_e32 v18, s3
	s_xor_b64 exec, exec, s[30:31]
	s_cbranch_execz .LBB19_207
; %bb.206:                              ;   in Loop: Header=BB19_14 Depth=1
	v_add_u32_e32 v3, s62, v132
	v_mul_hi_u32 v18, s92, v3
	v_add_u32_e32 v18, v3, v18
	v_lshrrev_b32_e32 v18, s93, v18
	v_mul_lo_u32 v18, v18, s76
	v_readlane_b32 s38, v255, 7
	v_sub_u32_e32 v3, v3, v18
	v_readlane_b32 s39, v255, 8
	s_mov_b32 s40, s38
	v_mad_i64_i32 v[18:19], s[38:39], v3, s40, 0
	v_lshl_add_u64 v[18:19], v[18:19], 1, v[4:5]
	flat_load_ushort v3, v[18:19]
	v_add_u32_e32 v18, s62, v134
	v_mul_hi_u32 v19, s92, v18
	v_add_u32_e32 v19, v18, v19
	v_lshrrev_b32_e32 v19, s93, v19
	v_mul_lo_u32 v19, v19, s76
	v_sub_u32_e32 v18, v18, v19
	v_mad_i64_i32 v[18:19], s[38:39], v18, s40, 0
	v_lshl_add_u64 v[18:19], v[18:19], 1, v[4:5]
	flat_load_ushort v18, v[18:19]
	s_waitcnt vmcnt(0) lgkmcnt(0)
	ds_write_b16 v133, v3 offset:15360
	ds_write_b16 v135, v18 offset:15360
	v_add_u32_e32 v3, s62, v136
	v_mul_hi_u32 v18, s92, v3
	v_add_u32_e32 v18, v3, v18
	v_lshrrev_b32_e32 v18, s93, v18
	v_mul_lo_u32 v18, v18, s76
	v_sub_u32_e32 v3, v3, v18
	v_mad_i64_i32 v[18:19], s[38:39], v3, s40, 0
	v_lshl_add_u64 v[18:19], v[18:19], 1, v[4:5]
	flat_load_ushort v3, v[18:19]
	v_add_u32_e32 v18, s62, v138
	v_mul_hi_u32 v19, s92, v18
	v_add_u32_e32 v19, v18, v19
	v_lshrrev_b32_e32 v19, s93, v19
	v_mul_lo_u32 v19, v19, s76
	v_sub_u32_e32 v18, v18, v19
	v_mad_i64_i32 v[18:19], s[38:39], v18, s40, 0
	v_lshl_add_u64 v[4:5], v[18:19], 1, v[4:5]
	flat_load_ushort v18, v[4:5]
.LBB19_207:                             ;   in Loop: Header=BB19_14 Depth=1
	s_or_b64 exec, exec, s[30:31]
	s_waitcnt vmcnt(0) lgkmcnt(0)
	ds_write_b16 v137, v3 offset:15360
	ds_write_b16 v139, v18 offset:15360
.LBB19_208:                             ;   in Loop: Header=BB19_14 Depth=1
	v_mul_lo_u32 v3, v22, s91
	v_mul_hi_u32 v4, v22, s90
	v_add_u32_e32 v5, v4, v3
	v_mul_lo_u32 v4, v22, s90
	v_lshlrev_b64 v[4:5], 2, v[4:5]
	v_lshl_add_u64 v[18:19], s[26:27], 0, v[4:5]
	v_mov_b32_e32 v3, v2
	v_mov_b32_e32 v4, v2
	;; [unrolled: 1-line block ×3, first 2 shown]
	scratch_store_dwordx4 off, v[2:5], off
	s_and_saveexec_b64 s[26:27], s[98:99]
	s_cbranch_execz .LBB19_210
; %bb.209:                              ;   in Loop: Header=BB19_14 Depth=1
	v_lshl_add_u64 v[4:5], v[38:39], 2, v[18:19]
	v_lshlrev_b32_e32 v20, 2, v40
	v_mov_b32_e32 v21, v2
	v_lshl_add_u64 v[4:5], v[4:5], 0, v[20:21]
	s_mov_b64 s[30:31], 0xc0
	v_lshl_add_u64 v[4:5], v[4:5], 0, s[30:31]
	v_mov_b32_e32 v3, s89
	v_cmp_lt_i32_e32 vcc, v140, v1
	s_nop 1
	v_cndmask_b32_e32 v5, v3, v5, vcc
	v_mov_b32_e32 v3, s88
	v_cndmask_b32_e32 v4, v3, v4, vcc
	flat_load_dwordx4 v[86:89], v[4:5]
	s_waitcnt vmcnt(0) lgkmcnt(0)
	ds_write_b128 v141, v[86:89]
.LBB19_210:                             ;   in Loop: Header=BB19_14 Depth=1
	s_or_b64 exec, exec, s[26:27]
	v_lshl_add_u64 v[4:5], v[42:43], 2, v[18:19]
	v_lshlrev_b32_e32 v80, 2, v56
	v_mov_b32_e32 v81, v2
	v_lshl_add_u64 v[4:5], v[4:5], 0, v[80:81]
	v_cmp_lt_i32_e64 s[52:53], v142, v1
	v_lshl_add_u64 v[4:5], v[4:5], 0, s[34:35]
	v_mov_b32_e32 v3, s89
	v_mov_b32_e32 v20, s88
	v_cndmask_b32_e64 v5, v3, v5, s[52:53]
	v_cndmask_b32_e64 v4, v20, v4, s[52:53]
	flat_load_dwordx4 v[86:89], v[4:5]
	v_lshl_add_u64 v[4:5], v[44:45], 2, v[18:19]
	v_lshlrev_b32_e32 v24, 2, v58
	v_mov_b32_e32 v25, v2
	v_cmp_lt_i32_e64 s[48:49], v41, v1
	v_lshl_add_u64 v[4:5], v[4:5], 0, v[24:25]
	v_cmp_lt_i32_e64 s[50:51], v143, v1
	v_cndmask_b32_e64 v5, v3, v5, s[48:49]
	v_cndmask_b32_e64 v4, v20, v4, s[48:49]
	s_mov_b64 s[60:61], s[58:59]
	s_andn2_b64 vcc, exec, s[36:37]
	s_waitcnt vmcnt(0) lgkmcnt(0)
	ds_write_b128 v179, v[86:89]
	flat_load_dwordx4 v[86:89], v[4:5]
	v_lshl_add_u64 v[4:5], v[46:47], 2, v[18:19]
	v_lshl_add_u64 v[4:5], v[4:5], 0, v[24:25]
	v_cndmask_b32_e64 v5, v3, v5, s[50:51]
	v_cndmask_b32_e64 v4, v20, v4, s[50:51]
	v_add_u32_e32 v3, v59, v144
	s_waitcnt vmcnt(0) lgkmcnt(0)
	ds_write_b128 v180, v[86:89]
	flat_load_dwordx4 v[18:21], v[4:5]
	s_waitcnt vmcnt(0) lgkmcnt(0)
	ds_write_b128 v181, v[18:21]
	s_waitcnt lgkmcnt(0)
	s_barrier
	ds_read2_b64 v[18:21], v3 offset1:4
	s_waitcnt lgkmcnt(0)
	v_mfma_f32_16x16x16_f16 v[86:89], v[18:19], v[14:15], 0
	ds_read_b64 v[4:5], v3 offset:192
	v_mfma_f32_16x16x16_f16 v[18:21], v[20:21], v[16:17], v[86:89]
	s_nop 4
	ds_read2_b64 v[86:89], v3 offset0:8 offset1:12
	s_waitcnt lgkmcnt(0)
	v_mfma_f32_16x16x16_f16 v[18:21], v[86:87], v[10:11], v[18:21]
	v_mfma_f32_16x16x16_f16 v[18:21], v[88:89], v[12:13], v[18:21]
	ds_read2_b64 v[86:89], v3 offset0:16 offset1:20
	s_waitcnt lgkmcnt(0)
	v_mfma_f32_16x16x16_f16 v[18:21], v[86:87], v[6:7], v[18:21]
	v_mfma_f32_16x16x16_f16 v[18:21], v[88:89], v[8:9], v[18:21]
	;; [unrolled: 1-line block ×3, first 2 shown]
	v_add_u32_e32 v4, 0x1800, v3
	ds_read2_b64 v[86:89], v4 offset0:192 offset1:196
	s_waitcnt lgkmcnt(0)
	v_mfma_f32_16x16x16_f16 v[90:93], v[86:87], v[14:15], 0
	v_mfma_f32_16x16x16_f16 v[14:17], v[88:89], v[16:17], v[90:93]
	ds_read2_b64 v[86:89], v4 offset0:200 offset1:204
	s_waitcnt lgkmcnt(0)
	v_mfma_f32_16x16x16_f16 v[14:17], v[86:87], v[10:11], v[14:17]
	v_mfma_f32_16x16x16_f16 v[10:13], v[88:89], v[12:13], v[14:17]
	s_nop 5
	ds_read2_b64 v[14:17], v4 offset0:208 offset1:212
	s_waitcnt lgkmcnt(0)
	v_mfma_f32_16x16x16_f16 v[4:7], v[14:15], v[6:7], v[10:13]
	v_mfma_f32_16x16x16_f16 v[4:7], v[16:17], v[8:9], v[4:7]
	ds_read_b64 v[8:9], v3 offset:7872
	s_waitcnt lgkmcnt(0)
	s_barrier
	v_mfma_f32_16x16x16_f16 v[6:9], v[8:9], v[82:83], v[4:7]
	s_cbranch_vccnz .LBB19_212
; %bb.211:                              ;   in Loop: Header=BB19_14 Depth=1
	v_add_u32_e32 v3, 0x3c00, v146
	s_nop 0
	ds_read2_b32 v[4:5], v3 offset1:1
	ds_read_b32 v3, v148 offset:15360
	s_waitcnt lgkmcnt(1)
	v_cvt_f32_f16_e32 v10, v4
	v_cvt_f32_f16_sdwa v11, v4 dst_sel:DWORD dst_unused:UNUSED_PAD src0_sel:WORD_1
	v_cvt_f32_f16_e32 v4, v5
	v_cvt_f32_f16_sdwa v5, v5 dst_sel:DWORD dst_unused:UNUSED_PAD src0_sel:WORD_1
	v_pk_fma_f32 v[18:19], v[84:85], v[10:11], v[18:19] op_sel_hi:[0,1,1]
	v_pk_fma_f32 v[20:21], v[84:85], v[4:5], v[20:21] op_sel_hi:[0,1,1]
	s_waitcnt lgkmcnt(0)
	v_cvt_f32_f16_sdwa v5, v3 dst_sel:DWORD dst_unused:UNUSED_PAD src0_sel:WORD_1
	v_cvt_f32_f16_e32 v4, v3
	ds_read_b32 v3, v150 offset:15360
	v_pk_fma_f32 v[6:7], v[84:85], v[4:5], v[6:7] op_sel_hi:[0,1,1]
	s_waitcnt lgkmcnt(0)
	v_cvt_f32_f16_sdwa v11, v3 dst_sel:DWORD dst_unused:UNUSED_PAD src0_sel:WORD_1
	v_cvt_f32_f16_e32 v10, v3
	v_pk_fma_f32 v[8:9], v[84:85], v[10:11], v[8:9] op_sel_hi:[0,1,1]
.LBB19_212:                             ;   in Loop: Header=BB19_14 Depth=1
	v_add_f32_e32 v3, 0x40051340, v18
	s_nop 0
	v_max_f32_e32 v4, v85, v85
	v_max_f32_e32 v3, v4, v3
	v_cmp_lt_u32_e64 s[54:55], v145, v1
	v_add_f32_e32 v4, 0x40051340, v19
	v_cmp_lt_u32_e64 s[44:45], v182, v1
	v_cndmask_b32_e64 v3, v85, v3, s[54:55]
	v_max_f32_e32 v5, v3, v3
	v_max_f32_e32 v4, v5, v4
	v_cndmask_b32_e64 v3, v3, v4, s[44:45]
	v_add_f32_e32 v4, 0x40051340, v20
	v_max_f32_e32 v5, v3, v3
	v_max_f32_e32 v4, v5, v4
	v_cmp_lt_u32_e64 s[46:47], v183, v1
	v_cmp_lt_u32_e64 s[42:43], v184, v1
	v_cmp_lt_u32_e32 vcc, v147, v1
	v_cndmask_b32_e64 v3, v3, v4, s[46:47]
	v_add_f32_e32 v4, 0x40051340, v21
	v_max_f32_e32 v5, v3, v3
	v_max_f32_e32 v4, v5, v4
	v_cndmask_b32_e64 v3, v3, v4, s[42:43]
	v_add_f32_e32 v4, 0x40051340, v6
	v_max_f32_e32 v5, v3, v3
	v_max_f32_e32 v4, v5, v4
	v_cndmask_b32_e32 v3, v3, v4, vcc
	v_add_f32_e32 v4, 0x40051340, v7
	v_max_f32_e32 v5, v3, v3
	v_max_f32_e32 v4, v5, v4
	v_cmp_lt_u32_e64 s[36:37], v185, v1
	v_cmp_lt_u32_e64 s[38:39], v149, v1
	;; [unrolled: 1-line block ×3, first 2 shown]
	v_cndmask_b32_e64 v3, v3, v4, s[36:37]
	v_add_f32_e32 v4, 0x40051340, v8
	v_max_f32_e32 v5, v3, v3
	v_max_f32_e32 v4, v5, v4
	v_cndmask_b32_e64 v3, v3, v4, s[38:39]
	v_add_f32_e32 v4, 0x40051340, v9
	v_max_f32_e32 v5, v3, v3
	v_max_f32_e32 v4, v5, v4
	v_cndmask_b32_e64 v3, v3, v4, s[40:41]
	v_and_b32_e32 v4, 64, v243
	v_add_u32_e32 v4, 64, v4
	v_xor_b32_e32 v5, 32, v243
	v_cmp_lt_i32_e64 s[58:59], v5, v4
	s_nop 1
	v_cndmask_b32_e64 v5, v243, v5, s[58:59]
	v_lshlrev_b32_e32 v15, 2, v5
	ds_bpermute_b32 v5, v15, v3
	v_max_f32_e32 v3, v3, v3
	s_waitcnt lgkmcnt(0)
	v_max_f32_e32 v5, v5, v5
	v_max_f32_e32 v10, v3, v5
	v_xor_b32_e32 v3, 16, v243
	v_cmp_lt_i32_e64 s[58:59], v3, v4
	v_mul_hi_u32 v4, v22, s78
	s_nop 0
	v_cndmask_b32_e64 v3, v243, v3, s[58:59]
	v_lshlrev_b32_e32 v23, 2, v3
	ds_bpermute_b32 v11, v23, v10
	v_mul_lo_u32 v3, v22, s79
	v_add_u32_e32 v5, v4, v3
	v_mul_lo_u32 v4, v22, s78
	v_lshlrev_b64 v[4:5], 2, v[4:5]
	v_lshl_add_u64 v[12:13], s[84:85], 0, v[4:5]
	v_mov_b32_e32 v3, v2
	v_mov_b32_e32 v4, v2
	;; [unrolled: 1-line block ×3, first 2 shown]
	scratch_store_dwordx4 off, v[2:5], off
	s_and_saveexec_b64 s[26:27], s[98:99]
	s_cbranch_execz .LBB19_214
; %bb.213:                              ;   in Loop: Header=BB19_14 Depth=1
	v_lshl_add_u64 v[4:5], v[48:49], 2, v[12:13]
	v_lshlrev_b32_e32 v16, 2, v40
	v_mov_b32_e32 v17, v2
	v_lshl_add_u64 v[4:5], v[4:5], 0, v[16:17]
	s_mov_b64 s[30:31], 0xc0
	v_cmp_lt_i32_e64 s[58:59], v140, v1
	v_lshl_add_u64 v[4:5], v[4:5], 0, s[30:31]
	v_mov_b32_e32 v1, s89
	v_cndmask_b32_e64 v5, v1, v5, s[58:59]
	v_mov_b32_e32 v1, s88
	v_cndmask_b32_e64 v4, v1, v4, s[58:59]
	flat_load_dwordx4 v[86:89], v[4:5]
	s_waitcnt vmcnt(0) lgkmcnt(0)
	ds_write_b128 v141, v[86:89]
.LBB19_214:                             ;   in Loop: Header=BB19_14 Depth=1
	s_or_b64 exec, exec, s[26:27]
	v_lshl_add_u64 v[4:5], v[54:55], 2, v[12:13]
	v_mov_b32_e32 v81, v2
	v_lshl_add_u64 v[4:5], v[4:5], 0, v[80:81]
	v_lshl_add_u64 v[4:5], v[4:5], 0, s[34:35]
	v_mov_b32_e32 v14, s89
	v_mov_b32_e32 v22, s88
	v_cndmask_b32_e64 v5, v14, v5, s[52:53]
	v_cndmask_b32_e64 v4, v22, v4, s[52:53]
	flat_load_dwordx4 v[80:83], v[4:5]
	v_lshl_add_u64 v[16:17], v[52:53], 2, v[12:13]
	v_mov_b32_e32 v25, v2
	s_waitcnt lgkmcnt(0)
	v_max_f32_e32 v11, v11, v11
	v_max_f32_e32 v79, v10, v10
	v_lshl_add_u64 v[16:17], v[16:17], 0, v[24:25]
	v_cndmask_b32_e64 v84, v21, v21, s[44:45]
	v_cndmask_b32_e64 v86, v20, v20, s[44:45]
	v_lshl_add_u64 v[20:21], v[50:51], 2, v[12:13]
	v_max_f32_e32 v12, v79, v11
	v_cndmask_b32_e64 v17, v14, v17, s[48:49]
	v_cndmask_b32_e64 v16, v22, v16, s[48:49]
	v_sub_f32_e32 v11, v18, v12
	v_sub_f32_e32 v13, v19, v12
	v_lshl_add_u64 v[20:21], v[20:21], 0, v[24:25]
	v_cndmask_b32_e64 v21, v14, v21, s[50:51]
	v_cndmask_b32_e64 v20, v22, v20, s[50:51]
	v_mul_f32_e32 v14, 0x3fb8aa3b, v11
	v_sub_f32_e32 v24, v86, v12
	v_mul_f32_e32 v22, 0x3fb8aa3b, v13
	v_fma_f32 v93, v11, s67, -v14
	v_rndne_f32_e32 v94, v14
	v_cndmask_b32_e32 v87, v8, v8, vcc
	v_sub_f32_e32 v25, v84, v12
	v_mul_f32_e32 v86, 0x3fb8aa3b, v24
	v_fma_f32 v95, v13, s67, -v22
	v_rndne_f32_e32 v96, v22
	v_fmac_f32_e32 v93, 0x32a5705f, v11
	v_sub_f32_e32 v14, v14, v94
	v_cndmask_b32_e32 v88, v7, v7, vcc
	v_sub_f32_e32 v6, v6, v12
	v_sub_f32_e32 v84, v87, v12
	v_mul_f32_e32 v87, 0x3fb8aa3b, v25
	v_fma_f32 v97, v24, s67, -v86
	v_rndne_f32_e32 v98, v86
	v_fmac_f32_e32 v95, 0x32a5705f, v13
	v_sub_f32_e32 v22, v22, v96
	v_add_f32_e32 v14, v14, v93
	v_sub_f32_e32 v79, v88, v12
	v_mul_f32_e32 v88, 0x3fb8aa3b, v6
	v_fma_f32 v99, v25, s67, -v87
	v_cvt_i32_f32_e32 v94, v94
	v_fmac_f32_e32 v97, 0x32a5705f, v24
	v_sub_f32_e32 v86, v86, v98
	v_add_f32_e32 v22, v22, v95
	v_exp_f32_e32 v14, v14
	v_cndmask_b32_e32 v9, v9, v9, vcc
	v_mul_f32_e32 v89, 0x3fb8aa3b, v79
	v_cvt_i32_f32_e32 v96, v96
	v_fmac_f32_e32 v99, 0x32a5705f, v25
	v_add_f32_e32 v86, v86, v97
	v_exp_f32_e32 v22, v22
	v_sub_f32_e32 v9, v9, v12
	v_mul_f32_e32 v90, 0x3fb8aa3b, v84
	v_rndne_f32_e32 v100, v89
	v_cvt_i32_f32_e32 v98, v98
	v_exp_f32_e32 v86, v86
	v_sub_f32_e32 v85, v85, v12
	v_mul_f32_e32 v91, 0x3fb8aa3b, v9
	v_fma_f32 v101, v84, s67, -v90
	v_rndne_f32_e32 v102, v90
	v_mul_f32_e32 v92, 0x3fb8aa3b, v85
	v_fma_f32 v103, v9, s67, -v91
	v_rndne_f32_e32 v104, v91
	v_fmac_f32_e32 v101, 0x32a5705f, v84
	v_sub_f32_e32 v90, v90, v102
	v_ldexp_f32 v14, v14, v94
	v_cmp_ngt_f32_e64 s[48:49], s77, v11
	v_fma_f32 v105, v85, s67, -v92
	v_rndne_f32_e32 v106, v92
	v_fmac_f32_e32 v103, 0x32a5705f, v9
	v_sub_f32_e32 v91, v91, v104
	v_ldexp_f32 v22, v22, v96
	v_cndmask_b32_e64 v14, 0, v14, s[48:49]
	v_cmp_ngt_f32_e64 s[48:49], s77, v13
	v_cvt_i32_f32_e32 v102, v102
	v_fmac_f32_e32 v105, 0x32a5705f, v85
	v_sub_f32_e32 v92, v92, v106
	v_ldexp_f32 v86, v86, v98
	v_cndmask_b32_e64 v22, 0, v22, s[48:49]
	s_waitcnt vmcnt(0)
	ds_write_b128 v179, v[80:83]
	flat_load_dwordx4 v[16:19], v[16:17]
	v_rndne_f32_e32 v80, v87
	v_fma_f32 v81, v6, s67, -v88
	v_rndne_f32_e32 v82, v88
	v_sub_f32_e32 v87, v87, v80
	v_fma_f32 v83, v79, s67, -v89
	v_fmac_f32_e32 v81, 0x32a5705f, v6
	v_sub_f32_e32 v88, v88, v82
	v_add_f32_e32 v87, v87, v99
	v_cvt_i32_f32_e32 v80, v80
	v_fmac_f32_e32 v83, 0x32a5705f, v79
	v_sub_f32_e32 v89, v89, v100
	v_add_f32_e32 v81, v88, v81
	v_exp_f32_e32 v87, v87
	v_cvt_i32_f32_e32 v82, v82
	v_add_f32_e32 v83, v89, v83
	v_exp_f32_e32 v81, v81
	v_cvt_i32_f32_e32 v100, v100
	v_add_f32_e32 v88, v90, v101
	v_exp_f32_e32 v83, v83
	v_add_f32_e32 v89, v91, v103
	v_exp_f32_e32 v88, v88
	v_cmp_ngt_f32_e64 s[48:49], s77, v24
	v_cvt_i32_f32_e32 v104, v104
	v_add_f32_e32 v90, v92, v105
	v_exp_f32_e32 v89, v89
	v_ldexp_f32 v80, v87, v80
	v_cndmask_b32_e64 v86, 0, v86, s[48:49]
	v_cmp_ngt_f32_e64 s[48:49], s77, v25
	v_cvt_i32_f32_e32 v106, v106
	v_exp_f32_e32 v90, v90
	v_ldexp_f32 v81, v81, v82
	v_cndmask_b32_e64 v80, 0, v80, s[48:49]
	v_cmp_ngt_f32_e64 s[48:49], s77, v6
	v_ldexp_f32 v82, v83, v100
	v_ldexp_f32 v83, v88, v102
	v_cndmask_b32_e64 v81, 0, v81, s[48:49]
	v_cmp_ngt_f32_e64 s[48:49], s77, v79
	v_ldexp_f32 v87, v89, v104
	v_ldexp_f32 v88, v90, v106
	v_cndmask_b32_e64 v82, 0, v82, s[48:49]
	v_cmp_ngt_f32_e64 s[48:49], s77, v84
	v_mov_b32_e32 v1, s87
	v_mov_b32_e32 v7, s87
	v_cndmask_b32_e64 v83, 0, v83, s[48:49]
	v_cmp_ngt_f32_e64 s[48:49], s77, v9
	v_mov_b32_e32 v4, s87
	v_mov_b32_e32 v8, s87
	;; [unrolled: 1-line block ×5, first 2 shown]
	v_readlane_b32 s26, v255, 11
	v_readlane_b32 s27, v255, 12
	;; [unrolled: 1-line block ×3, first 2 shown]
	s_cmp_eq_u64 s[26:27], 0
	v_readlane_b32 s31, v254, 53
	s_cselect_b64 s[26:27], -1, 0
	s_xor_b64 s[30:31], s[30:31], -1
	s_or_b64 s[26:27], s[30:31], s[26:27]
	s_waitcnt vmcnt(0) lgkmcnt(0)
	ds_write_b128 v180, v[16:19]
	flat_load_dwordx4 v[18:21], v[20:21]
	v_cndmask_b32_e64 v16, 0, v87, s[48:49]
	v_cmp_ngt_f32_e64 s[48:49], s77, v85
	s_waitcnt vmcnt(0) lgkmcnt(0)
	ds_write_b128 v181, v[18:21]
	v_cndmask_b32_e64 v17, 0, v88, s[48:49]
	v_cmp_nlt_f32_e64 s[48:49], s71, v11
	s_waitcnt lgkmcnt(0)
	s_barrier
	v_cndmask_b32_e64 v11, v241, v14, s[48:49]
	v_cmp_nlt_f32_e64 s[48:49], s71, v13
	s_nop 1
	v_cndmask_b32_e64 v13, v241, v22, s[48:49]
	v_cmp_nlt_f32_e64 s[48:49], s71, v24
	v_cndmask_b32_e64 v1, v1, v13, s[44:45]
	v_cvt_f16_f32_e32 v1, v1
	v_cndmask_b32_e64 v14, v241, v86, s[48:49]
	v_cmp_nlt_f32_e64 s[48:49], s71, v25
	v_cndmask_b32_e64 v4, v4, v14, s[46:47]
	v_cvt_f16_f32_e32 v4, v4
	v_cndmask_b32_e64 v22, v241, v80, s[48:49]
	v_cmp_nlt_f32_e64 s[48:49], s71, v6
	v_cndmask_b32_e64 v6, 0, v11, s[54:55]
	v_cndmask_b32_e64 v5, v5, v22, s[42:43]
	;; [unrolled: 1-line block ×3, first 2 shown]
	v_cmp_nlt_f32_e64 s[48:49], s71, v79
	v_cvt_f16_f32_e32 v5, v5
	v_cndmask_b32_e32 v10, v10, v24, vcc
	v_cndmask_b32_e64 v25, v241, v82, s[48:49]
	v_cmp_nlt_f32_e64 s[48:49], s71, v84
	v_cndmask_b32_e64 v7, v7, v25, s[36:37]
	v_cvt_f16_f32_e32 v82, v7
	v_cndmask_b32_e64 v79, v241, v83, s[48:49]
	v_cmp_nlt_f32_e64 s[48:49], s71, v9
	v_cndmask_b32_e64 v8, v8, v79, s[38:39]
	v_cvt_f16_f32_e32 v7, v6
	v_cndmask_b32_e64 v80, v241, v16, s[48:49]
	v_cmp_nlt_f32_e64 s[48:49], s71, v85
	v_cvt_f16_f32_e32 v83, v8
	v_pack_b32_f16 v16, v7, v1
	v_cndmask_b32_e64 v9, v241, v17, s[48:49]
	v_cmp_le_f32_e64 s[48:49], s66, v85
	v_pack_b32_f16 v17, v4, v5
	v_cndmask_b32_e64 v3, v3, v80, s[40:41]
	v_cndmask_b32_e64 v81, 0, v9, s[48:49]
	v_add_f32_e32 v9, v13, v6
	v_cvt_f16_f32_e32 v11, v81
	v_cndmask_b32_e64 v6, v6, v9, s[44:45]
	v_add_f32_e32 v8, v6, v14
	v_cndmask_b32_e64 v6, v6, v8, s[46:47]
	v_add_f32_e32 v8, v6, v22
	v_pk_mul_f16 v9, v11, v246 op_sel_hi:[0,1]
	v_pk_mul_f16 v14, v11, v251 op_sel_hi:[0,1]
	v_cndmask_b32_e64 v1, v6, v8, s[42:43]
	v_cvt_f32_f16_e32 v4, v9
	v_cvt_f32_f16_sdwa v5, v9 dst_sel:DWORD dst_unused:UNUSED_PAD src0_sel:WORD_1
	v_cvt_f32_f16_e32 v8, v14
	v_cvt_f32_f16_sdwa v9, v14 dst_sel:DWORD dst_unused:UNUSED_PAD src0_sel:WORD_1
	v_add_f32_e32 v14, v24, v1
	v_cndmask_b32_e32 v1, v1, v14, vcc
	v_add_f32_e32 v14, v25, v1
	v_cndmask_b32_e64 v1, v1, v14, s[36:37]
	v_add_f32_e32 v14, v79, v1
	v_cndmask_b32_e64 v1, v1, v14, s[38:39]
	v_cvt_f16_f32_e32 v13, v10
	v_pk_mul_f16 v10, v11, v245 op_sel_hi:[0,1]
	v_pk_mul_f16 v22, v11, v250 op_sel_hi:[0,1]
	v_add_f32_e32 v14, v80, v1
	v_pk_mul_f16 v84, v11, v253 op_sel_hi:[0,1]
	v_pk_mul_f16 v85, v11, v252 op_sel_hi:[0,1]
	;; [unrolled: 1-line block ×10, first 2 shown]
	v_cvt_f32_f16_e32 v6, v10
	v_cvt_f32_f16_sdwa v7, v10 dst_sel:DWORD dst_unused:UNUSED_PAD src0_sel:WORD_1
	v_cvt_f32_f16_e32 v10, v22
	v_cvt_f32_f16_sdwa v11, v22 dst_sel:DWORD dst_unused:UNUSED_PAD src0_sel:WORD_1
	v_cndmask_b32_e64 v22, v1, v14, s[40:41]
	v_fmac_f32_e32 v22, v78, v81
	ds_read_u16 v1, v155 offset:240
	ds_read_u16 v14, v155 offset:480
	;; [unrolled: 1-line block ×7, first 2 shown]
	ds_read_u16 v18, v151
	ds_read_u16 v24, v151 offset:32
	ds_read_u16 v81, v151 offset:64
	;; [unrolled: 1-line block ×7, first 2 shown]
	ds_read_u16 v97, v153
	ds_read_u16 v98, v153 offset:32
	ds_read_u16 v99, v153 offset:64
	;; [unrolled: 1-line block ×7, first 2 shown]
	s_waitcnt lgkmcnt(7)
	v_perm_b32 v19, v97, v19, s69
	v_perm_b32 v18, v25, v18, s69
	;; [unrolled: 1-line block ×3, first 2 shown]
	s_waitcnt lgkmcnt(6)
	v_perm_b32 v25, v98, v14, s69
	v_mfma_f32_16x16x16_f16 v[4:7], v[18:19], v[16:17], v[4:7]
	v_cvt_f16_f32_e32 v3, v3
	v_perm_b32 v21, v21, v20, s69
	s_waitcnt lgkmcnt(1)
	v_perm_b32 v20, v80, v103, s69
	s_nop 2
	v_cvt_f16_f32_e32 v1, v4
	v_cvt_f16_f32_e32 v5, v5
	;; [unrolled: 1-line block ×4, first 2 shown]
	v_cvt_f32_f16_e32 v4, v1
	v_cvt_f32_f16_e32 v5, v5
	;; [unrolled: 1-line block ×4, first 2 shown]
	v_mfma_f32_16x16x16_f16 v[8:11], v[24:25], v[16:17], v[8:11]
	v_pack_b32_f16 v24, v13, v82
	v_pack_b32_f16 v25, v83, v3
	ds_read_u16 v97, v153 offset:192
	v_perm_b32 v18, v79, v78, s69
	v_mfma_f32_16x16x16_f16 v[4:7], v[20:21], v[24:25], v[4:7]
	s_nop 1
	v_cvt_f16_f32_e32 v1, v8
	v_cvt_f16_f32_e32 v10, v10
	v_cvt_f16_f32_e32 v11, v11
	v_cvt_f32_f16_e32 v20, v85
	v_cvt_f32_f16_e32 v8, v1
	v_cvt_f16_f32_e32 v3, v4
	v_cvt_f16_f32_e32 v4, v5
	;; [unrolled: 1-line block ×3, first 2 shown]
	v_cvt_f32_f16_e32 v10, v10
	v_cvt_f32_f16_e32 v11, v11
	v_cvt_f32_f16_sdwa v21, v85 dst_sel:DWORD dst_unused:UNUSED_PAD src0_sel:WORD_1
	v_cvt_f32_f16_e32 v9, v5
	ds_read_u16 v1, v157 offset:480
	ds_read_u16 v5, v158 offset:7680
	;; [unrolled: 1-line block ×8, first 2 shown]
	s_waitcnt lgkmcnt(6)
	v_perm_b32 v19, v5, v1, s69
	v_cvt_f16_f32_e32 v1, v6
	v_cvt_f16_f32_e32 v5, v7
	v_mfma_f32_16x16x16_f16 v[6:9], v[18:19], v[24:25], v[8:11]
	v_cvt_f32_f16_e32 v18, v84
	s_waitcnt lgkmcnt(4)
	s_nop 0
	v_perm_b32 v11, v99, v14, s69
	v_perm_b32 v10, v13, v81, s69
	v_cvt_f32_f16_sdwa v19, v84 dst_sel:DWORD dst_unused:UNUSED_PAD src0_sel:WORD_1
	v_pack_b32_f16 v4, v3, v4
	v_pack_b32_f16 v1, v1, v5
	v_mfma_f32_16x16x16_f16 v[18:21], v[10:11], v[16:17], v[18:21]
	v_cvt_f16_f32_e32 v3, v6
	v_cvt_f16_f32_e32 v5, v7
	s_waitcnt lgkmcnt(0)
	v_perm_b32 v11, v98, v83, s69
	ds_bpermute_b32 v15, v15, v22
	s_nop 1
	v_cvt_f16_f32_e32 v10, v20
	v_cvt_f16_f32_e32 v6, v18
	;; [unrolled: 1-line block ×4, first 2 shown]
	v_cvt_f32_f16_e32 v20, v10
	v_perm_b32 v10, v82, v80, s69
	v_cvt_f32_f16_e32 v18, v6
	v_cvt_f32_f16_e32 v19, v7
	;; [unrolled: 1-line block ×3, first 2 shown]
	v_pack_b32_f16 v6, v3, v5
	ds_read_u16 v3, v163 offset:240
	ds_read_u16 v5, v163 offset:480
	;; [unrolled: 1-line block ×8, first 2 shown]
	s_waitcnt lgkmcnt(6)
	v_perm_b32 v79, v100, v5, s69
	v_perm_b32 v78, v3, v94, s69
	v_cvt_f16_f32_e32 v7, v8
	v_cvt_f16_f32_e32 v13, v9
	v_mfma_f32_16x16x16_f16 v[8:11], v[10:11], v[24:25], v[18:21]
	v_pack_b32_f16 v3, v7, v13
	s_nop 1
	v_cvt_f32_f16_e32 v18, v86
	v_cvt_f32_f16_sdwa v19, v86 dst_sel:DWORD dst_unused:UNUSED_PAD src0_sel:WORD_1
	v_cvt_f32_f16_e32 v20, v87
	v_cvt_f32_f16_sdwa v21, v87 dst_sel:DWORD dst_unused:UNUSED_PAD src0_sel:WORD_1
	v_cvt_f16_f32_e32 v5, v8
	v_cvt_f16_f32_e32 v7, v9
	v_mfma_f32_16x16x16_f16 v[18:21], v[78:79], v[16:17], v[18:21]
	s_waitcnt lgkmcnt(2)
	v_perm_b32 v79, v82, v81, s69
	v_perm_b32 v78, v80, v14, s69
	v_cvt_f32_f16_e32 v80, v89
	v_cvt_f32_f16_sdwa v81, v89 dst_sel:DWORD dst_unused:UNUSED_PAD src0_sel:WORD_1
	s_nop 1
	v_cvt_f16_f32_e32 v8, v18
	v_cvt_f16_f32_e32 v9, v19
	;; [unrolled: 1-line block ×4, first 2 shown]
	v_cvt_f32_f16_e32 v18, v8
	v_cvt_f32_f16_e32 v19, v9
	;; [unrolled: 1-line block ×4, first 2 shown]
	v_cvt_f16_f32_e32 v9, v10
	v_cvt_f16_f32_e32 v13, v11
	s_waitcnt lgkmcnt(0)
	v_perm_b32 v11, v101, v84, s69
	v_perm_b32 v10, v83, v95, s69
	v_mfma_f32_16x16x16_f16 v[18:21], v[78:79], v[24:25], v[18:21]
	v_cvt_f32_f16_e32 v78, v88
	v_cvt_f32_f16_sdwa v79, v88 dst_sel:DWORD dst_unused:UNUSED_PAD src0_sel:WORD_1
	v_pack_b32_f16 v8, v5, v7
	v_pack_b32_f16 v5, v9, v13
	v_mfma_f32_16x16x16_f16 v[78:81], v[10:11], v[16:17], v[78:81]
	s_nop 1
	v_cvt_f16_f32_e32 v7, v18
	v_cvt_f16_f32_e32 v9, v19
	s_nop 2
	v_cvt_f16_f32_e32 v10, v78
	v_cvt_f16_f32_e32 v11, v79
	;; [unrolled: 1-line block ×4, first 2 shown]
	v_cvt_f32_f16_e32 v78, v10
	v_cvt_f32_f16_e32 v79, v11
	;; [unrolled: 1-line block ×3, first 2 shown]
	ds_read_u16 v10, v168 offset:7680
	ds_read_u16 v11, v169 offset:240
	;; [unrolled: 1-line block ×8, first 2 shown]
	s_waitcnt lgkmcnt(4)
	v_perm_b32 v19, v18, v13, s69
	v_perm_b32 v18, v11, v10, s69
	v_cvt_f32_f16_e32 v81, v14
	s_waitcnt lgkmcnt(2)
	v_perm_b32 v83, v102, v83, s69
	v_perm_b32 v82, v82, v96, s69
	v_cvt_f16_f32_e32 v11, v20
	v_cvt_f16_f32_e32 v13, v21
	v_mfma_f32_16x16x16_f16 v[18:21], v[18:19], v[24:25], v[78:81]
	v_pack_b32_f16 v10, v7, v9
	v_pack_b32_f16 v7, v11, v13
	s_nop 0
	v_cvt_f32_f16_e32 v78, v90
	v_cvt_f32_f16_sdwa v79, v90 dst_sel:DWORD dst_unused:UNUSED_PAD src0_sel:WORD_1
	v_cvt_f32_f16_e32 v80, v91
	v_cvt_f32_f16_sdwa v81, v91 dst_sel:DWORD dst_unused:UNUSED_PAD src0_sel:WORD_1
	v_cvt_f16_f32_e32 v9, v18
	v_cvt_f16_f32_e32 v11, v19
	v_mfma_f32_16x16x16_f16 v[78:81], v[82:83], v[16:17], v[78:81]
	s_nop 6
	v_cvt_f16_f32_e32 v13, v78
	v_cvt_f16_f32_e32 v14, v79
	;; [unrolled: 1-line block ×4, first 2 shown]
	v_cvt_f32_f16_e32 v78, v13
	v_cvt_f32_f16_e32 v79, v14
	;; [unrolled: 1-line block ×3, first 2 shown]
	ds_read_u16 v13, v173 offset:480
	ds_read_u16 v14, v174 offset:7680
	;; [unrolled: 1-line block ×8, first 2 shown]
	s_waitcnt lgkmcnt(6)
	v_perm_b32 v19, v14, v13, s69
	v_perm_b32 v18, v85, v84, s69
	v_cvt_f32_f16_e32 v81, v81
	s_waitcnt lgkmcnt(4)
	v_perm_b32 v83, v97, v83, s69
	v_perm_b32 v82, v82, v104, s69
	v_cvt_f16_f32_e32 v13, v20
	v_cvt_f16_f32_e32 v84, v21
	v_mfma_f32_16x16x16_f16 v[18:21], v[18:19], v[24:25], v[78:81]
	v_pack_b32_f16 v14, v9, v11
	s_waitcnt lgkmcnt(0)
	v_pack_b32_f16 v9, v13, v84
	v_cvt_f32_f16_e32 v78, v92
	v_cvt_f32_f16_sdwa v79, v92 dst_sel:DWORD dst_unused:UNUSED_PAD src0_sel:WORD_1
	v_cvt_f32_f16_e32 v80, v93
	v_cvt_f32_f16_sdwa v81, v93 dst_sel:DWORD dst_unused:UNUSED_PAD src0_sel:WORD_1
	v_cvt_f16_f32_e32 v11, v18
	v_cvt_f16_f32_e32 v13, v19
	v_mfma_f32_16x16x16_f16 v[16:19], v[82:83], v[16:17], v[78:81]
	v_cvt_f16_f32_e32 v82, v21
	s_barrier
	s_nop 4
	v_cvt_f16_f32_e32 v18, v18
	v_cvt_f16_f32_e32 v16, v16
	;; [unrolled: 1-line block ×4, first 2 shown]
	v_cvt_f32_f16_e32 v80, v18
	v_perm_b32 v19, v89, v88, s69
	v_perm_b32 v18, v87, v86, s69
	v_cvt_f32_f16_e32 v78, v16
	v_cvt_f32_f16_e32 v79, v17
	;; [unrolled: 1-line block ×3, first 2 shown]
	v_cvt_f16_f32_e32 v17, v20
	v_pack_b32_f16 v16, v11, v13
	v_mfma_f32_16x16x16_f16 v[18:21], v[18:19], v[24:25], v[78:81]
	v_pack_b32_f16 v11, v17, v82
	s_nop 5
	v_cvt_f16_f32_e32 v13, v18
	v_cvt_f16_f32_e32 v18, v19
	;; [unrolled: 1-line block ×4, first 2 shown]
	v_pack_b32_f16 v18, v13, v18
	v_add_f32_e32 v13, v22, v15
	ds_bpermute_b32 v20, v23, v13
	v_pack_b32_f16 v15, v17, v19
	s_waitcnt lgkmcnt(0)
	v_add_f32_e32 v13, v13, v20
	s_and_saveexec_b64 s[30:31], s[26:27]
	s_xor_b64 s[26:27], exec, s[30:31]
	s_or_saveexec_b64 s[26:27], s[26:27]
	s_mov_b64 s[42:43], s[60:61]
	s_xor_b64 exec, exec, s[26:27]
	s_cbranch_execz .LBB19_216
; %bb.215:                              ;   in Loop: Header=BB19_14 Depth=1
	v_readlane_b32 s30, v255, 11
	v_readlane_b32 s31, v255, 12
	v_max_f32_e32 v20, v12, v12
	s_nop 3
	global_load_dword v17, v2, s[30:31]
	s_waitcnt vmcnt(0)
	v_max_f32_e32 v19, v17, v17
	v_max_f32_e32 v20, v20, v19
	v_sub_f32_e32 v12, v12, v20
	v_mul_f32_e32 v19, 0x3fb8aa3b, v12
	v_fma_f32 v21, v12, s67, -v19
	v_rndne_f32_e32 v22, v19
	v_fmac_f32_e32 v21, 0x32a5705f, v12
	v_sub_f32_e32 v19, v19, v22
	v_add_f32_e32 v19, v19, v21
	v_exp_f32_e32 v19, v19
	v_cvt_i32_f32_e32 v21, v22
	v_cmp_ngt_f32_e32 vcc, s77, v12
	v_sub_f32_e32 v17, v17, v20
	v_ldexp_f32 v19, v19, v21
	v_cndmask_b32_e32 v19, 0, v19, vcc
	v_cmp_nlt_f32_e32 vcc, s71, v12
	s_nop 1
	v_cndmask_b32_e32 v19, v241, v19, vcc
	v_cmp_le_f32_e32 vcc, s66, v12
	s_nop 1
	v_cndmask_b32_e32 v12, 0, v19, vcc
	v_cvt_f16_f32_e32 v19, v12
	v_cmp_ngt_f32_e32 vcc, s77, v17
	v_pk_mul_f16 v4, v19, v4 op_sel_hi:[0,1]
	v_pk_mul_f16 v1, v19, v1 op_sel_hi:[0,1]
	;; [unrolled: 1-line block ×14, first 2 shown]
	v_mul_f32_e32 v19, 0x3fb8aa3b, v17
	v_fma_f32 v21, v17, s67, -v19
	v_rndne_f32_e32 v22, v19
	v_fmac_f32_e32 v21, 0x32a5705f, v17
	v_sub_f32_e32 v19, v19, v22
	v_add_f32_e32 v19, v19, v21
	v_exp_f32_e32 v19, v19
	v_cvt_i32_f32_e32 v21, v22
	v_ldexp_f32 v19, v19, v21
	v_cndmask_b32_e32 v19, 0, v19, vcc
	v_cmp_nlt_f32_e32 vcc, s71, v17
	s_nop 1
	v_cndmask_b32_e32 v21, v241, v19, vcc
	v_fmac_f32_e32 v21, v13, v12
	v_mov_b64_e32 v[12:13], v[20:21]
.LBB19_216:                             ;   in Loop: Header=BB19_14 Depth=1
	s_or_b64 exec, exec, s[26:27]
	s_mov_b64 s[26:27], exec
	v_readlane_b32 s30, v254, 56
	v_readlane_b32 s31, v254, 57
	s_and_b64 s[30:31], s[26:27], s[30:31]
	s_mov_b64 exec, s[30:31]
	s_cbranch_execz .LBB19_218
; %bb.217:                              ;   in Loop: Header=BB19_14 Depth=1
	v_add_u32_e32 v17, 0, v187
	ds_write2_b32 v17, v12, v13 offset0:56 offset1:57
.LBB19_218:                             ;   in Loop: Header=BB19_14 Depth=1
	s_or_b64 exec, exec, s[26:27]
	s_waitcnt lgkmcnt(0)
	s_barrier
	s_mov_b64 s[26:27], exec
	v_readlane_b32 s30, v254, 54
	v_readlane_b32 s31, v254, 55
	s_and_b64 s[30:31], s[26:27], s[30:31]
	s_xor_b64 s[26:27], s[30:31], s[26:27]
	s_mov_b64 exec, s[30:31]
	s_cbranch_execz .LBB19_220
; %bb.219:                              ;   in Loop: Header=BB19_14 Depth=1
	s_barrier
	s_waitcnt lgkmcnt(0)
                                        ; implicit-def: $vgpr23
.LBB19_220:                             ;   in Loop: Header=BB19_14 Depth=1
	s_andn2_saveexec_b64 s[26:27], s[26:27]
	s_cbranch_execz .LBB19_224
; %bb.221:                              ;   in Loop: Header=BB19_14 Depth=1
	v_add_u32_e32 v17, 0, v188
	ds_read_b64 v[12:13], v17 offset:224
	s_waitcnt lgkmcnt(0)
	s_barrier
	ds_bpermute_b32 v19, v23, v12
	v_max_f32_e32 v20, v12, v12
	s_waitcnt lgkmcnt(0)
	v_max_f32_e32 v19, v19, v19
	v_max_f32_e32 v19, v20, v19
	v_sub_f32_e32 v12, v12, v19
	v_mul_f32_e32 v19, 0x3fb8aa3b, v12
	v_fma_f32 v20, v12, s67, -v19
	v_rndne_f32_e32 v21, v19
	v_fmac_f32_e32 v20, 0x32a5705f, v12
	v_sub_f32_e32 v19, v19, v21
	v_add_f32_e32 v19, v19, v20
	v_cvt_i32_f32_e32 v21, v21
	v_exp_f32_e32 v19, v19
	v_cmp_ngt_f32_e32 vcc, s77, v12
	v_ldexp_f32 v19, v19, v21
	s_nop 0
	v_cndmask_b32_e32 v19, 0, v19, vcc
	v_cmp_nlt_f32_e32 vcc, s71, v12
	s_nop 1
	v_cndmask_b32_e32 v12, v241, v19, vcc
	v_mul_f32_e32 v13, v13, v12
	ds_bpermute_b32 v19, v23, v13
	s_mov_b64 s[30:31], exec
	v_readlane_b32 s36, v254, 58
	v_readlane_b32 s37, v254, 59
	s_and_b64 s[36:37], s[30:31], s[36:37]
	s_mov_b64 exec, s[36:37]
	s_cbranch_execz .LBB19_223
; %bb.222:                              ;   in Loop: Header=BB19_14 Depth=1
	s_waitcnt lgkmcnt(0)
	v_add_f32_e32 v13, v13, v19
	ds_write_b64 v17, v[12:13] offset:224
.LBB19_223:                             ;   in Loop: Header=BB19_14 Depth=1
	s_or_b64 exec, exec, s[30:31]
.LBB19_224:                             ;   in Loop: Header=BB19_14 Depth=1
	s_or_b64 exec, exec, s[26:27]
	ds_write2_b32 v189, v4, v1 offset1:1
	ds_write2_b32 v189, v6, v3 offset0:8 offset1:9
	ds_write2_b32 v189, v8, v5 offset0:16 offset1:17
	;; [unrolled: 1-line block ×6, first 2 shown]
	s_waitcnt lgkmcnt(0)
	s_barrier
	s_mov_b64 s[26:27], exec
	v_readlane_b32 s30, v254, 52
	v_readlane_b32 s31, v254, 53
	s_and_b64 s[30:31], s[26:27], s[30:31]
	s_mov_b64 exec, s[30:31]
	s_cbranch_execz .LBB19_12
; %bb.225:                              ;   in Loop: Header=BB19_14 Depth=1
	v_add_u32_e32 v1, s62, v190
	v_cmp_gt_i32_e32 vcc, s76, v1
	v_mov_b32_e32 v3, 0x47
	s_and_saveexec_b64 s[30:31], vcc
	s_cbranch_execz .LBB19_227
; %bb.226:                              ;   in Loop: Header=BB19_14 Depth=1
	v_add_u32_e32 v3, 0, v199
	ds_read2_b32 v[4:5], v3 offset0:56 offset1:57
	ds_read2st64_b32 v[6:7], v200 offset1:15
	ds_read_b32 v8, v3 offset:4064
	v_mad_u64_u32 v[10:11], s[36:37], v1, s65, v[30:31]
	v_ashrrev_i32_e32 v11, 31, v10
	s_waitcnt lgkmcnt(1)
	v_cvt_f32_f16_sdwa v13, v6 dst_sel:DWORD dst_unused:UNUSED_PAD src0_sel:WORD_1
	v_cvt_f32_f16_e32 v12, v6
	v_cvt_f32_f16_sdwa v15, v7 dst_sel:DWORD dst_unused:UNUSED_PAD src0_sel:WORD_1
	v_cvt_f32_f16_e32 v14, v7
	v_lshl_add_u64 v[10:11], v[10:11], 3, s[42:43]
	v_pk_fma_f32 v[12:13], v[4:5], v[12:13], 0 op_sel_hi:[0,1,0]
	s_waitcnt lgkmcnt(0)
	v_pk_fma_f32 v[6:7], v[8:9], v[14:15], v[12:13] op_sel_hi:[0,1,1]
	v_div_scale_f32 v1, s[36:37], v5, v5, v7
	v_rcp_f32_e32 v3, v1
	s_nop 0
	v_fma_f32 v4, -v1, v3, 1.0
	v_fmac_f32_e32 v3, v4, v3
	v_div_scale_f32 v4, vcc, v7, v5, v7
	v_mul_f32_e32 v8, v4, v3
	v_fma_f32 v9, -v1, v8, v4
	v_fmac_f32_e32 v8, v9, v3
	v_fma_f32 v1, -v1, v8, v4
	v_div_fmas_f32 v1, v1, v3, v8
	v_div_fixup_f32 v7, v1, v5, v7
	v_div_scale_f32 v1, s[36:37], v5, v5, v6
	v_rcp_f32_e32 v3, v1
	s_nop 0
	v_fma_f32 v4, -v1, v3, 1.0
	v_fmac_f32_e32 v3, v4, v3
	v_div_scale_f32 v4, vcc, v6, v5, v6
	v_mul_f32_e32 v8, v4, v3
	v_fma_f32 v9, -v1, v8, v4
	v_fmac_f32_e32 v8, v9, v3
	v_fma_f32 v1, -v1, v8, v4
	v_div_fmas_f32 v1, v1, v3, v8
	v_div_fixup_f32 v6, v1, v5, v6
	v_mov_b32_e32 v3, 0
	global_store_dwordx2 v[10:11], v[6:7], off
.LBB19_227:                             ;   in Loop: Header=BB19_14 Depth=1
	s_or_b64 exec, exec, s[30:31]
	v_cmp_gt_i32_e32 vcc, s70, v3
	s_mov_b64 s[36:37], -1
	s_and_saveexec_b64 s[30:31], vcc
; %bb.228:                              ;   in Loop: Header=BB19_14 Depth=1
	v_cmp_eq_u32_e32 vcc, 0, v3
	s_orn2_b64 s[36:37], vcc, exec
; %bb.229:                              ;   in Loop: Header=BB19_14 Depth=1
	s_or_b64 exec, exec, s[30:31]
	s_and_saveexec_b64 s[30:31], s[36:37]
	s_cbranch_execz .LBB19_262
; %bb.230:                              ;   in Loop: Header=BB19_14 Depth=1
	v_add_u32_e32 v1, s62, v201
	v_cmp_gt_i32_e32 vcc, s76, v1
	v_mov_b32_e32 v3, 0x47
	s_and_saveexec_b64 s[36:37], vcc
	s_cbranch_execz .LBB19_232
; %bb.231:                              ;   in Loop: Header=BB19_14 Depth=1
	v_add_u32_e32 v3, 0, v202
	ds_read2_b32 v[4:5], v3 offset0:56 offset1:57
	ds_read2st64_b32 v[6:7], v203 offset1:15
	ds_read_b32 v8, v3 offset:4064
	v_mad_u64_u32 v[10:11], s[38:39], v1, s65, v[30:31]
	v_ashrrev_i32_e32 v11, 31, v10
	s_waitcnt lgkmcnt(1)
	v_cvt_f32_f16_sdwa v13, v6 dst_sel:DWORD dst_unused:UNUSED_PAD src0_sel:WORD_1
	v_cvt_f32_f16_e32 v12, v6
	v_cvt_f32_f16_sdwa v15, v7 dst_sel:DWORD dst_unused:UNUSED_PAD src0_sel:WORD_1
	v_cvt_f32_f16_e32 v14, v7
	v_lshl_add_u64 v[10:11], v[10:11], 3, s[42:43]
	v_pk_fma_f32 v[12:13], v[4:5], v[12:13], 0 op_sel_hi:[0,1,0]
	s_waitcnt lgkmcnt(0)
	v_pk_fma_f32 v[6:7], v[8:9], v[14:15], v[12:13] op_sel_hi:[0,1,1]
	v_div_scale_f32 v1, s[38:39], v5, v5, v7
	v_rcp_f32_e32 v3, v1
	s_nop 0
	v_fma_f32 v4, -v1, v3, 1.0
	v_fmac_f32_e32 v3, v4, v3
	v_div_scale_f32 v4, vcc, v7, v5, v7
	v_mul_f32_e32 v8, v4, v3
	v_fma_f32 v9, -v1, v8, v4
	v_fmac_f32_e32 v8, v9, v3
	v_fma_f32 v1, -v1, v8, v4
	v_div_fmas_f32 v1, v1, v3, v8
	v_div_fixup_f32 v7, v1, v5, v7
	v_div_scale_f32 v1, s[38:39], v5, v5, v6
	v_rcp_f32_e32 v3, v1
	s_nop 0
	v_fma_f32 v4, -v1, v3, 1.0
	v_fmac_f32_e32 v3, v4, v3
	v_div_scale_f32 v4, vcc, v6, v5, v6
	v_mul_f32_e32 v8, v4, v3
	v_fma_f32 v9, -v1, v8, v4
	v_fmac_f32_e32 v8, v9, v3
	v_fma_f32 v1, -v1, v8, v4
	v_div_fmas_f32 v1, v1, v3, v8
	v_div_fixup_f32 v6, v1, v5, v6
	v_mov_b32_e32 v3, 0
	global_store_dwordx2 v[10:11], v[6:7], off
.LBB19_232:                             ;   in Loop: Header=BB19_14 Depth=1
	s_or_b64 exec, exec, s[36:37]
	v_cmp_gt_i32_e32 vcc, s70, v3
	s_mov_b64 s[36:37], -1
	s_and_saveexec_b64 s[38:39], vcc
; %bb.233:                              ;   in Loop: Header=BB19_14 Depth=1
	v_cmp_eq_u32_e32 vcc, 0, v3
	s_orn2_b64 s[36:37], vcc, exec
; %bb.234:                              ;   in Loop: Header=BB19_14 Depth=1
	s_or_b64 exec, exec, s[38:39]
	s_and_b64 exec, exec, s[36:37]
	s_cbranch_execz .LBB19_262
; %bb.235:                              ;   in Loop: Header=BB19_14 Depth=1
	v_add_u32_e32 v1, s62, v204
	v_cmp_gt_i32_e32 vcc, s76, v1
	v_mov_b32_e32 v3, 0x47
	s_and_saveexec_b64 s[36:37], vcc
	s_cbranch_execz .LBB19_237
; %bb.236:                              ;   in Loop: Header=BB19_14 Depth=1
	v_add_u32_e32 v3, 0, v205
	ds_read2_b32 v[4:5], v3 offset0:56 offset1:57
	ds_read2st64_b32 v[6:7], v206 offset1:15
	ds_read_b32 v8, v3 offset:4064
	v_mad_u64_u32 v[10:11], s[38:39], v1, s65, v[30:31]
	v_ashrrev_i32_e32 v11, 31, v10
	s_waitcnt lgkmcnt(1)
	v_cvt_f32_f16_sdwa v13, v6 dst_sel:DWORD dst_unused:UNUSED_PAD src0_sel:WORD_1
	v_cvt_f32_f16_e32 v12, v6
	v_cvt_f32_f16_sdwa v15, v7 dst_sel:DWORD dst_unused:UNUSED_PAD src0_sel:WORD_1
	v_cvt_f32_f16_e32 v14, v7
	v_lshl_add_u64 v[10:11], v[10:11], 3, s[42:43]
	v_pk_fma_f32 v[12:13], v[4:5], v[12:13], 0 op_sel_hi:[0,1,0]
	s_waitcnt lgkmcnt(0)
	v_pk_fma_f32 v[6:7], v[8:9], v[14:15], v[12:13] op_sel_hi:[0,1,1]
	v_div_scale_f32 v1, s[38:39], v5, v5, v7
	v_rcp_f32_e32 v3, v1
	s_nop 0
	v_fma_f32 v4, -v1, v3, 1.0
	v_fmac_f32_e32 v3, v4, v3
	v_div_scale_f32 v4, vcc, v7, v5, v7
	v_mul_f32_e32 v8, v4, v3
	v_fma_f32 v9, -v1, v8, v4
	v_fmac_f32_e32 v8, v9, v3
	v_fma_f32 v1, -v1, v8, v4
	v_div_fmas_f32 v1, v1, v3, v8
	v_div_fixup_f32 v7, v1, v5, v7
	v_div_scale_f32 v1, s[38:39], v5, v5, v6
	v_rcp_f32_e32 v3, v1
	s_nop 0
	v_fma_f32 v4, -v1, v3, 1.0
	v_fmac_f32_e32 v3, v4, v3
	v_div_scale_f32 v4, vcc, v6, v5, v6
	v_mul_f32_e32 v8, v4, v3
	v_fma_f32 v9, -v1, v8, v4
	v_fmac_f32_e32 v8, v9, v3
	v_fma_f32 v1, -v1, v8, v4
	v_div_fmas_f32 v1, v1, v3, v8
	v_div_fixup_f32 v6, v1, v5, v6
	v_mov_b32_e32 v3, 0
	global_store_dwordx2 v[10:11], v[6:7], off
.LBB19_237:                             ;   in Loop: Header=BB19_14 Depth=1
	s_or_b64 exec, exec, s[36:37]
	v_cmp_gt_i32_e32 vcc, s70, v3
	s_mov_b64 s[36:37], -1
	s_and_saveexec_b64 s[38:39], vcc
; %bb.238:                              ;   in Loop: Header=BB19_14 Depth=1
	v_cmp_eq_u32_e32 vcc, 0, v3
	s_orn2_b64 s[36:37], vcc, exec
; %bb.239:                              ;   in Loop: Header=BB19_14 Depth=1
	s_or_b64 exec, exec, s[38:39]
	s_and_b64 exec, exec, s[36:37]
	s_cbranch_execz .LBB19_262
; %bb.240:                              ;   in Loop: Header=BB19_14 Depth=1
	v_add_u32_e32 v1, s62, v207
	v_cmp_gt_i32_e32 vcc, s76, v1
	v_mov_b32_e32 v3, 0x47
	s_and_saveexec_b64 s[36:37], vcc
	s_cbranch_execz .LBB19_242
; %bb.241:                              ;   in Loop: Header=BB19_14 Depth=1
	scratch_load_dword v3, off, off offset:16 ; 4-byte Folded Reload
	scratch_load_dword v6, off, off offset:20 ; 4-byte Folded Reload
	v_mad_u64_u32 v[10:11], s[38:39], v1, s65, v[30:31]
	v_ashrrev_i32_e32 v11, 31, v10
	v_lshl_add_u64 v[10:11], v[10:11], 3, s[42:43]
	s_waitcnt vmcnt(1)
	v_add_u32_e32 v3, 0, v3
	ds_read2_b32 v[4:5], v3 offset0:56 offset1:57
	s_waitcnt vmcnt(0)
	ds_read2st64_b32 v[6:7], v6 offset1:15
	ds_read_b32 v8, v3 offset:4064
	s_waitcnt lgkmcnt(1)
	v_cvt_f32_f16_sdwa v13, v6 dst_sel:DWORD dst_unused:UNUSED_PAD src0_sel:WORD_1
	v_cvt_f32_f16_e32 v12, v6
	v_cvt_f32_f16_sdwa v15, v7 dst_sel:DWORD dst_unused:UNUSED_PAD src0_sel:WORD_1
	v_cvt_f32_f16_e32 v14, v7
	v_pk_fma_f32 v[12:13], v[4:5], v[12:13], 0 op_sel_hi:[0,1,0]
	s_waitcnt lgkmcnt(0)
	v_pk_fma_f32 v[6:7], v[8:9], v[14:15], v[12:13] op_sel_hi:[0,1,1]
	v_div_scale_f32 v1, s[38:39], v5, v5, v7
	v_rcp_f32_e32 v3, v1
	s_nop 0
	v_fma_f32 v4, -v1, v3, 1.0
	v_fmac_f32_e32 v3, v4, v3
	v_div_scale_f32 v4, vcc, v7, v5, v7
	v_mul_f32_e32 v8, v4, v3
	v_fma_f32 v9, -v1, v8, v4
	v_fmac_f32_e32 v8, v9, v3
	v_fma_f32 v1, -v1, v8, v4
	v_div_fmas_f32 v1, v1, v3, v8
	v_div_fixup_f32 v7, v1, v5, v7
	v_div_scale_f32 v1, s[38:39], v5, v5, v6
	v_rcp_f32_e32 v3, v1
	s_nop 0
	v_fma_f32 v4, -v1, v3, 1.0
	v_fmac_f32_e32 v3, v4, v3
	v_div_scale_f32 v4, vcc, v6, v5, v6
	v_mul_f32_e32 v8, v4, v3
	v_fma_f32 v9, -v1, v8, v4
	v_fmac_f32_e32 v8, v9, v3
	v_fma_f32 v1, -v1, v8, v4
	v_div_fmas_f32 v1, v1, v3, v8
	v_div_fixup_f32 v6, v1, v5, v6
	v_mov_b32_e32 v3, 0
	global_store_dwordx2 v[10:11], v[6:7], off
.LBB19_242:                             ;   in Loop: Header=BB19_14 Depth=1
	s_or_b64 exec, exec, s[36:37]
	v_cmp_gt_i32_e32 vcc, s70, v3
	s_mov_b64 s[36:37], -1
	s_and_saveexec_b64 s[38:39], vcc
; %bb.243:                              ;   in Loop: Header=BB19_14 Depth=1
	v_cmp_eq_u32_e32 vcc, 0, v3
	s_orn2_b64 s[36:37], vcc, exec
; %bb.244:                              ;   in Loop: Header=BB19_14 Depth=1
	s_or_b64 exec, exec, s[38:39]
	s_and_b64 exec, exec, s[36:37]
	s_cbranch_execz .LBB19_262
; %bb.245:                              ;   in Loop: Header=BB19_14 Depth=1
	v_add_u32_e32 v1, 16, v190
	v_add_u32_e32 v1, s62, v1
	v_cmp_gt_i32_e32 vcc, s76, v1
	v_mov_b32_e32 v3, 0x47
	s_and_saveexec_b64 s[36:37], vcc
	s_cbranch_execz .LBB19_247
; %bb.246:                              ;   in Loop: Header=BB19_14 Depth=1
	scratch_load_dword v3, off, off offset:32 ; 4-byte Folded Reload
	scratch_load_dword v6, off, off offset:36 ; 4-byte Folded Reload
	v_mad_u64_u32 v[10:11], s[38:39], v1, s65, v[30:31]
	v_ashrrev_i32_e32 v11, 31, v10
	v_lshl_add_u64 v[10:11], v[10:11], 3, s[42:43]
	s_waitcnt vmcnt(1)
	v_add_u32_e32 v3, 0, v3
	ds_read2_b32 v[4:5], v3 offset0:56 offset1:57
	s_waitcnt vmcnt(0)
	ds_read2st64_b32 v[6:7], v6 offset1:15
	ds_read_b32 v8, v3 offset:4064
	s_waitcnt lgkmcnt(1)
	v_cvt_f32_f16_sdwa v13, v6 dst_sel:DWORD dst_unused:UNUSED_PAD src0_sel:WORD_1
	v_cvt_f32_f16_e32 v12, v6
	v_cvt_f32_f16_sdwa v15, v7 dst_sel:DWORD dst_unused:UNUSED_PAD src0_sel:WORD_1
	v_cvt_f32_f16_e32 v14, v7
	v_pk_fma_f32 v[12:13], v[4:5], v[12:13], 0 op_sel_hi:[0,1,0]
	s_waitcnt lgkmcnt(0)
	v_pk_fma_f32 v[6:7], v[8:9], v[14:15], v[12:13] op_sel_hi:[0,1,1]
	v_div_scale_f32 v1, s[38:39], v5, v5, v7
	v_rcp_f32_e32 v3, v1
	s_nop 0
	v_fma_f32 v4, -v1, v3, 1.0
	v_fmac_f32_e32 v3, v4, v3
	v_div_scale_f32 v4, vcc, v7, v5, v7
	v_mul_f32_e32 v8, v4, v3
	v_fma_f32 v9, -v1, v8, v4
	v_fmac_f32_e32 v8, v9, v3
	v_fma_f32 v1, -v1, v8, v4
	v_div_fmas_f32 v1, v1, v3, v8
	v_div_fixup_f32 v7, v1, v5, v7
	v_div_scale_f32 v1, s[38:39], v5, v5, v6
	v_rcp_f32_e32 v3, v1
	s_nop 0
	v_fma_f32 v4, -v1, v3, 1.0
	v_fmac_f32_e32 v3, v4, v3
	v_div_scale_f32 v4, vcc, v6, v5, v6
	v_mul_f32_e32 v8, v4, v3
	v_fma_f32 v9, -v1, v8, v4
	v_fmac_f32_e32 v8, v9, v3
	v_fma_f32 v1, -v1, v8, v4
	v_div_fmas_f32 v1, v1, v3, v8
	v_div_fixup_f32 v6, v1, v5, v6
	v_mov_b32_e32 v3, 0
	global_store_dwordx2 v[10:11], v[6:7], off
.LBB19_247:                             ;   in Loop: Header=BB19_14 Depth=1
	s_or_b64 exec, exec, s[36:37]
	v_cmp_gt_i32_e32 vcc, s70, v3
	s_mov_b64 s[36:37], -1
	s_and_saveexec_b64 s[38:39], vcc
; %bb.248:                              ;   in Loop: Header=BB19_14 Depth=1
	v_cmp_eq_u32_e32 vcc, 0, v3
	s_orn2_b64 s[36:37], vcc, exec
; %bb.249:                              ;   in Loop: Header=BB19_14 Depth=1
	s_or_b64 exec, exec, s[38:39]
	s_and_b64 exec, exec, s[36:37]
	s_cbranch_execz .LBB19_262
; %bb.250:                              ;   in Loop: Header=BB19_14 Depth=1
	v_add_u32_e32 v1, s62, v213
	v_cmp_gt_i32_e32 vcc, s76, v1
	v_mov_b32_e32 v3, 0x47
	s_and_saveexec_b64 s[36:37], vcc
	s_cbranch_execz .LBB19_252
; %bb.251:                              ;   in Loop: Header=BB19_14 Depth=1
	scratch_load_dword v3, off, off offset:40 ; 4-byte Folded Reload
	scratch_load_dword v6, off, off offset:44 ; 4-byte Folded Reload
	v_mad_u64_u32 v[10:11], s[38:39], v1, s65, v[30:31]
	v_ashrrev_i32_e32 v11, 31, v10
	v_lshl_add_u64 v[10:11], v[10:11], 3, s[42:43]
	s_waitcnt vmcnt(1)
	v_add_u32_e32 v3, 0, v3
	ds_read2_b32 v[4:5], v3 offset0:56 offset1:57
	s_waitcnt vmcnt(0)
	ds_read2st64_b32 v[6:7], v6 offset1:15
	ds_read_b32 v8, v3 offset:4064
	s_waitcnt lgkmcnt(1)
	v_cvt_f32_f16_sdwa v13, v6 dst_sel:DWORD dst_unused:UNUSED_PAD src0_sel:WORD_1
	v_cvt_f32_f16_e32 v12, v6
	v_cvt_f32_f16_sdwa v15, v7 dst_sel:DWORD dst_unused:UNUSED_PAD src0_sel:WORD_1
	v_cvt_f32_f16_e32 v14, v7
	v_pk_fma_f32 v[12:13], v[4:5], v[12:13], 0 op_sel_hi:[0,1,0]
	s_waitcnt lgkmcnt(0)
	v_pk_fma_f32 v[6:7], v[8:9], v[14:15], v[12:13] op_sel_hi:[0,1,1]
	v_div_scale_f32 v1, s[38:39], v5, v5, v7
	v_rcp_f32_e32 v3, v1
	s_nop 0
	v_fma_f32 v4, -v1, v3, 1.0
	v_fmac_f32_e32 v3, v4, v3
	v_div_scale_f32 v4, vcc, v7, v5, v7
	v_mul_f32_e32 v8, v4, v3
	v_fma_f32 v9, -v1, v8, v4
	v_fmac_f32_e32 v8, v9, v3
	v_fma_f32 v1, -v1, v8, v4
	v_div_fmas_f32 v1, v1, v3, v8
	v_div_fixup_f32 v7, v1, v5, v7
	v_div_scale_f32 v1, s[38:39], v5, v5, v6
	v_rcp_f32_e32 v3, v1
	s_nop 0
	v_fma_f32 v4, -v1, v3, 1.0
	v_fmac_f32_e32 v3, v4, v3
	v_div_scale_f32 v4, vcc, v6, v5, v6
	v_mul_f32_e32 v8, v4, v3
	v_fma_f32 v9, -v1, v8, v4
	v_fmac_f32_e32 v8, v9, v3
	v_fma_f32 v1, -v1, v8, v4
	v_div_fmas_f32 v1, v1, v3, v8
	v_div_fixup_f32 v6, v1, v5, v6
	v_mov_b32_e32 v3, 0
	global_store_dwordx2 v[10:11], v[6:7], off
.LBB19_252:                             ;   in Loop: Header=BB19_14 Depth=1
	s_or_b64 exec, exec, s[36:37]
	v_cmp_gt_i32_e32 vcc, s70, v3
	s_mov_b64 s[36:37], -1
	s_and_saveexec_b64 s[38:39], vcc
; %bb.253:                              ;   in Loop: Header=BB19_14 Depth=1
	v_cmp_eq_u32_e32 vcc, 0, v3
	s_orn2_b64 s[36:37], vcc, exec
; %bb.254:                              ;   in Loop: Header=BB19_14 Depth=1
	s_or_b64 exec, exec, s[38:39]
	s_and_b64 exec, exec, s[36:37]
	s_cbranch_execz .LBB19_262
; %bb.255:                              ;   in Loop: Header=BB19_14 Depth=1
	;; [unrolled: 64-line block ×3, first 2 shown]
	v_add_u32_e32 v1, 28, v190
	v_add_u32_e32 v1, s62, v1
	v_cmp_gt_i32_e32 vcc, s76, v1
	s_and_b64 exec, exec, vcc
	s_cbranch_execz .LBB19_262
; %bb.261:                              ;   in Loop: Header=BB19_14 Depth=1
	scratch_load_dword v3, off, off offset:56 ; 4-byte Folded Reload
	scratch_load_dword v6, off, off offset:60 ; 4-byte Folded Reload
	v_mad_u64_u32 v[10:11], s[36:37], v1, s65, v[30:31]
	v_ashrrev_i32_e32 v11, 31, v10
	v_lshl_add_u64 v[10:11], v[10:11], 3, s[42:43]
	s_waitcnt vmcnt(1)
	v_add_u32_e32 v3, 0, v3
	ds_read2_b32 v[4:5], v3 offset0:56 offset1:57
	s_waitcnt vmcnt(0)
	ds_read2st64_b32 v[6:7], v6 offset1:15
	ds_read_b32 v8, v3 offset:4064
	s_waitcnt lgkmcnt(1)
	v_cvt_f32_f16_sdwa v13, v6 dst_sel:DWORD dst_unused:UNUSED_PAD src0_sel:WORD_1
	v_cvt_f32_f16_e32 v12, v6
	v_cvt_f32_f16_sdwa v15, v7 dst_sel:DWORD dst_unused:UNUSED_PAD src0_sel:WORD_1
	v_cvt_f32_f16_e32 v14, v7
	v_pk_fma_f32 v[12:13], v[4:5], v[12:13], 0 op_sel_hi:[0,1,0]
	s_waitcnt lgkmcnt(0)
	v_pk_fma_f32 v[6:7], v[8:9], v[14:15], v[12:13] op_sel_hi:[0,1,1]
	v_div_scale_f32 v1, s[36:37], v5, v5, v7
	v_rcp_f32_e32 v3, v1
	s_nop 0
	v_fma_f32 v4, -v1, v3, 1.0
	v_fmac_f32_e32 v3, v4, v3
	v_div_scale_f32 v4, vcc, v7, v5, v7
	v_mul_f32_e32 v8, v4, v3
	v_fma_f32 v9, -v1, v8, v4
	v_fmac_f32_e32 v8, v9, v3
	v_fma_f32 v1, -v1, v8, v4
	v_div_fmas_f32 v1, v1, v3, v8
	v_div_fixup_f32 v7, v1, v5, v7
	v_div_scale_f32 v1, s[36:37], v5, v5, v6
	v_rcp_f32_e32 v3, v1
	s_nop 0
	v_fma_f32 v4, -v1, v3, 1.0
	v_fmac_f32_e32 v3, v4, v3
	v_div_scale_f32 v4, vcc, v6, v5, v6
	v_mul_f32_e32 v8, v4, v3
	v_fma_f32 v9, -v1, v8, v4
	v_fmac_f32_e32 v8, v9, v3
	v_fma_f32 v1, -v1, v8, v4
	v_div_fmas_f32 v1, v1, v3, v8
	v_div_fixup_f32 v6, v1, v5, v6
	global_store_dwordx2 v[10:11], v[6:7], off
.LBB19_262:                             ;   in Loop: Header=BB19_14 Depth=1
	s_or_b64 exec, exec, s[30:31]
	v_add_u32_e32 v3, s62, v191
	v_cmp_gt_i32_e32 vcc, s76, v3
	v_mov_b32_e32 v1, 0x47
	s_and_saveexec_b64 s[30:31], vcc
	s_cbranch_execz .LBB19_264
; %bb.263:                              ;   in Loop: Header=BB19_14 Depth=1
	v_mul_lo_u32 v4, v3, s65
	v_add_u32_e32 v1, 0, v222
	v_add_u32_e32 v3, 0x80, v223
	ds_read2_b32 v[6:7], v1 offset0:56 offset1:57
	ds_read2st64_b32 v[8:9], v3 offset1:15
	ds_read_b32 v10, v1 offset:4064
	v_ashrrev_i32_e32 v5, 31, v4
	v_lshl_add_u64 v[4:5], v[4:5], 0, v[32:33]
	v_lshl_add_u64 v[4:5], v[4:5], 3, s[42:43]
	s_waitcnt lgkmcnt(1)
	v_cvt_f32_f16_sdwa v13, v8 dst_sel:DWORD dst_unused:UNUSED_PAD src0_sel:WORD_1
	v_cvt_f32_f16_e32 v12, v8
	v_cvt_f32_f16_sdwa v15, v9 dst_sel:DWORD dst_unused:UNUSED_PAD src0_sel:WORD_1
	v_cvt_f32_f16_e32 v14, v9
	v_pk_fma_f32 v[12:13], v[6:7], v[12:13], 0 op_sel_hi:[0,1,0]
	s_waitcnt lgkmcnt(0)
	v_pk_fma_f32 v[8:9], v[10:11], v[14:15], v[12:13] op_sel_hi:[0,1,1]
	v_div_scale_f32 v1, s[36:37], v7, v7, v9
	v_rcp_f32_e32 v3, v1
	s_nop 0
	v_fma_f32 v6, -v1, v3, 1.0
	v_fmac_f32_e32 v3, v6, v3
	v_div_scale_f32 v6, vcc, v9, v7, v9
	v_mul_f32_e32 v10, v6, v3
	v_fma_f32 v11, -v1, v10, v6
	v_fmac_f32_e32 v10, v11, v3
	v_fma_f32 v1, -v1, v10, v6
	v_div_fmas_f32 v1, v1, v3, v10
	v_div_fixup_f32 v9, v1, v7, v9
	v_div_scale_f32 v1, s[36:37], v7, v7, v8
	v_rcp_f32_e32 v3, v1
	s_nop 0
	v_fma_f32 v6, -v1, v3, 1.0
	v_fmac_f32_e32 v3, v6, v3
	v_div_scale_f32 v6, vcc, v8, v7, v8
	v_mul_f32_e32 v10, v6, v3
	v_fma_f32 v11, -v1, v10, v6
	v_fmac_f32_e32 v10, v11, v3
	v_fma_f32 v1, -v1, v10, v6
	v_div_fmas_f32 v1, v1, v3, v10
	v_div_fixup_f32 v8, v1, v7, v8
	v_mov_b32_e32 v1, 0
	global_store_dwordx2 v[4:5], v[8:9], off offset:256
.LBB19_264:                             ;   in Loop: Header=BB19_14 Depth=1
	s_or_b64 exec, exec, s[30:31]
	v_cmp_gt_i32_e32 vcc, s70, v1
	s_mov_b64 s[36:37], -1
	s_and_saveexec_b64 s[30:31], vcc
; %bb.265:                              ;   in Loop: Header=BB19_14 Depth=1
	v_cmp_eq_u32_e32 vcc, 0, v1
	s_orn2_b64 s[36:37], vcc, exec
; %bb.266:                              ;   in Loop: Header=BB19_14 Depth=1
	s_or_b64 exec, exec, s[30:31]
	s_and_saveexec_b64 s[30:31], s[36:37]
	s_cbranch_execz .LBB19_279
; %bb.267:                              ;   in Loop: Header=BB19_14 Depth=1
	v_add_u32_e32 v3, s62, v224
	v_cmp_gt_i32_e32 vcc, s76, v3
	v_mov_b32_e32 v1, 0x47
	s_and_saveexec_b64 s[36:37], vcc
	s_cbranch_execz .LBB19_269
; %bb.268:                              ;   in Loop: Header=BB19_14 Depth=1
	v_mul_lo_u32 v4, v3, s65
	v_add_u32_e32 v1, 0, v225
	v_add_u32_e32 v3, 0x80, v226
	ds_read2_b32 v[6:7], v1 offset0:56 offset1:57
	ds_read2st64_b32 v[8:9], v3 offset1:15
	ds_read_b32 v10, v1 offset:4064
	v_ashrrev_i32_e32 v5, 31, v4
	v_lshl_add_u64 v[4:5], v[4:5], 0, v[32:33]
	v_lshl_add_u64 v[4:5], v[4:5], 3, s[42:43]
	s_waitcnt lgkmcnt(1)
	v_cvt_f32_f16_sdwa v13, v8 dst_sel:DWORD dst_unused:UNUSED_PAD src0_sel:WORD_1
	v_cvt_f32_f16_e32 v12, v8
	v_cvt_f32_f16_sdwa v15, v9 dst_sel:DWORD dst_unused:UNUSED_PAD src0_sel:WORD_1
	v_cvt_f32_f16_e32 v14, v9
	v_pk_fma_f32 v[12:13], v[6:7], v[12:13], 0 op_sel_hi:[0,1,0]
	s_waitcnt lgkmcnt(0)
	v_pk_fma_f32 v[8:9], v[10:11], v[14:15], v[12:13] op_sel_hi:[0,1,1]
	v_div_scale_f32 v1, s[38:39], v7, v7, v9
	v_rcp_f32_e32 v3, v1
	s_nop 0
	v_fma_f32 v6, -v1, v3, 1.0
	v_fmac_f32_e32 v3, v6, v3
	v_div_scale_f32 v6, vcc, v9, v7, v9
	v_mul_f32_e32 v10, v6, v3
	v_fma_f32 v11, -v1, v10, v6
	v_fmac_f32_e32 v10, v11, v3
	v_fma_f32 v1, -v1, v10, v6
	v_div_fmas_f32 v1, v1, v3, v10
	v_div_fixup_f32 v9, v1, v7, v9
	v_div_scale_f32 v1, s[38:39], v7, v7, v8
	v_rcp_f32_e32 v3, v1
	s_nop 0
	v_fma_f32 v6, -v1, v3, 1.0
	v_fmac_f32_e32 v3, v6, v3
	v_div_scale_f32 v6, vcc, v8, v7, v8
	v_mul_f32_e32 v10, v6, v3
	v_fma_f32 v11, -v1, v10, v6
	v_fmac_f32_e32 v10, v11, v3
	v_fma_f32 v1, -v1, v10, v6
	v_div_fmas_f32 v1, v1, v3, v10
	v_div_fixup_f32 v8, v1, v7, v8
	v_mov_b32_e32 v1, 0
	global_store_dwordx2 v[4:5], v[8:9], off offset:256
.LBB19_269:                             ;   in Loop: Header=BB19_14 Depth=1
	s_or_b64 exec, exec, s[36:37]
	v_cmp_gt_i32_e32 vcc, s70, v1
	s_mov_b64 s[36:37], -1
	s_and_saveexec_b64 s[38:39], vcc
; %bb.270:                              ;   in Loop: Header=BB19_14 Depth=1
	v_cmp_eq_u32_e32 vcc, 0, v1
	s_orn2_b64 s[36:37], vcc, exec
; %bb.271:                              ;   in Loop: Header=BB19_14 Depth=1
	s_or_b64 exec, exec, s[38:39]
	s_and_b64 exec, exec, s[36:37]
	s_cbranch_execz .LBB19_279
; %bb.272:                              ;   in Loop: Header=BB19_14 Depth=1
	v_add_u32_e32 v3, s62, v227
	v_cmp_gt_i32_e32 vcc, s76, v3
	v_mov_b32_e32 v1, 0x47
	s_and_saveexec_b64 s[36:37], vcc
	s_cbranch_execz .LBB19_274
; %bb.273:                              ;   in Loop: Header=BB19_14 Depth=1
	v_mul_lo_u32 v4, v3, s65
	v_add_u32_e32 v1, 0, v232
	v_add_u32_e32 v3, 0x80, v210
	ds_read2_b32 v[6:7], v1 offset0:56 offset1:57
	ds_read2st64_b32 v[8:9], v3 offset1:15
	ds_read_b32 v10, v1 offset:4064
	v_ashrrev_i32_e32 v5, 31, v4
	v_lshl_add_u64 v[4:5], v[4:5], 0, v[32:33]
	v_lshl_add_u64 v[4:5], v[4:5], 3, s[42:43]
	s_waitcnt lgkmcnt(1)
	v_cvt_f32_f16_sdwa v13, v8 dst_sel:DWORD dst_unused:UNUSED_PAD src0_sel:WORD_1
	v_cvt_f32_f16_e32 v12, v8
	v_cvt_f32_f16_sdwa v15, v9 dst_sel:DWORD dst_unused:UNUSED_PAD src0_sel:WORD_1
	v_cvt_f32_f16_e32 v14, v9
	v_pk_fma_f32 v[12:13], v[6:7], v[12:13], 0 op_sel_hi:[0,1,0]
	s_waitcnt lgkmcnt(0)
	v_pk_fma_f32 v[8:9], v[10:11], v[14:15], v[12:13] op_sel_hi:[0,1,1]
	v_div_scale_f32 v1, s[38:39], v7, v7, v9
	v_rcp_f32_e32 v3, v1
	s_nop 0
	v_fma_f32 v6, -v1, v3, 1.0
	v_fmac_f32_e32 v3, v6, v3
	v_div_scale_f32 v6, vcc, v9, v7, v9
	v_mul_f32_e32 v10, v6, v3
	v_fma_f32 v11, -v1, v10, v6
	v_fmac_f32_e32 v10, v11, v3
	v_fma_f32 v1, -v1, v10, v6
	v_div_fmas_f32 v1, v1, v3, v10
	v_div_fixup_f32 v9, v1, v7, v9
	v_div_scale_f32 v1, s[38:39], v7, v7, v8
	v_rcp_f32_e32 v3, v1
	s_nop 0
	v_fma_f32 v6, -v1, v3, 1.0
	v_fmac_f32_e32 v3, v6, v3
	v_div_scale_f32 v6, vcc, v8, v7, v8
	v_mul_f32_e32 v10, v6, v3
	v_fma_f32 v11, -v1, v10, v6
	v_fmac_f32_e32 v10, v11, v3
	v_fma_f32 v1, -v1, v10, v6
	v_div_fmas_f32 v1, v1, v3, v10
	v_div_fixup_f32 v8, v1, v7, v8
	v_mov_b32_e32 v1, 0
	global_store_dwordx2 v[4:5], v[8:9], off offset:256
.LBB19_274:                             ;   in Loop: Header=BB19_14 Depth=1
	s_or_b64 exec, exec, s[36:37]
	v_cmp_gt_i32_e32 vcc, s70, v1
	s_mov_b64 s[36:37], -1
	s_and_saveexec_b64 s[38:39], vcc
; %bb.275:                              ;   in Loop: Header=BB19_14 Depth=1
	v_cmp_eq_u32_e32 vcc, 0, v1
	s_orn2_b64 s[36:37], vcc, exec
; %bb.276:                              ;   in Loop: Header=BB19_14 Depth=1
	s_or_b64 exec, exec, s[38:39]
	s_and_b64 exec, exec, s[36:37]
	s_cbranch_execz .LBB19_279
; %bb.277:                              ;   in Loop: Header=BB19_14 Depth=1
	v_add_u32_e32 v1, s62, v219
	v_cmp_gt_i32_e32 vcc, s76, v1
	s_and_b64 exec, exec, vcc
	s_cbranch_execz .LBB19_279
; %bb.278:                              ;   in Loop: Header=BB19_14 Depth=1
	v_mul_lo_u32 v4, v1, s65
	scratch_load_dword v1, off, off offset:24 ; 4-byte Folded Reload
	scratch_load_dword v3, off, off offset:28 ; 4-byte Folded Reload
	v_ashrrev_i32_e32 v5, 31, v4
	v_lshl_add_u64 v[4:5], v[4:5], 0, v[32:33]
	v_lshl_add_u64 v[4:5], v[4:5], 3, s[42:43]
	s_waitcnt vmcnt(1)
	v_add_u32_e32 v1, 0, v1
	s_waitcnt vmcnt(0)
	v_add_u32_e32 v3, 0x80, v3
	ds_read2_b32 v[6:7], v1 offset0:56 offset1:57
	ds_read2st64_b32 v[8:9], v3 offset1:15
	ds_read_b32 v10, v1 offset:4064
	s_waitcnt lgkmcnt(1)
	v_cvt_f32_f16_sdwa v13, v8 dst_sel:DWORD dst_unused:UNUSED_PAD src0_sel:WORD_1
	v_cvt_f32_f16_e32 v12, v8
	v_cvt_f32_f16_sdwa v15, v9 dst_sel:DWORD dst_unused:UNUSED_PAD src0_sel:WORD_1
	v_cvt_f32_f16_e32 v14, v9
	v_pk_fma_f32 v[12:13], v[6:7], v[12:13], 0 op_sel_hi:[0,1,0]
	s_waitcnt lgkmcnt(0)
	v_pk_fma_f32 v[8:9], v[10:11], v[14:15], v[12:13] op_sel_hi:[0,1,1]
	v_div_scale_f32 v1, s[36:37], v7, v7, v9
	v_rcp_f32_e32 v3, v1
	s_nop 0
	v_fma_f32 v6, -v1, v3, 1.0
	v_fmac_f32_e32 v3, v6, v3
	v_div_scale_f32 v6, vcc, v9, v7, v9
	v_mul_f32_e32 v10, v6, v3
	v_fma_f32 v11, -v1, v10, v6
	v_fmac_f32_e32 v10, v11, v3
	v_fma_f32 v1, -v1, v10, v6
	v_div_fmas_f32 v1, v1, v3, v10
	v_div_fixup_f32 v9, v1, v7, v9
	v_div_scale_f32 v1, s[36:37], v7, v7, v8
	v_rcp_f32_e32 v3, v1
	s_nop 0
	v_fma_f32 v6, -v1, v3, 1.0
	v_fmac_f32_e32 v3, v6, v3
	v_div_scale_f32 v6, vcc, v8, v7, v8
	v_mul_f32_e32 v10, v6, v3
	v_fma_f32 v11, -v1, v10, v6
	v_fmac_f32_e32 v10, v11, v3
	v_fma_f32 v1, -v1, v10, v6
	v_div_fmas_f32 v1, v1, v3, v10
	v_div_fixup_f32 v8, v1, v7, v8
	global_store_dwordx2 v[4:5], v[8:9], off offset:256
.LBB19_279:                             ;   in Loop: Header=BB19_14 Depth=1
	s_or_b64 exec, exec, s[30:31]
	v_add_u32_e32 v3, s62, v192
	v_cmp_gt_i32_e32 vcc, s76, v3
	v_mov_b32_e32 v1, 0x47
	s_and_saveexec_b64 s[30:31], vcc
	s_cbranch_execz .LBB19_281
; %bb.280:                              ;   in Loop: Header=BB19_14 Depth=1
	v_mul_lo_u32 v4, v3, s65
	v_add_u32_e32 v1, 0, v233
	v_add_u32_e32 v3, 0xc0, v234
	ds_read2_b32 v[6:7], v1 offset0:56 offset1:57
	ds_read2st64_b32 v[8:9], v3 offset1:15
	ds_read_b32 v10, v1 offset:4064
	v_ashrrev_i32_e32 v5, 31, v4
	v_lshl_add_u64 v[4:5], v[4:5], 0, v[34:35]
	v_lshl_add_u64 v[4:5], v[4:5], 3, s[42:43]
	s_waitcnt lgkmcnt(1)
	v_cvt_f32_f16_sdwa v13, v8 dst_sel:DWORD dst_unused:UNUSED_PAD src0_sel:WORD_1
	v_cvt_f32_f16_e32 v12, v8
	v_cvt_f32_f16_sdwa v15, v9 dst_sel:DWORD dst_unused:UNUSED_PAD src0_sel:WORD_1
	v_cvt_f32_f16_e32 v14, v9
	v_pk_fma_f32 v[12:13], v[6:7], v[12:13], 0 op_sel_hi:[0,1,0]
	s_waitcnt lgkmcnt(0)
	v_pk_fma_f32 v[8:9], v[10:11], v[14:15], v[12:13] op_sel_hi:[0,1,1]
	v_div_scale_f32 v1, s[36:37], v7, v7, v9
	v_rcp_f32_e32 v3, v1
	s_nop 0
	v_fma_f32 v6, -v1, v3, 1.0
	v_fmac_f32_e32 v3, v6, v3
	v_div_scale_f32 v6, vcc, v9, v7, v9
	v_mul_f32_e32 v10, v6, v3
	v_fma_f32 v11, -v1, v10, v6
	v_fmac_f32_e32 v10, v11, v3
	v_fma_f32 v1, -v1, v10, v6
	v_div_fmas_f32 v1, v1, v3, v10
	v_div_fixup_f32 v9, v1, v7, v9
	v_div_scale_f32 v1, s[36:37], v7, v7, v8
	v_rcp_f32_e32 v3, v1
	s_nop 0
	v_fma_f32 v6, -v1, v3, 1.0
	v_fmac_f32_e32 v3, v6, v3
	v_div_scale_f32 v6, vcc, v8, v7, v8
	v_mul_f32_e32 v10, v6, v3
	v_fma_f32 v11, -v1, v10, v6
	v_fmac_f32_e32 v10, v11, v3
	v_fma_f32 v1, -v1, v10, v6
	v_div_fmas_f32 v1, v1, v3, v10
	v_div_fixup_f32 v8, v1, v7, v8
	v_mov_b32_e32 v1, 0
	global_store_dwordx2 v[4:5], v[8:9], off offset:384
.LBB19_281:                             ;   in Loop: Header=BB19_14 Depth=1
	s_or_b64 exec, exec, s[30:31]
	v_cmp_gt_i32_e32 vcc, s70, v1
	s_mov_b64 s[30:31], -1
	s_and_saveexec_b64 s[36:37], vcc
; %bb.282:                              ;   in Loop: Header=BB19_14 Depth=1
	v_cmp_eq_u32_e32 vcc, 0, v1
	s_orn2_b64 s[30:31], vcc, exec
; %bb.283:                              ;   in Loop: Header=BB19_14 Depth=1
	s_or_b64 exec, exec, s[36:37]
	s_and_b64 exec, exec, s[30:31]
	s_cbranch_execz .LBB19_12
; %bb.284:                              ;   in Loop: Header=BB19_14 Depth=1
	v_add_u32_e32 v1, s62, v235
	v_cmp_gt_i32_e32 vcc, s76, v1
	s_and_b64 exec, exec, vcc
	s_cbranch_execz .LBB19_12
; %bb.285:                              ;   in Loop: Header=BB19_14 Depth=1
	v_mul_lo_u32 v4, v1, s65
	v_add_u32_e32 v1, 0, v236
	v_add_u32_e32 v3, 0xc0, v237
	ds_read2_b32 v[6:7], v1 offset0:56 offset1:57
	ds_read2st64_b32 v[8:9], v3 offset1:15
	ds_read_b32 v10, v1 offset:4064
	v_ashrrev_i32_e32 v5, 31, v4
	v_lshl_add_u64 v[4:5], v[4:5], 0, v[34:35]
	v_lshl_add_u64 v[4:5], v[4:5], 3, s[42:43]
	s_waitcnt lgkmcnt(1)
	v_cvt_f32_f16_sdwa v13, v8 dst_sel:DWORD dst_unused:UNUSED_PAD src0_sel:WORD_1
	v_cvt_f32_f16_e32 v12, v8
	v_cvt_f32_f16_sdwa v15, v9 dst_sel:DWORD dst_unused:UNUSED_PAD src0_sel:WORD_1
	v_cvt_f32_f16_e32 v14, v9
	v_pk_fma_f32 v[12:13], v[6:7], v[12:13], 0 op_sel_hi:[0,1,0]
	s_waitcnt lgkmcnt(0)
	v_pk_fma_f32 v[8:9], v[10:11], v[14:15], v[12:13] op_sel_hi:[0,1,1]
	v_div_scale_f32 v1, s[30:31], v7, v7, v9
	v_rcp_f32_e32 v3, v1
	s_nop 0
	v_fma_f32 v6, -v1, v3, 1.0
	v_fmac_f32_e32 v3, v6, v3
	v_div_scale_f32 v6, vcc, v9, v7, v9
	v_mul_f32_e32 v10, v6, v3
	v_fma_f32 v11, -v1, v10, v6
	v_fmac_f32_e32 v10, v11, v3
	v_fma_f32 v1, -v1, v10, v6
	v_div_fmas_f32 v1, v1, v3, v10
	v_div_fixup_f32 v9, v1, v7, v9
	v_div_scale_f32 v1, s[30:31], v7, v7, v8
	v_rcp_f32_e32 v3, v1
	s_nop 0
	v_fma_f32 v6, -v1, v3, 1.0
	v_fmac_f32_e32 v3, v6, v3
	v_div_scale_f32 v6, vcc, v8, v7, v8
	v_mul_f32_e32 v10, v6, v3
	v_fma_f32 v11, -v1, v10, v6
	v_fmac_f32_e32 v10, v11, v3
	v_fma_f32 v1, -v1, v10, v6
	v_div_fmas_f32 v1, v1, v3, v10
	v_div_fixup_f32 v8, v1, v7, v8
	global_store_dwordx2 v[4:5], v[8:9], off offset:384
	s_branch .LBB19_12
.LBB19_286:
	v_readlane_b32 s60, v255, 7
	v_readlane_b32 s36, v254, 44
	;; [unrolled: 1-line block ×4, first 2 shown]
	s_mov_b32 s66, s60
	v_readlane_b32 s37, v254, 45
	v_readlane_b32 s38, v254, 46
	;; [unrolled: 1-line block ×6, first 2 shown]
	s_andn2_b64 vcc, exec, s[26:27]
	s_cbranch_vccnz .LBB19_10
.LBB19_287:
	v_readlane_b32 s7, v254, 7
	s_abs_i32 s0, s7
	v_cvt_f32_u32_e32 v1, s0
	s_sub_i32 s4, 0, s0
	s_abs_i32 s3, s2
	s_xor_b32 s1, s2, s7
	v_rcp_iflag_f32_e32 v1, v1
	s_ashr_i32 s1, s1, 31
	v_readlane_b32 s10, v254, 6
	v_readlane_b32 s16, v254, 22
	v_mul_f32_e32 v1, 0x4f7ffffe, v1
	v_cvt_u32_f32_e32 v1, v1
	v_readlane_b32 s22, v254, 28
	v_readlane_b32 s23, v254, 29
	;; [unrolled: 1-line block ×3, first 2 shown]
	v_readfirstlane_b32 s5, v1
	s_mul_i32 s4, s4, s5
	s_mul_hi_u32 s4, s5, s4
	s_add_i32 s5, s5, s4
	s_mul_hi_u32 s4, s3, s5
	s_mul_i32 s5, s4, s0
	s_sub_i32 s3, s3, s5
	s_add_i32 s6, s4, 1
	s_sub_i32 s5, s3, s0
	s_cmp_ge_u32 s3, s0
	s_cselect_b32 s4, s6, s4
	s_cselect_b32 s3, s5, s3
	s_add_i32 s5, s4, 1
	s_cmp_ge_u32 s3, s0
	s_cselect_b32 s0, s5, s4
	s_abs_i32 s3, s10
	v_cvt_f32_u32_e32 v1, s3
	s_xor_b32 s0, s0, s1
	s_sub_i32 s4, 0, s3
	s_sub_i32 s8, s0, s1
	v_rcp_iflag_f32_e32 v1, v1
	s_mul_i32 s0, s8, s7
	s_sub_i32 s0, s2, s0
	s_abs_i32 s2, s0
	v_mul_f32_e32 v1, 0x4f7ffffe, v1
	v_cvt_u32_f32_e32 v1, v1
	s_xor_b32 s1, s0, s10
	s_ashr_i32 s1, s1, 31
	v_readlane_b32 s7, v254, 3
	v_readfirstlane_b32 s5, v1
	s_mul_i32 s4, s4, s5
	s_mul_hi_u32 s4, s5, s4
	s_add_i32 s5, s5, s4
	s_mul_hi_u32 s4, s2, s5
	s_mul_i32 s5, s4, s3
	s_sub_i32 s2, s2, s5
	s_add_i32 s6, s4, 1
	s_sub_i32 s5, s2, s3
	s_cmp_ge_u32 s2, s3
	s_cselect_b32 s4, s6, s4
	s_cselect_b32 s2, s5, s2
	s_add_i32 s5, s4, 1
	s_cmp_ge_u32 s2, s3
	s_cselect_b32 s2, s5, s4
	s_abs_i32 s3, s7
	v_cvt_f32_u32_e32 v1, s3
	s_xor_b32 s2, s2, s1
	s_sub_i32 s4, 0, s3
	s_sub_i32 s9, s2, s1
	v_rcp_iflag_f32_e32 v1, v1
	s_mul_i32 s1, s9, s10
	s_sub_i32 s1, s0, s1
	s_abs_i32 s2, s1
	v_mul_f32_e32 v1, 0x4f7ffffe, v1
	v_cvt_u32_f32_e32 v1, v1
	s_xor_b32 s0, s1, s7
	s_ashr_i32 s0, s0, 31
	v_readlane_b32 s18, v254, 24
	v_readfirstlane_b32 s5, v1
	s_mul_i32 s4, s4, s5
	s_mul_hi_u32 s4, s5, s4
	s_add_i32 s5, s5, s4
	s_mul_hi_u32 s4, s2, s5
	s_mul_i32 s5, s4, s3
	s_sub_i32 s2, s2, s5
	s_add_i32 s6, s4, 1
	s_sub_i32 s5, s2, s3
	s_cmp_ge_u32 s2, s3
	s_cselect_b32 s4, s6, s4
	s_cselect_b32 s2, s5, s2
	s_add_i32 s5, s4, 1
	s_cmp_ge_u32 s2, s3
	s_cselect_b32 s2, s5, s4
	s_xor_b32 s2, s2, s0
	s_sub_i32 s0, s2, s0
	s_mul_i32 s2, s0, s7
	s_sub_i32 s1, s1, s2
	s_abs_i32 s12, s1
	s_ashr_i32 s10, s8, 31
	s_mul_hi_u32 s11, s12, s64
	s_cmp_eq_u64 s[22:23], 0
	s_mov_b64 s[2:3], 0
	v_readlane_b32 s19, v254, 25
	v_readlane_b32 s20, v254, 26
	;; [unrolled: 1-line block ×11, first 2 shown]
	s_cbranch_scc1 .LBB19_289
; %bb.288:
	s_abs_i32 s2, s34
	v_cvt_f32_u32_e32 v1, s2
	s_sub_i32 s4, 0, s2
	s_abs_i32 s3, s8
	v_readlane_b32 s6, v254, 13
	v_rcp_iflag_f32_e32 v1, v1
	v_readlane_b32 s7, v254, 14
	v_mul_f32_e32 v1, 0x4f7ffffe, v1
	v_cvt_u32_f32_e32 v1, v1
	s_nop 0
	v_readfirstlane_b32 s5, v1
	s_mul_i32 s4, s4, s5
	s_mul_hi_u32 s4, s5, s4
	s_add_i32 s5, s5, s4
	s_mul_hi_u32 s4, s3, s5
	s_mul_i32 s4, s4, s2
	s_sub_i32 s3, s3, s4
	s_sub_i32 s4, s3, s2
	s_cmp_ge_u32 s3, s2
	s_cselect_b32 s3, s4, s3
	s_sub_i32 s4, s3, s2
	s_cmp_ge_u32 s3, s2
	s_cselect_b32 s2, s4, s3
	s_xor_b32 s2, s2, s10
	s_sub_i32 s2, s2, s10
	s_ashr_i32 s3, s2, 31
	s_mul_i32 s4, s2, s7
	s_mul_hi_u32 s5, s2, s6
	s_add_i32 s4, s5, s4
	s_mul_i32 s3, s3, s6
	s_add_i32 s4, s4, s3
	s_mul_i32 s2, s2, s6
	s_add_u32 s2, s22, s2
	s_addc_u32 s3, s23, s4
.LBB19_289:
	s_ashr_i32 s14, s1, 31
	v_readlane_b32 s1, v254, 2
	s_mul_i32 s13, s9, s1
	s_add_i32 s13, s13, s0
	v_cmp_le_f32_e64 s[0:1], s37, 0
	s_and_b64 vcc, exec, s[0:1]
	v_mov_b32_e32 v24, 1.0
	s_cbranch_vccnz .LBB19_291
; %bb.290:
	v_readlane_b32 s1, v254, 10
	s_sub_i32 s0, s13, s1
	s_lshl_b32 s0, s0, 1
	s_add_i32 s4, s13, 1
	s_or_b32 s5, s0, 1
	s_cmp_lt_u32 s13, s1
	s_cselect_b64 vcc, -1, 0
	s_and_b64 s[0:1], vcc, exec
	v_mov_b32_e32 v1, s39
	v_mov_b32_e32 v2, s38
	s_cselect_b32 s0, s4, s5
	v_cndmask_b32_e32 v18, v1, v2, vcc
	v_cvt_f32_i32_e32 v1, s0
	v_cmp_neq_f32_e32 vcc, 1.0, v18
	s_mov_b32 s0, 0x3f2aaaab
	s_movk_i32 s4, 0x204
	v_cndmask_b32_e32 v19, 1.0, v1, vcc
	v_cmp_eq_f32_e32 vcc, 0, v19
	s_mov_b32 s6, 0x42b17218
	s_mov_b32 s5, 0x7f800000
	v_cndmask_b32_e64 v20, |v18|, 1.0, vcc
	v_frexp_mant_f32_e32 v1, v20
	v_cmp_gt_f32_e64 s[0:1], s0, v1
	s_brev_b32 s15, -2
	s_nop 0
	v_cndmask_b32_e64 v2, 1.0, 2.0, s[0:1]
	v_mul_f32_e32 v1, v1, v2
	v_add_f32_e32 v2, 1.0, v1
	v_rcp_f32_e32 v10, v2
	v_add_f32_e32 v3, -1.0, v2
	v_sub_f32_e32 v5, v1, v3
	v_add_f32_e32 v3, -1.0, v1
	v_mul_f32_e32 v1, v3, v10
	v_mul_f32_e32 v4, v2, v1
	v_fma_f32 v6, v1, v2, -v4
	v_fmac_f32_e32 v6, v1, v5
	v_add_f32_e32 v2, v4, v6
	v_sub_f32_e32 v5, v3, v2
	v_pk_add_f32 v[8:9], v[2:3], v[4:5] neg_lo:[0,1] neg_hi:[0,1]
	v_mov_b32_e32 v7, v2
	v_pk_add_f32 v[2:3], v[8:9], v[6:7] neg_lo:[0,1] neg_hi:[0,1]
	v_mov_b32_e32 v6, 0x3e91f4c4
	v_add_f32_e32 v2, v2, v3
	v_add_f32_e32 v2, v5, v2
	v_mul_f32_e32 v3, v10, v2
	v_add_f32_e32 v2, v1, v3
	v_sub_f32_e32 v1, v2, v1
	v_sub_f32_e32 v1, v3, v1
	v_mul_f32_e32 v3, v2, v2
	v_fma_f32 v5, v2, v2, -v3
	v_add_f32_e32 v4, v1, v1
	v_fmac_f32_e32 v5, v2, v4
	v_add_f32_e32 v4, v3, v5
	v_fmac_f32_e32 v6, 0x3e76c4e1, v4
	v_fmaak_f32 v6, v4, v6, 0x3ecccdef
	v_sub_f32_e32 v3, v4, v3
	v_sub_f32_e32 v12, v5, v3
	v_mul_f32_e32 v3, v4, v6
	v_fma_f32 v5, v4, v6, -v3
	v_fmac_f32_e32 v5, v12, v6
	v_add_f32_e32 v6, v3, v5
	v_add_f32_e32 v7, 0x3f2aaaaa, v6
	v_sub_f32_e32 v3, v6, v3
	v_sub_f32_e32 v3, v5, v3
	v_add_f32_e32 v5, 0xbf2aaaaa, v7
	v_add_f32_e32 v3, 0x31739010, v3
	v_sub_f32_e32 v5, v6, v5
	v_pk_mul_f32 v[8:9], v[2:3], v[4:5]
	v_pk_add_f32 v[10:11], v[2:3], v[4:5]
	v_fma_f32 v6, v4, v2, -v8
	v_fmac_f32_e32 v6, v4, v1
	v_mov_b32_e32 v9, v11
	v_fmac_f32_e32 v6, v12, v2
	v_pk_add_f32 v[4:5], v[8:9], v[6:7]
	v_ldexp_f32 v1, v1, 1
	v_sub_f32_e32 v3, v4, v8
	v_sub_f32_e32 v3, v6, v3
	v_sub_f32_e32 v6, v7, v5
	v_add_f32_e32 v9, v11, v6
	v_mov_b32_e32 v6, v5
	v_pk_mul_f32 v[6:7], v[4:5], v[6:7]
	v_cvt_f64_f32_e32 v[10:11], v20
	v_frexp_exp_i32_f64_e32 v7, v[10:11]
	v_subbrev_co_u32_e64 v7, s[0:1], 0, v7, s[0:1]
	v_cvt_f32_i32_e32 v7, v7
	v_fma_f32 v8, v4, v5, -v6
	v_fmac_f32_e32 v8, v4, v9
	s_mov_b32 s0, 0x3f317218
	v_mul_f32_e32 v4, 0x3f317218, v7
	v_fmac_f32_e32 v8, v3, v5
	v_fma_f32 v3, v7, s0, -v4
	v_fmamk_f32 v10, v7, 0xb102e308, v3
	v_ldexp_f32 v11, v2, 1
	v_add_f32_e32 v5, v6, v8
	v_pk_add_f32 v[2:3], v[4:5], v[10:11]
	v_mov_b32_e32 v12, v5
	v_mov_b32_e32 v13, v3
	;; [unrolled: 1-line block ×3, first 2 shown]
	v_pk_add_f32 v[6:7], v[12:13], v[6:7] neg_lo:[0,1] neg_hi:[0,1]
	v_mov_b32_e32 v9, v5
	v_pk_add_f32 v[6:7], v[8:9], v[6:7] neg_lo:[0,1] neg_hi:[0,1]
	v_mov_b32_e32 v11, v2
	v_add_f32_e32 v1, v1, v6
	v_add_f32_e32 v5, v1, v7
	v_pk_add_f32 v[6:7], v[2:3], v[4:5] neg_lo:[0,1] neg_hi:[0,1]
	v_pk_add_f32 v[8:9], v[2:3], v[4:5]
	v_mov_b32_e32 v12, v6
	v_mov_b32_e32 v13, v9
	v_pk_add_f32 v[12:13], v[10:11], v[12:13]
	v_pk_add_f32 v[6:7], v[10:11], v[6:7] neg_lo:[0,1] neg_hi:[0,1]
	v_mov_b32_e32 v4, v13
	v_pk_add_f32 v[14:15], v[4:5], v[2:3] neg_lo:[0,1] neg_hi:[0,1]
	v_mov_b32_e32 v12, v9
	v_mov_b32_e32 v1, v14
	v_mov_b32_e32 v2, v3
	v_mov_b32_e32 v3, v14
	v_pk_add_f32 v[16:17], v[8:9], v[0:1] neg_lo:[0,1] neg_hi:[0,1]
	v_pk_add_f32 v[2:3], v[12:13], v[2:3] neg_lo:[0,1] neg_hi:[0,1]
	v_mov_b32_e32 v10, v5
	v_pk_add_f32 v[2:3], v[10:11], v[2:3] neg_lo:[0,1] neg_hi:[0,1]
	v_mov_b32_e32 v16, v6
	v_pk_add_f32 v[8:9], v[16:17], v[2:3]
	v_mov_b32_e32 v7, v13
	v_mov_b32_e32 v10, v9
	v_pk_add_f32 v[10:11], v[8:9], v[10:11]
	s_nop 0
	v_pk_add_f32 v[4:5], v[4:5], v[10:11]
	v_mov_b32_e32 v3, v10
	v_mov_b32_e32 v9, v4
	v_pk_add_f32 v[12:13], v[8:9], v[6:7] neg_lo:[0,1] neg_hi:[0,1]
	s_nop 0
	v_sub_f32_e32 v1, v8, v12
	v_pk_add_f32 v[2:3], v[2:3], v[12:13] neg_lo:[0,1] neg_hi:[0,1]
	v_sub_f32_e32 v1, v6, v1
	v_add_f32_e32 v1, v2, v1
	v_add_f32_e32 v1, v1, v3
	;; [unrolled: 1-line block ×3, first 2 shown]
	v_sub_f32_e32 v3, v2, v4
	v_sub_f32_e32 v1, v1, v3
	v_mul_f32_e32 v3, v19, v2
	v_fma_f32 v2, v19, v2, -v3
	v_fmac_f32_e32 v2, v19, v1
	v_add_f32_e32 v1, v3, v2
	v_cmp_class_f32_e64 s[0:1], v3, s4
	v_sub_f32_e32 v4, v1, v3
	v_sub_f32_e32 v2, v2, v4
	v_cndmask_b32_e64 v1, v1, v3, s[0:1]
	v_mov_b32_e32 v3, 0x37000000
	v_cmp_eq_f32_e64 s[0:1], s6, v1
	s_nop 1
	v_cndmask_b32_e64 v3, 0, v3, s[0:1]
	v_sub_f32_e32 v4, v1, v3
	s_mov_b32 s0, 0x3fb8aa3b
	v_mul_f32_e32 v5, 0x3fb8aa3b, v4
	v_fma_f32 v6, v4, s0, -v5
	v_rndne_f32_e32 v7, v5
	v_fmamk_f32 v6, v4, 0x32a5705f, v6
	v_sub_f32_e32 v5, v5, v7
	v_add_f32_e32 v5, v5, v6
	v_exp_f32_e32 v5, v5
	v_cvt_i32_f32_e32 v6, v7
	v_cmp_neq_f32_e64 s[0:1], |v1|, s5
	s_nop 1
	v_cndmask_b32_e64 v1, 0, v2, s[0:1]
	s_mov_b32 s0, 0xc2ce8ed0
	v_ldexp_f32 v2, v5, v6
	v_cmp_ngt_f32_e64 s[0:1], s0, v4
	v_add_f32_e32 v1, v3, v1
	v_mov_b32_e32 v3, 0x7f800000
	v_cndmask_b32_e64 v2, 0, v2, s[0:1]
	v_cmp_nlt_f32_e64 s[0:1], s6, v4
	v_trunc_f32_e32 v4, v19
	v_mov_b32_e32 v5, 0x7fc00000
	v_cndmask_b32_e64 v2, v3, v2, s[0:1]
	v_fma_f32 v1, v2, v1, v2
	v_cmp_class_f32_e64 s[0:1], v2, s4
	v_cmp_gt_f32_e64 s[6:7], 0, v19
	s_nop 0
	v_cndmask_b32_e64 v1, v1, v2, s[0:1]
	v_cndmask_b32_e64 v2, v18, 1.0, vcc
	v_cmp_eq_f32_e32 vcc, v4, v19
	v_mul_f32_e32 v4, 0.5, v19
	v_trunc_f32_e32 v6, v4
	v_cmp_neq_f32_e64 s[0:1], v6, v4
	s_and_b64 s[0:1], vcc, s[0:1]
	s_nop 0
	v_cndmask_b32_e64 v4, 1.0, v2, s[0:1]
	v_bfi_b32 v1, s15, v1, v4
	v_cndmask_b32_e32 v4, v5, v1, vcc
	v_cmp_gt_f32_e32 vcc, 0, v2
	s_nop 1
	v_cndmask_b32_e32 v1, v1, v4, vcc
	v_cmp_eq_f32_e32 vcc, s5, v20
	v_cmp_eq_f32_e64 s[4:5], 0, v2
	s_xor_b64 s[6:7], s[6:7], s[4:5]
	v_cndmask_b32_e64 v3, v3, 0, s[6:7]
	v_cndmask_b32_e64 v4, 0, v2, s[0:1]
	v_bfi_b32 v3, s15, v3, v4
	s_or_b64 vcc, vcc, s[4:5]
	v_cndmask_b32_e32 v1, v1, v3, vcc
	v_cmp_o_f32_e32 vcc, v2, v2
	s_nop 1
	v_cndmask_b32_e32 v24, v5, v1, vcc
.LBB19_291:
	s_mul_i32 s1, s11, s73
	v_readlane_b32 s0, v254, 21
	s_sub_i32 s1, s12, s1
	s_xor_b32 s0, s14, s0
	s_add_i32 s4, s11, 1
	s_sub_i32 s5, s1, s73
	s_cmp_ge_u32 s1, s73
	s_cselect_b32 s4, s4, s11
	s_cselect_b32 s1, s5, s1
	s_add_i32 s5, s4, 1
	s_cmp_ge_u32 s1, s73
	s_cselect_b32 s1, s5, s4
	s_xor_b32 s1, s1, s0
	v_readlane_b32 s16, v254, 22
	s_sub_i32 s4, s1, s0
	v_readlane_b32 s26, v254, 32
	v_readlane_b32 s27, v254, 33
	;; [unrolled: 1-line block ×3, first 2 shown]
	s_cmp_eq_u64 s[26:27], 0
	v_readlane_b32 s18, v254, 24
	v_readlane_b32 s19, v254, 25
	;; [unrolled: 1-line block ×12, first 2 shown]
	s_cbranch_scc1 .LBB19_293
; %bb.292:
	v_readlane_b32 s0, v254, 0
	s_mul_i32 s0, s8, s0
	s_add_i32 s0, s4, s0
	s_ashr_i32 s1, s0, 31
	s_lshl_b64 s[0:1], s[0:1], 2
	s_add_u32 s0, s26, s0
	s_addc_u32 s1, s27, s1
	v_mov_b32_e32 v1, 0
	global_load_dword v1, v1, s[0:1]
	s_waitcnt vmcnt(0)
	v_ashrrev_i32_e32 v2, 31, v1
	v_lshrrev_b32_e32 v2, 26, v2
	v_add_u32_e32 v1, v1, v2
	v_ashrrev_i32_e32 v1, 6, v1
	v_min_i32_e32 v108, v108, v1
.LBB19_293:
	v_readlane_b32 s6, v254, 8
	v_readlane_b32 s7, v254, 9
	s_mul_i32 s0, s8, s7
	s_ashr_i32 s1, s0, 31
	s_add_u32 s0, s16, s0
	s_mul_i32 s13, s13, s6
	s_addc_u32 s1, s17, s1
	s_ashr_i32 s5, s13, 31
	v_and_b32_e32 v33, 0x3ff, v0
	s_add_u32 s0, s0, s13
	v_lshrrev_b32_e32 v79, 5, v33
	s_addc_u32 s1, s1, s5
	s_lshl_b32 s45, s4, 5
	v_add_u32_e32 v0, v79, v119
	v_add_u32_e32 v1, s45, v0
	v_and_b32_e32 v32, 31, v33
	v_cmp_le_i32_e32 vcc, s76, v1
	s_and_saveexec_b64 s[4:5], vcc
	s_xor_b64 s[4:5], exec, s[4:5]
	s_cbranch_execz .LBB19_295
; %bb.294:
	v_mad_u32_u24 v1, v0, 60, v32
	v_lshl_add_u32 v1, v1, 2, 0
	v_mov_b32_e32 v2, 0
	ds_write_b32 v1, v2
                                        ; implicit-def: $vgpr1
.LBB19_295:
	s_andn2_saveexec_b64 s[4:5], s[4:5]
	s_cbranch_execz .LBB19_297
; %bb.296:
	v_mad_u64_u32 v[2:3], s[6:7], v1, s68, v[32:33]
	v_ashrrev_i32_e32 v3, 31, v2
	v_lshl_add_u64 v[2:3], v[2:3], 3, s[0:1]
	global_load_dwordx2 v[2:3], v[2:3], off
	s_waitcnt vmcnt(0)
	v_cvt_f16_f32_e32 v1, v2
	v_cvt_f16_f32_e32 v2, v3
	v_mad_u32_u24 v3, v0, 60, v32
	v_pack_b32_f16 v1, v1, v2
	v_pk_mul_f16 v1, v27, v1
	v_lshl_add_u32 v2, v3, 2, 0
	ds_write_b32 v2, v1
.LBB19_297:
	s_or_b64 exec, exec, s[4:5]
	v_add_u32_e32 v1, 8, v0
	v_add_u32_e32 v2, s45, v1
	v_cmp_le_i32_e32 vcc, s76, v2
	s_and_saveexec_b64 s[4:5], vcc
	s_xor_b64 s[4:5], exec, s[4:5]
	s_cbranch_execz .LBB19_299
; %bb.298:
	v_mad_u32_u24 v1, v1, 60, v32
	v_lshl_add_u32 v1, v1, 2, 0
	v_mov_b32_e32 v2, 0
	ds_write_b32 v1, v2
                                        ; implicit-def: $vgpr2
                                        ; implicit-def: $vgpr1
.LBB19_299:
	s_andn2_saveexec_b64 s[4:5], s[4:5]
	s_cbranch_execz .LBB19_301
; %bb.300:
	v_mad_u64_u32 v[2:3], s[6:7], v2, s68, v[32:33]
	v_ashrrev_i32_e32 v3, 31, v2
	v_lshl_add_u64 v[2:3], v[2:3], 3, s[0:1]
	global_load_dwordx2 v[2:3], v[2:3], off
	v_mad_u32_u24 v1, v1, 60, v32
	v_lshl_add_u32 v1, v1, 2, 0
	s_waitcnt vmcnt(0)
	v_cvt_f16_f32_e32 v2, v2
	v_cvt_f16_f32_e32 v3, v3
	v_pack_b32_f16 v2, v2, v3
	v_pk_mul_f16 v2, v27, v2
	ds_write_b32 v1, v2
.LBB19_301:
	s_or_b64 exec, exec, s[4:5]
	v_add_u32_e32 v1, 16, v0
	v_add_u32_e32 v2, s45, v1
	v_cmp_le_i32_e32 vcc, s76, v2
	s_and_saveexec_b64 s[4:5], vcc
	s_xor_b64 s[4:5], exec, s[4:5]
	s_cbranch_execz .LBB19_303
; %bb.302:
	v_mad_u32_u24 v1, v1, 60, v32
	v_lshl_add_u32 v1, v1, 2, 0
	v_mov_b32_e32 v2, 0
	ds_write_b32 v1, v2
                                        ; implicit-def: $vgpr2
                                        ; implicit-def: $vgpr1
.LBB19_303:
	s_andn2_saveexec_b64 s[4:5], s[4:5]
	s_cbranch_execz .LBB19_305
; %bb.304:
	v_mad_u64_u32 v[2:3], s[6:7], v2, s68, v[32:33]
	v_ashrrev_i32_e32 v3, 31, v2
	v_lshl_add_u64 v[2:3], v[2:3], 3, s[0:1]
	global_load_dwordx2 v[2:3], v[2:3], off
	v_mad_u32_u24 v1, v1, 60, v32
	v_lshl_add_u32 v1, v1, 2, 0
	s_waitcnt vmcnt(0)
	v_cvt_f16_f32_e32 v2, v2
	v_cvt_f16_f32_e32 v3, v3
	v_pack_b32_f16 v2, v2, v3
	v_pk_mul_f16 v2, v27, v2
	ds_write_b32 v1, v2
.LBB19_305:
	s_or_b64 exec, exec, s[4:5]
	v_add_u32_e32 v0, 24, v0
	v_add_u32_e32 v1, s45, v0
	v_cmp_le_i32_e32 vcc, s76, v1
	s_and_saveexec_b64 s[4:5], vcc
	s_xor_b64 s[4:5], exec, s[4:5]
	s_cbranch_execz .LBB19_307
; %bb.306:
	v_mad_u32_u24 v0, v0, 60, v32
	v_lshl_add_u32 v0, v0, 2, 0
	v_mov_b32_e32 v1, 0
	ds_write_b32 v0, v1
                                        ; implicit-def: $vgpr1
                                        ; implicit-def: $vgpr0
.LBB19_307:
	s_andn2_saveexec_b64 s[4:5], s[4:5]
	s_cbranch_execz .LBB19_309
; %bb.308:
	v_mad_u64_u32 v[2:3], s[6:7], v1, s68, v[32:33]
	v_ashrrev_i32_e32 v3, 31, v2
	v_lshl_add_u64 v[2:3], v[2:3], 3, s[0:1]
	global_load_dwordx2 v[2:3], v[2:3], off
	v_mad_u32_u24 v0, v0, 60, v32
	v_lshl_add_u32 v0, v0, 2, 0
	s_waitcnt vmcnt(0)
	v_cvt_f16_f32_e32 v1, v2
	v_cvt_f16_f32_e32 v2, v3
	v_pack_b32_f16 v1, v1, v2
	v_pk_mul_f16 v1, v27, v1
	ds_write_b32 v0, v1
.LBB19_309:
	s_or_b64 exec, exec, s[4:5]
	v_lshrrev_b32_e32 v78, 4, v33
	v_add_u32_e32 v0, v78, v118
	v_add_u32_e32 v1, s45, v0
	v_and_b32_e32 v30, 15, v33
	v_cmp_le_i32_e32 vcc, s76, v1
	s_and_saveexec_b64 s[4:5], vcc
	s_xor_b64 s[4:5], exec, s[4:5]
	s_cbranch_execz .LBB19_311
; %bb.310:
	v_mad_u32_u24 v1, v0, 60, v30
	v_lshl_add_u32 v1, v1, 2, 0
	v_mov_b32_e32 v2, 0
	ds_write_b32 v1, v2 offset:128
                                        ; implicit-def: $vgpr1
.LBB19_311:
	s_andn2_saveexec_b64 s[4:5], s[4:5]
	s_cbranch_execz .LBB19_313
; %bb.312:
	v_mul_lo_u32 v2, v1, s68
	v_ashrrev_i32_e32 v3, 31, v2
	v_mov_b32_e32 v31, 0
	v_lshl_add_u64 v[2:3], v[2:3], 0, v[30:31]
	v_lshl_add_u64 v[2:3], v[2:3], 3, s[0:1]
	global_load_dwordx2 v[2:3], v[2:3], off offset:256
	s_waitcnt vmcnt(0)
	v_cvt_f16_f32_e32 v1, v2
	v_cvt_f16_f32_e32 v2, v3
	v_mad_u32_u24 v3, v0, 60, v30
	v_pack_b32_f16 v1, v1, v2
	v_pk_mul_f16 v1, v27, v1
	v_lshl_add_u32 v2, v3, 2, 0
	ds_write_b32 v2, v1 offset:128
.LBB19_313:
	s_or_b64 exec, exec, s[4:5]
	v_add_u32_e32 v0, 16, v0
	v_add_u32_e32 v1, s45, v0
	v_cmp_le_i32_e32 vcc, s76, v1
	s_and_saveexec_b64 s[4:5], vcc
	s_xor_b64 s[4:5], exec, s[4:5]
	s_cbranch_execz .LBB19_315
; %bb.314:
	v_mad_u32_u24 v0, v0, 60, v30
	v_lshl_add_u32 v0, v0, 2, 0
	v_mov_b32_e32 v1, 0
	ds_write_b32 v0, v1 offset:128
                                        ; implicit-def: $vgpr1
                                        ; implicit-def: $vgpr0
.LBB19_315:
	s_andn2_saveexec_b64 s[4:5], s[4:5]
	s_cbranch_execz .LBB19_317
; %bb.316:
	v_mul_lo_u32 v2, v1, s68
	v_ashrrev_i32_e32 v3, 31, v2
	v_mov_b32_e32 v31, 0
	v_lshl_add_u64 v[2:3], v[2:3], 0, v[30:31]
	v_lshl_add_u64 v[2:3], v[2:3], 3, s[0:1]
	global_load_dwordx2 v[2:3], v[2:3], off offset:256
	v_mad_u32_u24 v0, v0, 60, v30
	v_lshl_add_u32 v0, v0, 2, 0
	s_waitcnt vmcnt(0)
	v_cvt_f16_f32_e32 v1, v2
	v_cvt_f16_f32_e32 v2, v3
	v_pack_b32_f16 v1, v1, v2
	v_pk_mul_f16 v1, v27, v1
	ds_write_b32 v0, v1 offset:128
.LBB19_317:
	s_or_b64 exec, exec, s[4:5]
	v_lshrrev_b32_e32 v61, 3, v33
	v_add_u32_e32 v95, v122, v61
	v_add_u32_e32 v0, s45, v95
	v_cmp_le_i32_e32 vcc, s76, v0
	s_and_saveexec_b64 s[4:5], vcc
	s_xor_b64 s[4:5], exec, s[4:5]
	s_cbranch_execz .LBB19_319
; %bb.318:
	v_and_b32_e32 v0, 7, v33
	v_mad_u32_u24 v0, v95, 60, v0
	v_lshl_add_u32 v0, v0, 2, 0
	v_mov_b32_e32 v1, 0
	ds_write_b32 v0, v1 offset:192
                                        ; implicit-def: $vgpr0
                                        ; implicit-def: $vgpr27
.LBB19_319:
	s_andn2_saveexec_b64 s[4:5], s[4:5]
	s_cbranch_execz .LBB19_321
; %bb.320:
	v_mul_lo_u32 v0, v0, s68
	v_and_b32_e32 v2, 7, v33
	v_ashrrev_i32_e32 v1, 31, v0
	v_mov_b32_e32 v3, 0
	v_lshl_add_u64 v[0:1], v[0:1], 0, v[2:3]
	v_lshl_add_u64 v[0:1], v[0:1], 3, s[0:1]
	global_load_dwordx2 v[0:1], v[0:1], off offset:384
	v_mad_u32_u24 v2, v95, 60, v2
	s_waitcnt vmcnt(0)
	v_cvt_f16_f32_e32 v0, v0
	v_cvt_f16_f32_e32 v1, v1
	v_pack_b32_f16 v0, v0, v1
	v_pk_mul_f16 v0, v27, v0
	v_lshl_add_u32 v1, v2, 2, 0
	ds_write_b32 v1, v0 offset:192
.LBB19_321:
	s_or_b64 exec, exec, s[4:5]
	v_readlane_b32 s4, v254, 11
	v_readlane_b32 s5, v254, 12
	s_mul_i32 s0, s8, s5
	s_mul_hi_u32 s1, s8, s4
	s_add_i32 s0, s1, s0
	s_mul_i32 s1, s10, s4
	v_readlane_b32 s12, v254, 22
	s_add_i32 s0, s0, s1
	s_mul_i32 s1, s8, s4
	v_readlane_b32 s16, v254, 26
	v_readlane_b32 s4, v254, 17
	;; [unrolled: 1-line block ×4, first 2 shown]
	s_add_u32 s1, s16, s1
	v_readlane_b32 s5, v254, 18
	v_readlane_b32 s7, v254, 20
	s_addc_u32 s0, s17, s0
	s_mov_b64 s[16:17], s[4:5]
	s_mul_i32 s4, s9, s7
	v_and_b32_e32 v12, 0x1ff0, v122
	s_movk_i32 s26, 0xf0
	v_and_b32_e32 v31, 0x7e, v61
	s_ashr_i32 s5, s4, 31
	v_mad_u32_u24 v0, v12, s26, 0
	v_mul_u32_u24_e32 v99, 0xf0, v30
	v_lshlrev_b32_e32 v100, 2, v31
	s_add_u32 s33, s1, s4
	v_add3_u32 v13, v0, v99, v100
	s_addc_u32 s44, s0, s5
	s_mul_i32 s0, s8, s17
	s_mul_hi_u32 s1, s8, s16
	s_waitcnt lgkmcnt(0)
	s_barrier
	ds_read2_b64 v[8:11], v13 offset1:4
	ds_read2_b64 v[4:7], v13 offset0:8 offset1:12
	ds_read2_b64 v[0:3], v13 offset0:16 offset1:20
	ds_read_b64 v[28:29], v13 offset:192
	s_add_i32 s0, s1, s0
	s_mul_i32 s10, s10, s16
	v_readlane_b32 s4, v254, 15
	v_readlane_b32 s14, v254, 24
	s_add_i32 s0, s0, s10
	s_mul_i32 s8, s8, s16
	v_readlane_b32 s5, v254, 16
	v_readlane_b32 s15, v254, 25
	s_add_u32 s1, s14, s8
	s_mul_i32 s9, s9, s5
	s_addc_u32 s0, s15, s0
	s_ashr_i32 s4, s9, 31
	v_add_u32_e32 v102, -1, v108
	s_add_u32 s47, s1, s9
	v_cmp_ge_i32_e32 vcc, s46, v102
	v_mul_lo_u32 v36, s90, v95
	v_mul_lo_u32 v26, s78, v95
	s_addc_u32 s48, s0, s4
	s_mov_b32 s49, 0
	s_and_b64 vcc, exec, vcc
	v_mov_b32_e32 v76, 0
	v_or_b32_e32 v98, v12, v30
	v_lshlrev_b32_e32 v38, 1, v33
	v_mbcnt_lo_u32_b32 v92, -1, 0
	v_lshrrev_b32_e32 v101, 1, v33
	v_lshrrev_b32_e32 v83, 2, v33
	v_ashrrev_i32_e32 v37, 31, v36
	v_add_u32_e32 v82, 32, v95
	v_lshl_add_u32 v34, s90, 5, v36
	v_and_b32_e32 v81, 8, v122
	v_ashrrev_i32_e32 v27, 31, v26
	v_lshlrev_b32_e32 v80, 1, v30
	v_readlane_b32 s13, v254, 23
	v_readlane_b32 s18, v254, 28
	;; [unrolled: 1-line block ×11, first 2 shown]
	s_waitcnt lgkmcnt(0)
	s_barrier
	s_cbranch_vccnz .LBB19_338
; %bb.322:
	v_add_u32_e32 v13, s45, v120
	v_mul_hi_u32 v14, s92, v13
	v_add_u32_e32 v14, v13, v14
	v_lshrrev_b32_e32 v14, s93, v14
	v_mul_lo_u32 v14, v14, s76
	v_mov_b32_e32 v12, 0
	v_sub_u32_e32 v14, v13, v14
	v_mov_b32_e32 v39, v12
	v_mad_i64_i32 v[42:43], s[4:5], v14, s66, 0
	v_mul_u32_u24_e32 v14, 0x90, v120
	v_lshl_add_u64 v[40:41], s[2:3], 0, v[38:39]
	v_add3_u32 v39, 0, v14, v38
	v_add_u32_e32 v14, 4, v13
	v_mul_hi_u32 v15, s92, v14
	v_add_u32_e32 v15, v14, v15
	v_lshrrev_b32_e32 v15, s93, v15
	v_mul_lo_u32 v15, v15, s76
	v_sub_u32_e32 v14, v14, v15
	v_mad_i64_i32 v[44:45], s[4:5], v14, s66, 0
	v_add_u32_e32 v14, 8, v13
	v_mul_hi_u32 v15, s92, v14
	v_add_u32_e32 v15, v14, v15
	v_lshrrev_b32_e32 v15, s93, v15
	v_mul_lo_u32 v15, v15, s76
	v_sub_u32_e32 v14, v14, v15
	v_mad_i64_i32 v[46:47], s[4:5], v14, s66, 0
	;; [unrolled: 7-line block ×5, first 2 shown]
	v_add_u32_e32 v14, 24, v13
	v_mul_hi_u32 v15, s92, v14
	v_add_u32_e32 v15, v14, v15
	v_lshrrev_b32_e32 v15, s93, v15
	v_mul_lo_u32 v15, v15, s76
	v_sub_u32_e32 v14, v14, v15
	v_add_u32_e32 v13, 28, v13
	v_mad_i64_i32 v[54:55], s[4:5], v14, s66, 0
	v_mul_hi_u32 v14, s92, v13
	v_add_u32_e32 v14, v13, v14
	v_lshrrev_b32_e32 v14, s93, v14
	v_mul_lo_u32 v14, v14, s76
	v_sub_u32_e32 v13, v13, v14
	v_mad_i64_i32 v[56:57], s[4:5], v13, s66, 0
	v_mbcnt_hi_u32_b32 v13, -1, v92
	v_and_b32_e32 v14, 64, v13
	v_add_u32_e32 v14, 64, v14
	v_xor_b32_e32 v15, 32, v13
	v_cmp_lt_i32_e32 vcc, v15, v14
	v_and_b32_e32 v18, 16, v121
	v_and_b32_e32 v21, 0xfc, v83
	v_cndmask_b32_e32 v15, v13, v15, vcc
	v_lshlrev_b32_e32 v110, 2, v15
	v_xor_b32_e32 v15, 16, v13
	v_cmp_lt_i32_e32 vcc, v15, v14
	s_movk_i32 s10, 0x90
	v_mul_u32_u24_e32 v20, 0xf0, v18
	v_cndmask_b32_e32 v13, v13, v15, vcc
	v_lshlrev_b32_e32 v15, 2, v33
	v_lshlrev_b32_e32 v111, 2, v13
	v_lshl_add_u32 v13, v120, 5, v101
	v_and_b32_e32 v60, 4, v15
	v_add_u32_e32 v22, v18, v21
	v_add_u16_e32 v18, v18, v21
	v_mad_u32_u24 v14, v13, s26, 0
	v_lshlrev_b32_e32 v16, 2, v60
	s_movk_i32 s4, 0xc0
	v_mad_u32_u24 v23, v98, s10, 0
	v_lshrrev_b16_e32 v18, 1, v18
	v_add3_u32 v112, v14, v16, s4
	v_add_u32_e32 v14, v121, v83
	v_lshl_add_u32 v18, v18, 2, v23
	v_lshl_add_u32 v23, v22, 1, v23
	v_cmp_gt_u32_e64 s[10:11], 64, v22
	v_cmp_gt_u32_e64 s[12:13], 63, v22
	;; [unrolled: 1-line block ×8, first 2 shown]
	v_mul_u32_u24_e32 v22, 0x78, v21
	s_movk_i32 s27, 0x1e0
	s_cmp_lg_u64 s[2:3], 0
	v_cmp_gt_u32_e64 s[28:29], 64, v13
	v_mul_lo_u32 v58, s90, v13
	v_mad_u32_u24 v16, v14, s26, 0
	v_cmp_gt_u32_e64 s[4:5], 64, v14
	v_mul_lo_u32 v62, s90, v14
	v_add_u32_e32 v113, 64, v23
	v_add_u32_e32 v114, 0x44, v23
	v_mul_lo_u32 v64, s78, v13
	v_or_b32_e32 v13, 3, v83
	v_mul_u32_u24_e32 v23, 0xf0, v21
	v_or_b32_e32 v22, v22, v30
	v_mul_lo_u32 v68, s78, v14
	v_mul_u32_u24_e32 v14, 0x1e0, v81
	v_mad_u32_u24 v25, v81, s27, 0
	s_cselect_b64 s[30:31], -1, 0
	v_mul_u32_u24_e32 v13, 0xf0, v13
	v_lshlrev_b32_e32 v22, 1, v22
	v_add3_u32 v116, v25, v23, v80
	v_add3_u32 v23, 0, 32, v14
	;; [unrolled: 1-line block ×3, first 2 shown]
	s_add_i32 s37, 0, 0x60
	v_add_u32_e32 v115, v25, v22
	v_add3_u32 v117, v25, v13, v80
	v_add_u32_e32 v126, v23, v22
	v_mad_u32_u24 v25, v21, s26, v23
	v_add3_u32 v128, v23, v13, v80
	v_add_u32_e32 v130, v14, v22
	v_mad_u32_u24 v23, v21, s26, v14
	v_add3_u32 v132, v14, v13, v80
	v_mov_b32_e32 v14, s37
	s_movk_i32 s36, 0x1e00
	v_mad_u32_u24 v14, v81, s27, v14
	s_add_i32 s38, 0, 0x80
	v_add3_u32 v131, v23, v80, s36
	v_add_u32_e32 v134, v14, v22
	v_mad_u32_u24 v23, v21, s26, v14
	v_add3_u32 v136, v14, v13, v80
	v_mov_b32_e32 v14, s38
	v_mad_u32_u24 v14, v81, s27, v14
	s_add_i32 s38, 0, 0xa0
	v_add3_u32 v135, v23, v80, s36
	v_add_u32_e32 v138, v14, v22
	v_mad_u32_u24 v23, v21, s26, v14
	v_add3_u32 v140, v14, v13, v80
	v_mov_b32_e32 v14, s38
	;; [unrolled: 7-line block ×3, first 2 shown]
	v_mad_u32_u24 v14, v81, s27, v14
	v_add_u32_e32 v146, v14, v22
	v_mad_u32_u24 v21, v21, s26, v14
	v_add3_u32 v148, v14, v13, v80
	v_and_b32_e32 v14, 12, v15
	s_movk_i32 s37, 0x80
	v_lshlrev_b32_e32 v13, 2, v14
	v_add3_u32 v149, v16, v13, s37
	v_and_b32_e32 v16, 28, v15
	v_mul_u32_u24_e32 v17, 0xf0, v95
	v_lshlrev_b32_e32 v13, 2, v16
	s_mov_b64 s[34:35], src_private_base
	v_add3_u32 v19, 0, v99, v100
	v_mul_lo_u32 v66, s78, v82
	v_add3_u32 v150, 0, v17, v13
	v_cmp_lt_u32_e64 s[0:1], 63, v33
	v_add_u32_e32 v103, 0x240, v39
	v_add_u32_e32 v104, 0x480, v39
	;; [unrolled: 1-line block ×7, first 2 shown]
	s_mov_b32 s34, 0
	v_ashrrev_i32_e32 v59, 31, v58
	v_ashrrev_i32_e32 v63, 31, v62
	v_cmp_gt_u32_e64 s[6:7], 64, v95
	v_cmp_gt_u32_e64 s[8:9], 32, v95
	v_ashrrev_i32_e32 v35, 31, v34
	v_ashrrev_i32_e32 v65, 31, v64
	;; [unrolled: 1-line block ×4, first 2 shown]
	v_add_u32_e32 v124, 0x1e00, v116
	v_add_u32_e32 v125, 32, v116
	v_add3_u32 v127, v25, v80, s36
	v_add_u32_e32 v129, 64, v116
	v_add_u32_e32 v133, 0x60, v116
	;; [unrolled: 1-line block ×4, first 2 shown]
	v_add3_u32 v143, v23, v80, s36
	v_add_u32_e32 v145, 0xc0, v116
	v_add3_u32 v147, v21, v80, s36
	v_add_u32_e32 v151, 0x1e00, v150
	v_mov_b32_e32 v70, v24
	v_mov_b32_e32 v71, v24
	s_lshl_b32 s36, s46, 6
	v_mov_b32_e32 v156, 0xfeffffff
	v_lshlrev_b32_e32 v72, 2, v14
	s_mov_b64 s[38:39], 0x80
	v_lshlrev_b32_e32 v74, 2, v16
	v_add_u32_e32 v152, v19, v20
	v_add_u32_e32 v153, 0x3c00, v18
	s_mov_b32 s50, 0x3fb8aa3b
	s_mov_b32 s51, 0xc2ce8ed0
	;; [unrolled: 1-line block ×5, first 2 shown]
	v_mov_b32_e32 v154, 0x7f800000
	v_mov_b32_e32 v155, 0
	;; [unrolled: 1-line block ×16, first 2 shown]
.LBB19_323:                             ; =>This Inner Loop Header: Depth=1
	v_cndmask_b32_e64 v13, 0, 1, s[30:31]
	v_cmp_ne_u32_e64 s[26:27], 1, v13
	s_andn2_b64 vcc, exec, s[30:31]
	s_ashr_i32 s37, s36, 31
	s_cbranch_vccnz .LBB19_329
; %bb.324:                              ;   in Loop: Header=BB19_323 Depth=1
                                        ; implicit-def: $sgpr42
	s_and_saveexec_b64 s[40:41], s[0:1]
	s_xor_b64 s[40:41], exec, s[40:41]
	s_cbranch_execz .LBB19_326
; %bb.325:                              ;   in Loop: Header=BB19_323 Depth=1
	ds_write_b16 v39, v12 offset:15360
	ds_write_b16 v103, v12 offset:15360
	;; [unrolled: 1-line block ×4, first 2 shown]
	s_mov_b32 s42, 0
.LBB19_326:                             ;   in Loop: Header=BB19_323 Depth=1
	s_or_saveexec_b64 s[40:41], s[40:41]
	v_mov_b32_e32 v13, s42
	v_mov_b32_e32 v14, s42
	;; [unrolled: 1-line block ×4, first 2 shown]
	s_xor_b64 exec, exec, s[40:41]
	s_cbranch_execz .LBB19_328
; %bb.327:                              ;   in Loop: Header=BB19_323 Depth=1
	v_lshl_add_u64 v[14:15], s[36:37], 1, v[40:41]
	v_lshl_add_u64 v[16:17], v[42:43], 1, v[14:15]
	;; [unrolled: 1-line block ×5, first 2 shown]
	flat_load_ushort v13, v[16:17]
	flat_load_ushort v25, v[18:19]
	;; [unrolled: 1-line block ×4, first 2 shown]
	v_lshl_add_u64 v[16:17], v[50:51], 1, v[14:15]
	v_lshl_add_u64 v[18:19], v[52:53], 1, v[14:15]
	;; [unrolled: 1-line block ×4, first 2 shown]
	s_waitcnt vmcnt(0) lgkmcnt(0)
	ds_write_b16 v39, v13 offset:15360
	ds_write_b16 v103, v25 offset:15360
	;; [unrolled: 1-line block ×4, first 2 shown]
	flat_load_ushort v13, v[16:17]
	flat_load_ushort v14, v[18:19]
	;; [unrolled: 1-line block ×3, first 2 shown]
	s_nop 0
	flat_load_ushort v16, v[22:23]
.LBB19_328:                             ;   in Loop: Header=BB19_323 Depth=1
	s_or_b64 exec, exec, s[40:41]
	s_waitcnt vmcnt(0) lgkmcnt(0)
	ds_write_b16 v106, v13 offset:15360
	ds_write_b16 v107, v14 offset:15360
	ds_write_b16 v108, v15 offset:15360
	ds_write_b16 v109, v16 offset:15360
.LBB19_329:                             ;   in Loop: Header=BB19_323 Depth=1
	s_mul_hi_i32 s41, s36, s90
	s_mul_i32 s40, s36, s90
	s_lshl_b64 s[40:41], s[40:41], 2
	s_add_u32 s40, s47, s40
	s_addc_u32 s41, s48, s41
	v_mov_b32_e32 v13, v12
	v_mov_b32_e32 v14, v12
	;; [unrolled: 1-line block ×3, first 2 shown]
	scratch_store_dwordx4 off, v[12:15], off
	s_and_saveexec_b64 s[42:43], s[28:29]
	s_cbranch_execz .LBB19_331
; %bb.330:                              ;   in Loop: Header=BB19_323 Depth=1
	v_lshl_add_u64 v[14:15], v[58:59], 2, s[40:41]
	v_lshlrev_b32_e32 v16, 2, v60
	v_mov_b32_e32 v17, v12
	v_lshl_add_u64 v[14:15], v[14:15], 0, v[16:17]
	global_load_dwordx4 v[14:17], v[14:15], off offset:192
	s_waitcnt vmcnt(0)
	ds_write_b128 v112, v[14:17]
.LBB19_331:                             ;   in Loop: Header=BB19_323 Depth=1
	s_or_b64 exec, exec, s[42:43]
	v_lshl_add_u64 v[14:15], v[62:63], 2, s[40:41]
	v_mov_b32_e32 v73, v12
	v_lshl_add_u64 v[14:15], v[14:15], 0, v[72:73]
	v_lshl_add_u64 v[14:15], v[14:15], 0, s[38:39]
	v_mov_b32_e32 v13, s35
	v_mov_b32_e32 v20, s34
	v_cndmask_b32_e64 v15, v13, v15, s[4:5]
	v_cndmask_b32_e64 v14, v20, v14, s[4:5]
	flat_load_dwordx4 v[14:17], v[14:15]
	v_lshl_add_u64 v[18:19], v[36:37], 2, s[40:41]
	v_mov_b32_e32 v75, v12
	v_lshl_add_u64 v[18:19], v[18:19], 0, v[74:75]
	v_cndmask_b32_e64 v19, v13, v19, s[6:7]
	v_cndmask_b32_e64 v18, v20, v18, s[6:7]
	s_and_b64 vcc, exec, s[26:27]
	s_waitcnt vmcnt(0) lgkmcnt(0)
	ds_write_b128 v149, v[14:17]
	flat_load_dwordx4 v[14:17], v[18:19]
	v_lshl_add_u64 v[18:19], v[34:35], 2, s[40:41]
	v_lshl_add_u64 v[18:19], v[18:19], 0, v[74:75]
	v_cndmask_b32_e64 v19, v13, v19, s[8:9]
	v_cndmask_b32_e64 v18, v20, v18, s[8:9]
	v_add_u32_e32 v13, 0x1800, v152
	s_waitcnt vmcnt(0) lgkmcnt(0)
	ds_write_b128 v150, v[14:17]
	flat_load_dwordx4 v[14:17], v[18:19]
	s_waitcnt vmcnt(0) lgkmcnt(0)
	ds_write_b128 v151, v[14:17]
	s_waitcnt lgkmcnt(0)
	s_barrier
	ds_read2_b64 v[14:17], v152 offset1:4
	ds_read2_b64 v[158:161], v13 offset0:192 offset1:196
	s_waitcnt lgkmcnt(1)
	v_mfma_f32_16x16x16_f16 v[18:21], v[14:15], v[8:9], 0
	ds_read_b64 v[22:23], v152 offset:192
	s_waitcnt lgkmcnt(1)
	v_mfma_f32_16x16x16_f16 v[162:165], v[158:159], v[8:9], 0
	v_mfma_f32_16x16x16_f16 v[14:17], v[16:17], v[10:11], v[18:21]
	v_mfma_f32_16x16x16_f16 v[18:21], v[160:161], v[10:11], v[162:165]
	ds_read2_b64 v[158:161], v152 offset0:8 offset1:12
	s_nop 3
	ds_read2_b64 v[162:165], v13 offset0:200 offset1:204
	s_waitcnt lgkmcnt(1)
	v_mfma_f32_16x16x16_f16 v[14:17], v[158:159], v[4:5], v[14:17]
	s_waitcnt lgkmcnt(0)
	v_mfma_f32_16x16x16_f16 v[18:21], v[162:163], v[4:5], v[18:21]
	v_mfma_f32_16x16x16_f16 v[14:17], v[160:161], v[6:7], v[14:17]
	ds_read2_b64 v[158:161], v152 offset0:16 offset1:20
	v_mfma_f32_16x16x16_f16 v[18:21], v[164:165], v[6:7], v[18:21]
	ds_read2_b64 v[162:165], v13 offset0:208 offset1:212
	s_waitcnt lgkmcnt(1)
	v_mfma_f32_16x16x16_f16 v[14:17], v[158:159], v[0:1], v[14:17]
	s_waitcnt lgkmcnt(0)
	v_mfma_f32_16x16x16_f16 v[18:21], v[162:163], v[0:1], v[18:21]
	v_mfma_f32_16x16x16_f16 v[14:17], v[160:161], v[2:3], v[14:17]
	;; [unrolled: 1-line block ×3, first 2 shown]
	s_nop 4
	ds_read_b64 v[18:19], v152 offset:7872
	v_mfma_f32_16x16x16_f16 v[20:23], v[22:23], v[28:29], v[14:17]
	s_waitcnt lgkmcnt(0)
	s_barrier
	v_mfma_f32_16x16x16_f16 v[16:19], v[18:19], v[28:29], v[158:161]
	s_cbranch_vccnz .LBB19_333
; %bb.332:                              ;   in Loop: Header=BB19_323 Depth=1
	ds_read2_b32 v[14:15], v153 offset1:1
	ds_read_b32 v13, v113 offset:15360
	ds_read_b32 v73, v114 offset:15360
	v_mov_b32_e32 v25, v24
	s_waitcnt lgkmcnt(2)
	v_cvt_f32_f16_e32 v158, v14
	v_cvt_f32_f16_sdwa v159, v14 dst_sel:DWORD dst_unused:UNUSED_PAD src0_sel:WORD_1
	v_cvt_f32_f16_e32 v14, v15
	v_cvt_f32_f16_sdwa v15, v15 dst_sel:DWORD dst_unused:UNUSED_PAD src0_sel:WORD_1
	s_waitcnt lgkmcnt(1)
	v_cvt_f32_f16_sdwa v161, v13 dst_sel:DWORD dst_unused:UNUSED_PAD src0_sel:WORD_1
	s_waitcnt lgkmcnt(0)
	v_cvt_f32_f16_sdwa v163, v73 dst_sel:DWORD dst_unused:UNUSED_PAD src0_sel:WORD_1
	v_cvt_f32_f16_e32 v162, v73
	v_cvt_f32_f16_e32 v160, v13
	v_pk_fma_f32 v[22:23], v[24:25], v[14:15], v[22:23]
	v_pk_fma_f32 v[20:21], v[70:71], v[158:159], v[20:21]
	;; [unrolled: 1-line block ×4, first 2 shown]
.LBB19_333:                             ;   in Loop: Header=BB19_323 Depth=1
	s_nop 2
	v_add_f32_e32 v13, 0x40051340, v20
	v_max_f32_e32 v14, v156, v156
	v_max_f32_e32 v13, v14, v13
	v_cndmask_b32_e64 v13, v156, v13, s[10:11]
	v_add_f32_e32 v14, 0x40051340, v21
	v_max_f32_e32 v15, v13, v13
	v_max_f32_e32 v14, v15, v14
	v_cndmask_b32_e64 v13, v13, v14, s[12:13]
	;; [unrolled: 4-line block ×8, first 2 shown]
	ds_bpermute_b32 v14, v110, v13
	v_max_f32_e32 v13, v13, v13
	s_mul_hi_i32 s27, s36, s78
	s_mul_i32 s26, s36, s78
	s_lshl_b64 s[26:27], s[26:27], 2
	s_waitcnt lgkmcnt(0)
	v_max_f32_e32 v14, v14, v14
	v_max_f32_e32 v25, v13, v14
	ds_bpermute_b32 v75, v111, v25
	s_add_u32 s26, s33, s26
	s_addc_u32 s27, s44, s27
	v_mov_b32_e32 v13, v12
	v_mov_b32_e32 v14, v12
	;; [unrolled: 1-line block ×3, first 2 shown]
	scratch_store_dwordx4 off, v[12:15], off
	s_and_saveexec_b64 s[40:41], s[28:29]
	s_cbranch_execz .LBB19_335
; %bb.334:                              ;   in Loop: Header=BB19_323 Depth=1
	v_lshl_add_u64 v[14:15], v[64:65], 2, s[26:27]
	v_lshlrev_b32_e32 v158, 2, v60
	v_mov_b32_e32 v159, v12
	v_lshl_add_u64 v[14:15], v[14:15], 0, v[158:159]
	global_load_dwordx4 v[158:161], v[14:15], off offset:192
	s_waitcnt vmcnt(0)
	ds_write_b128 v112, v[158:161]
.LBB19_335:                             ;   in Loop: Header=BB19_323 Depth=1
	s_or_b64 exec, exec, s[40:41]
	v_lshl_add_u64 v[14:15], v[68:69], 2, s[26:27]
	v_mov_b32_e32 v73, v12
	v_lshl_add_u64 v[14:15], v[14:15], 0, v[72:73]
	v_lshl_add_u64 v[14:15], v[14:15], 0, s[38:39]
	v_mov_b32_e32 v73, s35
	v_mov_b32_e32 v157, s34
	v_cndmask_b32_e64 v15, v73, v15, s[4:5]
	v_cndmask_b32_e64 v14, v157, v14, s[4:5]
	flat_load_dwordx4 v[158:161], v[14:15]
	s_waitcnt lgkmcnt(0)
	v_max_f32_e32 v166, v75, v75
	v_max_f32_e32 v25, v25, v25
	v_lshl_add_u64 v[162:163], v[26:27], 2, s[26:27]
	v_mov_b32_e32 v75, v12
	v_lshl_add_u64 v[164:165], v[66:67], 2, s[26:27]
	v_max_f32_e32 v25, v25, v166
	v_lshl_add_u64 v[162:163], v[162:163], 0, v[74:75]
	v_lshl_add_u64 v[164:165], v[164:165], 0, v[74:75]
	v_sub_f32_e32 v75, v20, v25
	v_sub_f32_e32 v166, v21, v25
	v_cndmask_b32_e64 v21, v73, v163, s[6:7]
	v_cndmask_b32_e64 v20, v157, v162, s[6:7]
	v_sub_f32_e32 v171, v156, v25
	v_cndmask_b32_e64 v162, v157, v164, s[8:9]
	v_cndmask_b32_e64 v163, v73, v165, s[8:9]
	v_cndmask_b32_e64 v167, v22, v22, s[12:13]
	v_mul_f32_e32 v73, 0x3fb8aa3b, v75
	v_cndmask_b32_e64 v23, v23, v23, s[12:13]
	v_sub_f32_e32 v167, v167, v25
	v_mul_f32_e32 v164, 0x3fb8aa3b, v166
	v_fma_f32 v178, v75, s50, -v73
	v_rndne_f32_e32 v179, v73
	v_sub_f32_e32 v23, v23, v25
	v_mul_f32_e32 v165, 0x3fb8aa3b, v167
	v_fma_f32 v180, v166, s50, -v164
	v_rndne_f32_e32 v181, v164
	v_fmac_f32_e32 v178, 0x32a5705f, v75
	v_sub_f32_e32 v73, v73, v179
	v_cndmask_b32_e64 v170, v17, v17, s[18:19]
	v_sub_f32_e32 v16, v16, v25
	v_mul_f32_e32 v172, 0x3fb8aa3b, v23
	v_fma_f32 v182, v167, s50, -v165
	v_rndne_f32_e32 v183, v165
	v_fmac_f32_e32 v180, 0x32a5705f, v166
	v_sub_f32_e32 v164, v164, v181
	v_add_f32_e32 v73, v73, v178
	v_cndmask_b32_e64 v169, v18, v18, s[18:19]
	v_sub_f32_e32 v170, v170, v25
	v_mul_f32_e32 v173, 0x3fb8aa3b, v16
	v_fma_f32 v184, v23, s50, -v172
	v_rndne_f32_e32 v185, v172
	v_cvt_i32_f32_e32 v179, v179
	v_fmac_f32_e32 v182, 0x32a5705f, v167
	v_sub_f32_e32 v165, v165, v183
	v_add_f32_e32 v164, v164, v180
	v_exp_f32_e32 v73, v73
	v_cndmask_b32_e64 v168, v19, v19, s[18:19]
	v_sub_f32_e32 v169, v169, v25
	v_mul_f32_e32 v174, 0x3fb8aa3b, v170
	v_fma_f32 v186, v16, s50, -v173
	v_cvt_i32_f32_e32 v181, v181
	v_fmac_f32_e32 v184, 0x32a5705f, v23
	v_sub_f32_e32 v172, v172, v185
	v_add_f32_e32 v165, v165, v182
	v_exp_f32_e32 v164, v164
	v_sub_f32_e32 v168, v168, v25
	v_mul_f32_e32 v175, 0x3fb8aa3b, v169
	v_cvt_i32_f32_e32 v183, v183
	v_fmac_f32_e32 v186, 0x32a5705f, v16
	v_add_f32_e32 v172, v172, v184
	v_exp_f32_e32 v165, v165
	v_mul_f32_e32 v176, 0x3fb8aa3b, v168
	v_rndne_f32_e32 v187, v175
	v_cvt_i32_f32_e32 v185, v185
	v_exp_f32_e32 v172, v172
	v_mul_f32_e32 v177, 0x3fb8aa3b, v171
	v_fma_f32 v188, v168, s50, -v176
	v_rndne_f32_e32 v189, v176
	v_ldexp_f32 v73, v73, v179
	v_cmp_ngt_f32_e32 vcc, s51, v75
	v_fma_f32 v190, v171, s50, -v177
	v_rndne_f32_e32 v191, v177
	v_fmac_f32_e32 v188, 0x32a5705f, v168
	v_sub_f32_e32 v176, v176, v189
	v_ldexp_f32 v164, v164, v181
	v_cndmask_b32_e32 v73, 0, v73, vcc
	v_cmp_ngt_f32_e32 vcc, s51, v166
	v_fmac_f32_e32 v190, 0x32a5705f, v171
	v_sub_f32_e32 v177, v177, v191
	s_waitcnt vmcnt(0)
	ds_write_b128 v149, v[158:161]
	flat_load_dwordx4 v[156:159], v[20:21]
	v_rndne_f32_e32 v20, v173
	v_fma_f32 v21, v170, s50, -v174
	v_rndne_f32_e32 v160, v174
	v_sub_f32_e32 v173, v173, v20
	v_fma_f32 v161, v169, s50, -v175
	v_fmac_f32_e32 v21, 0x32a5705f, v170
	v_sub_f32_e32 v174, v174, v160
	v_add_f32_e32 v173, v173, v186
	v_cvt_i32_f32_e32 v20, v20
	v_fmac_f32_e32 v161, 0x32a5705f, v169
	v_sub_f32_e32 v175, v175, v187
	v_add_f32_e32 v21, v174, v21
	v_exp_f32_e32 v173, v173
	v_cvt_i32_f32_e32 v160, v160
	v_add_f32_e32 v161, v175, v161
	v_exp_f32_e32 v21, v21
	v_cvt_i32_f32_e32 v187, v187
	v_add_f32_e32 v174, v176, v188
	v_exp_f32_e32 v161, v161
	v_ldexp_f32 v165, v165, v183
	v_cndmask_b32_e32 v164, 0, v164, vcc
	v_cmp_ngt_f32_e32 vcc, s51, v167
	v_cvt_i32_f32_e32 v189, v189
	v_add_f32_e32 v175, v177, v190
	v_exp_f32_e32 v174, v174
	v_ldexp_f32 v172, v172, v185
	v_cndmask_b32_e32 v165, 0, v165, vcc
	v_cmp_ngt_f32_e32 vcc, s51, v23
	v_cvt_i32_f32_e32 v191, v191
	v_exp_f32_e32 v175, v175
	v_ldexp_f32 v20, v173, v20
	v_cndmask_b32_e32 v172, 0, v172, vcc
	v_cmp_ngt_f32_e32 vcc, s51, v16
	v_ldexp_f32 v21, v21, v160
	v_ldexp_f32 v160, v161, v187
	v_cndmask_b32_e32 v20, 0, v20, vcc
	v_cmp_ngt_f32_e32 vcc, s51, v170
	v_ldexp_f32 v161, v174, v189
	v_ldexp_f32 v173, v175, v191
	v_cndmask_b32_e32 v21, 0, v21, vcc
	v_cmp_ngt_f32_e32 vcc, s51, v169
	v_mov_b32_e32 v13, s49
	v_mov_b32_e32 v17, s49
	v_cndmask_b32_e32 v160, 0, v160, vcc
	v_cmp_ngt_f32_e32 vcc, s51, v168
	v_mov_b32_e32 v22, s49
	v_mov_b32_e32 v18, s49
	;; [unrolled: 4-line block ×3, first 2 shown]
	v_mov_b32_e32 v15, s49
	s_add_i32 s46, s46, 1
	s_add_i32 s36, s36, 64
	s_waitcnt vmcnt(0) lgkmcnt(0)
	ds_write_b128 v150, v[156:159]
	flat_load_dwordx4 v[156:159], v[162:163]
	v_cndmask_b32_e32 v162, 0, v173, vcc
	v_cmp_nlt_f32_e32 vcc, s52, v75
	s_waitcnt vmcnt(0) lgkmcnt(0)
	ds_write_b128 v151, v[156:159]
	v_cndmask_b32_e32 v73, v154, v73, vcc
	v_cmp_nlt_f32_e32 vcc, s52, v166
	s_waitcnt lgkmcnt(0)
	s_barrier
	v_cndmask_b32_e32 v75, v154, v164, vcc
	v_cmp_nlt_f32_e32 vcc, s52, v167
	v_cndmask_b32_e64 v13, v13, v75, s[12:13]
	v_cvt_f16_f32_e32 v13, v13
	v_cndmask_b32_e32 v163, v154, v165, vcc
	v_cmp_nlt_f32_e32 vcc, s52, v23
	v_cndmask_b32_e64 v14, v14, v163, s[14:15]
	v_cvt_f16_f32_e32 v14, v14
	v_cndmask_b32_e32 v23, v154, v172, vcc
	v_cmp_nlt_f32_e32 vcc, s52, v16
	v_cndmask_b32_e64 v16, 0, v73, s[10:11]
	v_cndmask_b32_e64 v19, v19, v23, s[16:17]
	v_cndmask_b32_e32 v164, v154, v20, vcc
	v_cmp_nlt_f32_e32 vcc, s52, v170
	s_nop 1
	v_cndmask_b32_e32 v165, v154, v21, vcc
	v_cmp_nlt_f32_e32 vcc, s52, v169
	v_cndmask_b32_e64 v21, v22, v164, s[18:19]
	v_cndmask_b32_e64 v15, v15, v165, s[20:21]
	v_cndmask_b32_e32 v160, v154, v160, vcc
	v_cmp_nlt_f32_e32 vcc, s52, v168
	v_cndmask_b32_e64 v18, v18, v160, s[22:23]
	v_cvt_f16_f32_e32 v21, v21
	v_cndmask_b32_e32 v161, v154, v161, vcc
	v_cmp_nlt_f32_e32 vcc, s52, v171
	v_cndmask_b32_e64 v17, v17, v161, s[24:25]
	v_cvt_f16_f32_e32 v166, v17
	v_cndmask_b32_e32 v20, v154, v162, vcc
	v_cmp_le_f32_e32 vcc, s53, v171
	v_cvt_f16_f32_e32 v17, v16
	v_cvt_f16_f32_e32 v15, v15
	v_cndmask_b32_e32 v162, 0, v20, vcc
	v_add_f32_e32 v20, v75, v16
	v_cvt_f16_f32_e32 v22, v162
	v_cndmask_b32_e64 v16, v16, v20, s[12:13]
	v_cvt_f16_f32_e32 v75, v18
	v_cvt_f16_f32_e32 v18, v19
	v_add_f32_e32 v19, v16, v163
	v_cndmask_b32_e64 v16, v16, v19, s[14:15]
	v_add_f32_e32 v19, v16, v23
	v_pk_mul_f16 v23, v22, v93 op_sel_hi:[0,1]
	v_pk_mul_f16 v168, v22, v76 op_sel_hi:[0,1]
	v_pack_b32_f16 v76, v17, v13
	v_cndmask_b32_e64 v13, v16, v19, s[16:17]
	v_cvt_f32_f16_e32 v16, v23
	v_cvt_f32_f16_sdwa v17, v23 dst_sel:DWORD dst_unused:UNUSED_PAD src0_sel:WORD_1
	v_add_f32_e32 v23, v164, v13
	v_cndmask_b32_e64 v13, v13, v23, s[18:19]
	v_add_f32_e32 v23, v165, v13
	v_cndmask_b32_e64 v13, v13, v23, s[20:21]
	v_add_f32_e32 v23, v160, v13
	v_cndmask_b32_e64 v13, v13, v23, s[22:23]
	v_pk_mul_f16 v73, v22, v97 op_sel_hi:[0,1]
	v_add_f32_e32 v23, v161, v13
	v_pk_mul_f16 v20, v22, v94 op_sel_hi:[0,1]
	v_pk_mul_f16 v93, v22, v96 op_sel_hi:[0,1]
	;; [unrolled: 1-line block ×3, first 2 shown]
	v_pack_b32_f16 v77, v14, v18
	v_cvt_f32_f16_e32 v18, v73
	v_cvt_f32_f16_sdwa v19, v73 dst_sel:DWORD dst_unused:UNUSED_PAD src0_sel:WORD_1
	v_cndmask_b32_e64 v73, v13, v23, s[24:25]
	v_pk_mul_f16 v94, v22, v85 op_sel_hi:[0,1]
	v_pk_mul_f16 v96, v22, v84 op_sel_hi:[0,1]
	;; [unrolled: 1-line block ×8, first 2 shown]
	v_pack_b32_f16 v22, v21, v15
	v_cvt_f32_f16_e32 v14, v20
	v_cvt_f32_f16_sdwa v15, v20 dst_sel:DWORD dst_unused:UNUSED_PAD src0_sel:WORD_1
	v_cvt_f32_f16_e32 v20, v93
	v_cvt_f32_f16_sdwa v21, v93 dst_sel:DWORD dst_unused:UNUSED_PAD src0_sel:WORD_1
	v_fmac_f32_e32 v73, v155, v162
	ds_read_u16 v13, v124 offset:480
	ds_read_u16 v23, v125 offset:240
	;; [unrolled: 1-line block ×5, first 2 shown]
	ds_read_u16 v84, v115
	ds_read_u16 v156, v115 offset:32
	ds_read_u16 v157, v115 offset:64
	;; [unrolled: 1-line block ×7, first 2 shown]
	ds_read_u16 v161, v117
	ds_read_u16 v162, v117 offset:32
	ds_read_u16 v164, v117 offset:64
	;; [unrolled: 1-line block ×7, first 2 shown]
	s_waitcnt lgkmcnt(7)
	v_perm_b32 v85, v161, v85, s54
	v_perm_b32 v84, v87, v84, s54
	ds_read_u16 v161, v124 offset:240
	ds_read_u16 v173, v117 offset:7680
	;; [unrolled: 1-line block ×3, first 2 shown]
	v_mfma_f32_16x16x16_f16 v[14:17], v[84:85], v[76:77], v[14:17]
	s_waitcnt lgkmcnt(9)
	v_perm_b32 v87, v162, v86, s54
	v_perm_b32 v86, v23, v156, s54
	s_waitcnt lgkmcnt(1)
	v_perm_b32 v85, v173, v13, s54
	s_nop 1
	v_cvt_f16_f32_e32 v14, v14
	v_cvt_f16_f32_e32 v15, v15
	v_cvt_f16_f32_e32 v16, v16
	v_cvt_f16_f32_e32 v17, v17
	v_perm_b32 v84, v161, v171, s54
	v_cvt_f32_f16_e32 v14, v14
	v_cvt_f32_f16_e32 v15, v15
	;; [unrolled: 1-line block ×4, first 2 shown]
	v_pack_b32_f16 v23, v75, v166
	v_mfma_f32_16x16x16_f16 v[18:21], v[86:87], v[76:77], v[18:21]
	v_cmp_lt_i32_e32 vcc, s46, v102
	s_and_b64 vcc, exec, vcc
	v_mfma_f32_16x16x16_f16 v[14:17], v[84:85], v[22:23], v[14:17]
	v_perm_b32 v84, v155, v93, s54
	s_nop 2
	v_cvt_f16_f32_e32 v13, v18
	v_cvt_f16_f32_e32 v19, v19
	;; [unrolled: 1-line block ×3, first 2 shown]
	v_cvt_f32_f16_e32 v18, v13
	v_cvt_f16_f32_e32 v75, v14
	v_cvt_f16_f32_e32 v14, v20
	v_cvt_f32_f16_e32 v19, v19
	v_cvt_f32_f16_e32 v21, v21
	v_cvt_f16_f32_e32 v93, v16
	v_cvt_f32_f16_e32 v20, v14
	ds_read_u16 v13, v127 offset:480
	ds_read_u16 v14, v128 offset:7680
	;; [unrolled: 1-line block ×8, first 2 shown]
	s_waitcnt lgkmcnt(6)
	v_perm_b32 v85, v14, v13, s54
	v_cvt_f16_f32_e32 v13, v15
	v_cvt_f16_f32_e32 v155, v17
	v_mfma_f32_16x16x16_f16 v[14:17], v[84:85], v[22:23], v[18:21]
	s_waitcnt lgkmcnt(4)
	v_perm_b32 v85, v164, v87, s54
	v_perm_b32 v84, v86, v157, s54
	v_cvt_f32_f16_e32 v18, v94
	v_cvt_f32_f16_sdwa v19, v94 dst_sel:DWORD dst_unused:UNUSED_PAD src0_sel:WORD_1
	v_cvt_f32_f16_e32 v20, v96
	v_cvt_f32_f16_sdwa v21, v96 dst_sel:DWORD dst_unused:UNUSED_PAD src0_sel:WORD_1
	v_pack_b32_f16 v94, v75, v13
	v_cvt_f16_f32_e32 v13, v14
	v_mfma_f32_16x16x16_f16 v[18:21], v[84:85], v[76:77], v[18:21]
	s_waitcnt lgkmcnt(0)
	v_perm_b32 v85, v166, v162, s54
	v_perm_b32 v84, v161, v156, s54
	v_pack_b32_f16 v93, v93, v155
	v_cvt_f16_f32_e32 v75, v15
	s_nop 1
	v_cvt_f16_f32_e32 v14, v18
	v_cvt_f16_f32_e32 v19, v19
	;; [unrolled: 1-line block ×4, first 2 shown]
	v_cvt_f32_f16_e32 v18, v14
	v_cvt_f32_f16_e32 v19, v19
	v_cvt_f32_f16_e32 v20, v20
	v_cvt_f32_f16_e32 v21, v21
	v_cvt_f16_f32_e32 v86, v16
	v_cvt_f16_f32_e32 v87, v17
	v_mfma_f32_16x16x16_f16 v[14:17], v[84:85], v[22:23], v[18:21]
	s_nop 2
	ds_read_u16 v21, v133 offset:240
	ds_read_u16 v84, v133 offset:480
	;; [unrolled: 1-line block ×8, first 2 shown]
	s_waitcnt lgkmcnt(6)
	v_perm_b32 v85, v165, v84, s54
	v_perm_b32 v84, v21, v158, s54
	v_cvt_f32_f16_e32 v18, v97
	v_cvt_f32_f16_sdwa v19, v97 dst_sel:DWORD dst_unused:UNUSED_PAD src0_sel:WORD_1
	v_cvt_f32_f16_e32 v20, v163
	v_cvt_f32_f16_sdwa v21, v163 dst_sel:DWORD dst_unused:UNUSED_PAD src0_sel:WORD_1
	v_pack_b32_f16 v97, v13, v75
	v_cvt_f16_f32_e32 v13, v14
	v_mfma_f32_16x16x16_f16 v[18:21], v[84:85], v[76:77], v[18:21]
	s_waitcnt lgkmcnt(2)
	v_perm_b32 v85, v161, v157, s54
	v_perm_b32 v84, v156, v155, s54
	v_pack_b32_f16 v96, v86, v87
	s_waitcnt lgkmcnt(0)
	v_perm_b32 v87, v169, v164, s54
	s_nop 0
	v_cvt_f16_f32_e32 v14, v18
	v_cvt_f16_f32_e32 v19, v19
	;; [unrolled: 1-line block ×4, first 2 shown]
	v_cvt_f32_f16_e32 v18, v14
	v_cvt_f32_f16_e32 v19, v19
	;; [unrolled: 1-line block ×4, first 2 shown]
	v_perm_b32 v86, v162, v159, s54
	v_cvt_f16_f32_e32 v75, v15
	v_cvt_f16_f32_e32 v155, v16
	v_cvt_f16_f32_e32 v156, v17
	v_mfma_f32_16x16x16_f16 v[14:17], v[84:85], v[22:23], v[18:21]
	v_pack_b32_f16 v85, v13, v75
	v_pack_b32_f16 v84, v155, v156
	s_nop 0
	v_cvt_f32_f16_e32 v18, v89
	v_cvt_f32_f16_sdwa v19, v89 dst_sel:DWORD dst_unused:UNUSED_PAD src0_sel:WORD_1
	v_cvt_f32_f16_e32 v20, v88
	v_cvt_f32_f16_sdwa v21, v88 dst_sel:DWORD dst_unused:UNUSED_PAD src0_sel:WORD_1
	v_cvt_f16_f32_e32 v13, v14
	v_cvt_f16_f32_e32 v157, v16
	v_mfma_f32_16x16x16_f16 v[18:21], v[86:87], v[76:77], v[18:21]
	v_cvt_f16_f32_e32 v158, v17
	s_nop 5
	v_cvt_f16_f32_e32 v14, v18
	v_cvt_f16_f32_e32 v19, v19
	;; [unrolled: 1-line block ×4, first 2 shown]
	v_cvt_f32_f16_e32 v18, v14
	ds_read_u16 v14, v138 offset:7680
	ds_read_u16 v75, v139 offset:240
	;; [unrolled: 1-line block ×8, first 2 shown]
	s_waitcnt lgkmcnt(4)
	v_perm_b32 v87, v87, v86, s54
	v_perm_b32 v86, v75, v14, s54
	v_cvt_f32_f16_e32 v19, v19
	v_cvt_f32_f16_e32 v20, v20
	;; [unrolled: 1-line block ×3, first 2 shown]
	s_waitcnt lgkmcnt(2)
	v_perm_b32 v89, v170, v89, s54
	v_perm_b32 v88, v88, v160, s54
	v_cvt_f16_f32_e32 v75, v15
	v_mfma_f32_16x16x16_f16 v[14:17], v[86:87], v[22:23], v[18:21]
	v_pack_b32_f16 v86, v157, v158
	v_pack_b32_f16 v87, v13, v75
	s_nop 0
	v_cvt_f32_f16_e32 v18, v91
	v_cvt_f32_f16_sdwa v19, v91 dst_sel:DWORD dst_unused:UNUSED_PAD src0_sel:WORD_1
	v_cvt_f32_f16_e32 v20, v90
	v_cvt_f32_f16_sdwa v21, v90 dst_sel:DWORD dst_unused:UNUSED_PAD src0_sel:WORD_1
	v_cvt_f16_f32_e32 v13, v14
	s_nop 0
	v_mfma_f32_16x16x16_f16 v[18:21], v[88:89], v[76:77], v[18:21]
	s_waitcnt lgkmcnt(0)
	v_perm_b32 v88, v156, v155, s54
	v_cvt_f16_f32_e32 v155, v16
	v_cvt_f16_f32_e32 v156, v17
	s_nop 2
	v_cvt_f16_f32_e32 v14, v18
	v_cvt_f16_f32_e32 v19, v19
	;; [unrolled: 1-line block ×4, first 2 shown]
	v_cvt_f32_f16_e32 v18, v14
	ds_read_u16 v14, v143 offset:480
	ds_read_u16 v75, v144 offset:7680
	;; [unrolled: 1-line block ×8, first 2 shown]
	s_waitcnt lgkmcnt(6)
	v_perm_b32 v89, v75, v14, s54
	v_cvt_f32_f16_e32 v19, v19
	v_cvt_f32_f16_e32 v20, v20
	;; [unrolled: 1-line block ×3, first 2 shown]
	s_waitcnt lgkmcnt(4)
	v_perm_b32 v91, v174, v91, s54
	v_perm_b32 v90, v90, v172, s54
	v_cvt_f16_f32_e32 v75, v15
	v_mfma_f32_16x16x16_f16 v[14:17], v[88:89], v[22:23], v[18:21]
	v_pack_b32_f16 v88, v155, v156
	s_waitcnt lgkmcnt(0)
	v_pack_b32_f16 v89, v13, v75
	v_cvt_f32_f16_e32 v18, v167
	v_cvt_f32_f16_sdwa v19, v167 dst_sel:DWORD dst_unused:UNUSED_PAD src0_sel:WORD_1
	v_cvt_f32_f16_e32 v20, v168
	v_cvt_f32_f16_sdwa v21, v168 dst_sel:DWORD dst_unused:UNUSED_PAD src0_sel:WORD_1
	v_cvt_f16_f32_e32 v13, v14
	v_cvt_f16_f32_e32 v75, v15
	v_mfma_f32_16x16x16_f16 v[18:21], v[90:91], v[76:77], v[18:21]
	v_perm_b32 v77, v160, v159, s54
	v_perm_b32 v76, v158, v157, s54
	v_cvt_f16_f32_e32 v90, v16
	v_cvt_f16_f32_e32 v155, v17
	s_nop 2
	v_cvt_f16_f32_e32 v14, v18
	v_cvt_f16_f32_e32 v19, v19
	;; [unrolled: 1-line block ×4, first 2 shown]
	v_cvt_f32_f16_e32 v18, v14
	v_cvt_f32_f16_e32 v19, v19
	;; [unrolled: 1-line block ×4, first 2 shown]
	v_pack_b32_f16 v91, v13, v75
	v_pack_b32_f16 v90, v90, v155
	v_mfma_f32_16x16x16_f16 v[14:17], v[76:77], v[22:23], v[18:21]
	s_barrier
	s_nop 5
	v_cvt_f16_f32_e32 v14, v14
	v_cvt_f16_f32_e32 v15, v15
	;; [unrolled: 1-line block ×4, first 2 shown]
	v_pack_b32_f16 v77, v14, v15
	v_pack_b32_f16 v76, v16, v17
	s_cbranch_vccz .LBB19_339
; %bb.336:                              ;   in Loop: Header=BB19_323 Depth=1
	v_mov_b32_e32 v155, v73
	v_mov_b32_e32 v156, v25
	s_branch .LBB19_323
.LBB19_337:
                                        ; implicit-def: $vgpr26_vgpr27
	s_load_dwordx2 s[92:93], s[0:1], 0x5c
	s_branch .LBB19_7
.LBB19_338:
	v_mov_b32_e32 v73, 0
	v_mov_b32_e32 v25, 0xfeffffff
	;; [unrolled: 1-line block ×15, first 2 shown]
.LBB19_339:
	s_lshl_b32 s26, s46, 6
	v_readlane_b32 s0, v254, 4
	s_sub_i32 s28, s0, s26
	v_readlane_b32 s1, v254, 5
	s_cmp_lg_u64 s[2:3], 0
	s_cselect_b64 s[0:1], -1, 0
	s_ashr_i32 s27, s26, 31
	s_cmp_eq_u64 s[2:3], 0
	s_cbranch_scc1 .LBB19_357
; %bb.340:
	s_lshl_b64 s[4:5], s[26:27], 1
	s_add_u32 s2, s2, s4
	s_addc_u32 s3, s3, s5
	v_mov_b32_e32 v39, 0
	v_cmp_gt_i32_e32 vcc, s28, v33
	v_lshl_add_u64 v[12:13], s[2:3], 0, v[38:39]
	v_mov_b32_e32 v15, 0
	s_and_saveexec_b64 s[2:3], vcc
	s_cbranch_execz .LBB19_342
; %bb.341:
	v_add_u32_e32 v14, s45, v120
	v_mul_hi_u32 v15, s92, v14
	v_add_u32_e32 v15, v14, v15
	v_lshrrev_b32_e32 v15, s93, v15
	v_mul_lo_u32 v15, v15, s76
	v_sub_u32_e32 v14, v14, v15
	v_mad_i64_i32 v[14:15], s[4:5], v14, s66, 0
	v_lshl_add_u64 v[14:15], v[14:15], 1, v[12:13]
	flat_load_ushort v15, v[14:15]
.LBB19_342:
	s_or_b64 exec, exec, s[2:3]
	s_movk_i32 s2, 0x90
	v_mad_u32_u24 v14, v120, s2, 0
	v_lshl_add_u32 v16, v33, 1, v14
	s_waitcnt vmcnt(0) lgkmcnt(0)
	ds_write_b16 v16, v15 offset:15360
	s_and_saveexec_b64 s[2:3], vcc
	s_cbranch_execz .LBB19_344
; %bb.343:
	v_add3_u32 v15, v120, s45, 4
	v_mul_hi_u32 v16, s92, v15
	v_add_u32_e32 v16, v15, v16
	v_lshrrev_b32_e32 v16, s93, v16
	v_mul_lo_u32 v16, v16, s76
	v_sub_u32_e32 v15, v15, v16
	v_mad_i64_i32 v[16:17], s[4:5], v15, s66, 0
	v_lshl_add_u64 v[16:17], v[16:17], 1, v[12:13]
	flat_load_ushort v39, v[16:17]
.LBB19_344:
	s_or_b64 exec, exec, s[2:3]
	v_add_u32_e32 v15, 0x240, v14
	v_lshl_add_u32 v14, v33, 1, v15
	s_waitcnt vmcnt(0) lgkmcnt(0)
	ds_write_b16 v14, v39 offset:15360
	v_mov_b32_e32 v14, 0
	v_mov_b32_e32 v16, 0
	s_and_saveexec_b64 s[2:3], vcc
	s_cbranch_execz .LBB19_346
; %bb.345:
	v_add3_u32 v16, v120, s45, 8
	v_mul_hi_u32 v17, s92, v16
	v_add_u32_e32 v17, v16, v17
	v_lshrrev_b32_e32 v17, s93, v17
	v_mul_lo_u32 v17, v17, s76
	v_sub_u32_e32 v16, v16, v17
	v_mad_i64_i32 v[16:17], s[4:5], v16, s66, 0
	v_lshl_add_u64 v[16:17], v[16:17], 1, v[12:13]
	flat_load_ushort v16, v[16:17]
.LBB19_346:
	s_or_b64 exec, exec, s[2:3]
	v_add_u32_e32 v15, 0x240, v15
	v_lshl_add_u32 v17, v33, 1, v15
	s_waitcnt vmcnt(0) lgkmcnt(0)
	ds_write_b16 v17, v16 offset:15360
	s_and_saveexec_b64 s[2:3], vcc
	s_cbranch_execz .LBB19_348
; %bb.347:
	v_add3_u32 v14, v120, s45, 12
	v_mul_hi_u32 v16, s92, v14
	v_add_u32_e32 v16, v14, v16
	v_lshrrev_b32_e32 v16, s93, v16
	v_mul_lo_u32 v16, v16, s76
	v_sub_u32_e32 v14, v14, v16
	v_mad_i64_i32 v[16:17], s[4:5], v14, s66, 0
	v_lshl_add_u64 v[16:17], v[16:17], 1, v[12:13]
	flat_load_ushort v14, v[16:17]
.LBB19_348:
	s_or_b64 exec, exec, s[2:3]
	v_add_u32_e32 v15, 0x240, v15
	v_lshl_add_u32 v16, v33, 1, v15
	s_waitcnt vmcnt(0) lgkmcnt(0)
	ds_write_b16 v16, v14 offset:15360
	v_mov_b32_e32 v14, 0
	v_mov_b32_e32 v16, 0
	s_and_saveexec_b64 s[2:3], vcc
	s_cbranch_execz .LBB19_350
; %bb.349:
	v_add3_u32 v16, v120, s45, 16
	v_mul_hi_u32 v17, s92, v16
	v_add_u32_e32 v17, v16, v17
	v_lshrrev_b32_e32 v17, s93, v17
	v_mul_lo_u32 v17, v17, s76
	v_sub_u32_e32 v16, v16, v17
	v_mad_i64_i32 v[16:17], s[4:5], v16, s66, 0
	v_lshl_add_u64 v[16:17], v[16:17], 1, v[12:13]
	flat_load_ushort v16, v[16:17]
.LBB19_350:
	s_or_b64 exec, exec, s[2:3]
	v_add_u32_e32 v15, 0x240, v15
	;; [unrolled: 38-line block ×3, first 2 shown]
	v_lshl_add_u32 v15, v33, 1, v15
	s_waitcnt vmcnt(0) lgkmcnt(0)
	ds_write_b16 v15, v16 offset:15360
	s_and_saveexec_b64 s[2:3], vcc
	s_cbranch_execz .LBB19_356
; %bb.355:
	v_add3_u32 v14, v120, s45, 28
	v_mul_hi_u32 v16, s92, v14
	v_add_u32_e32 v16, v14, v16
	v_lshrrev_b32_e32 v16, s93, v16
	v_mul_lo_u32 v16, v16, s76
	v_sub_u32_e32 v14, v14, v16
	v_mad_i64_i32 v[16:17], s[4:5], v14, s66, 0
	v_lshl_add_u64 v[12:13], v[16:17], 1, v[12:13]
	flat_load_ushort v14, v[12:13]
.LBB19_356:
	s_or_b64 exec, exec, s[2:3]
	s_waitcnt vmcnt(0) lgkmcnt(0)
	ds_write_b16 v15, v14 offset:15936
.LBB19_357:
	s_mul_hi_i32 s3, s26, s90
	s_mul_i32 s2, s26, s90
	s_lshl_b64 s[2:3], s[2:3], 2
	s_add_u32 s2, s47, s2
	v_mov_b32_e32 v12, 0
	v_lshl_add_u32 v22, v120, 5, v101
	s_addc_u32 s3, s48, s3
	s_mov_b64 s[4:5], src_private_base
	v_mov_b32_e32 v13, v12
	v_mov_b32_e32 v14, v12
	;; [unrolled: 1-line block ×3, first 2 shown]
	v_cmp_gt_u32_e64 s[20:21], 64, v22
	scratch_store_dwordx4 off, v[12:15], off
                                        ; implicit-def: $vgpr23
	s_and_saveexec_b64 s[6:7], s[20:21]
	s_xor_b64 s[6:7], exec, s[6:7]
	s_cbranch_execz .LBB19_359
; %bb.358:
	v_mul_lo_u32 v14, s90, v22
	v_ashrrev_i32_e32 v15, 31, v14
	v_lshlrev_b32_e32 v13, 4, v33
	v_lshl_add_u64 v[14:15], v[14:15], 2, s[2:3]
	v_and_b32_e32 v16, 16, v13
	v_mov_b32_e32 v17, v12
	v_lshl_add_u64 v[12:13], v[14:15], 0, v[16:17]
	s_mov_b64 s[8:9], 0xc0
	v_lshl_add_u64 v[12:13], v[12:13], 0, s[8:9]
	v_mov_b32_e32 v14, s5
	v_cmp_gt_i32_e32 vcc, s28, v22
	v_mul_u32_u24_e32 v17, 0xf0, v22
	v_add3_u32 v16, 0, v17, v16
	v_cndmask_b32_e32 v13, v14, v13, vcc
	v_mov_b32_e32 v14, 0
	v_cndmask_b32_e32 v12, v14, v12, vcc
	flat_load_dwordx4 v[12:15], v[12:13]
	v_lshlrev_b32_e32 v23, 2, v33
	s_waitcnt vmcnt(0) lgkmcnt(0)
	ds_write_b128 v16, v[12:15] offset:192
.LBB19_359:
	s_andn2_saveexec_b64 s[6:7], s[6:7]
; %bb.360:
	v_lshlrev_b32_e32 v23, 2, v33
; %bb.361:
	s_or_b64 exec, exec, s[6:7]
	v_add_u32_e32 v21, v121, v83
	v_mul_lo_u32 v12, s90, v21
	v_ashrrev_i32_e32 v13, 31, v12
	v_and_b32_e32 v14, 12, v23
	v_lshl_add_u64 v[12:13], v[12:13], 2, s[2:3]
	v_lshlrev_b32_e32 v18, 2, v14
	v_mov_b32_e32 v19, 0
	v_lshl_add_u64 v[12:13], v[12:13], 0, v[18:19]
	s_mov_b64 s[6:7], 0x80
	v_lshl_add_u64 v[12:13], v[12:13], 0, s[6:7]
	v_mov_b32_e32 v38, s5
	v_cmp_gt_i32_e64 s[16:17], s28, v21
	v_mov_b32_e32 v39, 0
	v_and_b32_e32 v16, 28, v23
	v_cndmask_b32_e64 v13, v38, v13, s[16:17]
	v_cndmask_b32_e64 v12, v39, v12, s[16:17]
	flat_load_dwordx4 v[12:15], v[12:13]
	v_lshl_add_u64 v[36:37], v[36:37], 2, s[2:3]
	v_mul_u32_u24_e32 v20, 0xf0, v21
	v_lshlrev_b32_e32 v16, 2, v16
	v_mov_b32_e32 v17, v19
	v_add3_u32 v19, 0, v20, v18
	v_lshl_add_u64 v[36:37], v[36:37], 0, v[16:17]
	v_cmp_gt_i32_e64 s[14:15], s28, v95
	v_ashrrev_i32_e32 v35, 31, v34
	v_mul_u32_u24_e32 v20, 0xf0, v95
	v_cndmask_b32_e64 v37, v38, v37, s[14:15]
	v_cndmask_b32_e64 v36, v39, v36, s[14:15]
	v_lshl_add_u64 v[34:35], v[34:35], 2, s[2:3]
	v_add3_u32 v20, 0, v20, v16
	v_lshl_add_u64 v[34:35], v[34:35], 0, v[16:17]
	v_cmp_gt_i32_e64 s[12:13], s28, v82
	v_and_b32_e32 v46, 16, v121
	v_add_u32_e32 v17, 0, v99
	v_cndmask_b32_e64 v35, v38, v35, s[12:13]
	v_cndmask_b32_e64 v34, v39, v34, s[12:13]
	s_and_b64 vcc, exec, s[0:1]
	s_waitcnt vmcnt(0) lgkmcnt(0)
	ds_write_b128 v19, v[12:15] offset:128
	flat_load_dwordx4 v[12:15], v[36:37]
	s_waitcnt vmcnt(0) lgkmcnt(0)
	ds_write_b128 v20, v[12:15]
	flat_load_dwordx4 v[12:15], v[34:35]
	v_mul_u32_u24_e32 v34, 0xf0, v46
	v_add3_u32 v17, v17, v100, v34
	v_add_u32_e32 v47, 0x1800, v17
	s_waitcnt vmcnt(0) lgkmcnt(0)
	ds_write_b128 v20, v[12:15] offset:7680
	s_waitcnt lgkmcnt(0)
	s_barrier
	ds_read2_b64 v[12:15], v17 offset1:4
	ds_read2_b64 v[38:41], v47 offset0:192 offset1:196
	s_waitcnt lgkmcnt(1)
	v_mfma_f32_16x16x16_f16 v[34:37], v[12:13], v[8:9], 0
	s_waitcnt lgkmcnt(0)
	v_mfma_f32_16x16x16_f16 v[42:45], v[38:39], v[8:9], 0
	v_mfma_f32_16x16x16_f16 v[12:15], v[14:15], v[10:11], v[34:37]
	;; [unrolled: 1-line block ×3, first 2 shown]
	s_nop 2
	ds_read2_b64 v[34:37], v17 offset0:8 offset1:12
	ds_read2_b64 v[38:41], v47 offset0:200 offset1:204
	s_waitcnt lgkmcnt(1)
	v_mfma_f32_16x16x16_f16 v[12:15], v[34:35], v[4:5], v[12:15]
	s_waitcnt lgkmcnt(0)
	v_mfma_f32_16x16x16_f16 v[8:11], v[38:39], v[4:5], v[8:11]
	v_mfma_f32_16x16x16_f16 v[12:15], v[36:37], v[6:7], v[12:15]
	ds_read2_b64 v[34:37], v47 offset0:208 offset1:212
	v_mfma_f32_16x16x16_f16 v[4:7], v[40:41], v[6:7], v[8:11]
	s_nop 3
	ds_read2_b64 v[8:11], v17 offset0:16 offset1:20
	s_waitcnt lgkmcnt(0)
	v_mfma_f32_16x16x16_f16 v[12:15], v[8:9], v[0:1], v[12:15]
	v_mfma_f32_16x16x16_f16 v[4:7], v[34:35], v[0:1], v[4:7]
	;; [unrolled: 1-line block ×3, first 2 shown]
	s_nop 4
	ds_read_b64 v[12:13], v17 offset:192
	ds_read_b64 v[14:15], v17 offset:7872
	v_and_b32_e32 v17, 0xfc, v83
	v_add_u32_e32 v34, v46, v17
	v_mfma_f32_16x16x16_f16 v[0:3], v[36:37], v[2:3], v[4:7]
	v_add_u32_e32 v35, 32, v34
	v_add_u32_e32 v36, 34, v34
	s_waitcnt lgkmcnt(0)
	v_mfma_f32_16x16x16_f16 v[8:11], v[12:13], v[28:29], v[8:11]
	s_barrier
	v_mfma_f32_16x16x16_f16 v[12:15], v[14:15], v[28:29], v[0:3]
	s_cbranch_vccz .LBB19_379
; %bb.362:
	s_movk_i32 s0, 0x90
	s_nop 0
	v_mad_u32_u24 v2, v98, s0, 0
	v_lshlrev_b32_e32 v0, 1, v34
	s_movk_i32 s0, 0x3c00
	v_add_u32_e32 v29, 32, v34
	v_add_u32_e32 v28, 34, v34
	v_add3_u32 v0, v2, v0, s0
	v_lshl_add_u32 v3, v29, 1, v2
	v_lshl_add_u32 v2, v28, 1, v2
	ds_read2_b32 v[0:1], v0 offset1:1
	ds_read_b32 v3, v3 offset:15360
	ds_read_b32 v2, v2 offset:15360
	s_waitcnt lgkmcnt(2)
	v_cvt_f32_f16_e32 v4, v0
	v_cvt_f32_f16_sdwa v5, v0 dst_sel:DWORD dst_unused:UNUSED_PAD src0_sel:WORD_1
	v_cvt_f32_f16_e32 v0, v1
	v_cvt_f32_f16_sdwa v1, v1 dst_sel:DWORD dst_unused:UNUSED_PAD src0_sel:WORD_1
	s_waitcnt lgkmcnt(1)
	v_cvt_f32_f16_e32 v38, v3
	s_waitcnt lgkmcnt(0)
	v_cvt_f32_f16_e32 v6, v2
	v_cvt_f32_f16_sdwa v7, v2 dst_sel:DWORD dst_unused:UNUSED_PAD src0_sel:WORD_1
	v_cvt_f32_f16_sdwa v39, v3 dst_sel:DWORD dst_unused:UNUSED_PAD src0_sel:WORD_1
	v_pk_fma_f32 v[2:3], v[24:25], v[0:1], v[10:11] op_sel_hi:[0,1,1]
	v_pk_fma_f32 v[0:1], v[24:25], v[4:5], v[8:9] op_sel_hi:[0,1,1]
	;; [unrolled: 1-line block ×4, first 2 shown]
	s_cbranch_execnz .LBB19_364
.LBB19_363:
	s_nop 4
	v_mov_b64_e32 v[4:5], v[12:13]
	v_mov_b64_e32 v[0:1], v[8:9]
	v_mov_b32_e32 v28, v36
	v_mov_b32_e32 v29, v35
	v_mov_b64_e32 v[6:7], v[14:15]
	v_mov_b64_e32 v[2:3], v[10:11]
.LBB19_364:
	v_add_f32_e32 v8, 0x40051340, v0
	v_max_f32_e32 v9, v25, v25
	v_max_f32_e32 v8, v9, v8
	v_cmp_gt_u32_e64 s[18:19], s28, v34
	v_or_b32_e32 v9, 1, v34
	v_add_f32_e32 v10, 0x40051340, v1
	v_cndmask_b32_e64 v8, v25, v8, s[18:19]
	v_max_f32_e32 v11, v8, v8
	v_max_f32_e32 v10, v11, v10
	v_cmp_gt_u32_e64 s[10:11], s28, v9
	v_or_b32_e32 v9, 2, v34
	v_cmp_gt_u32_e64 s[8:9], s28, v9
	v_cndmask_b32_e64 v8, v8, v10, s[10:11]
	v_add_f32_e32 v10, 0x40051340, v2
	v_max_f32_e32 v11, v8, v8
	v_max_f32_e32 v10, v11, v10
	v_cndmask_b32_e64 v8, v8, v10, s[8:9]
	v_or_b32_e32 v9, 3, v34
	v_add_f32_e32 v10, 0x40051340, v3
	v_max_f32_e32 v11, v8, v8
	v_max_f32_e32 v10, v11, v10
	v_cmp_gt_u32_e64 s[6:7], s28, v9
	v_add_f32_e32 v9, 0x40051340, v4
	v_cmp_gt_u32_e64 s[4:5], s28, v29
	v_cndmask_b32_e64 v8, v8, v10, s[6:7]
	v_max_f32_e32 v10, v8, v8
	v_max_f32_e32 v9, v10, v9
	v_cndmask_b32_e64 v8, v8, v9, s[4:5]
	v_add_u32_e32 v9, 33, v34
	v_add_f32_e32 v10, 0x40051340, v5
	v_max_f32_e32 v11, v8, v8
	v_max_f32_e32 v10, v11, v10
	v_cmp_gt_u32_e64 s[22:23], s28, v9
	v_add_f32_e32 v9, 0x40051340, v6
	v_cmp_gt_u32_e64 s[0:1], s28, v28
	v_cndmask_b32_e64 v8, v8, v10, s[22:23]
	v_max_f32_e32 v10, v8, v8
	v_max_f32_e32 v9, v10, v9
	v_cndmask_b32_e64 v8, v8, v9, s[0:1]
	v_add_u32_e32 v9, 35, v34
	v_add_f32_e32 v10, 0x40051340, v7
	v_max_f32_e32 v11, v8, v8
	v_max_f32_e32 v10, v11, v10
	v_cmp_gt_u32_e32 vcc, s28, v9
	v_mbcnt_hi_u32_b32 v9, -1, v92
	v_xor_b32_e32 v11, 32, v9
	v_cndmask_b32_e32 v8, v8, v10, vcc
	v_and_b32_e32 v10, 64, v9
	v_add_u32_e32 v10, 64, v10
	v_cmp_lt_i32_e64 s[24:25], v11, v10
	s_mul_hi_i32 s3, s26, s78
	s_mul_i32 s2, s26, s78
	v_cndmask_b32_e64 v11, v9, v11, s[24:25]
	v_lshlrev_b32_e32 v34, 2, v11
	ds_bpermute_b32 v11, v34, v8
	v_max_f32_e32 v8, v8, v8
	s_lshl_b64 s[2:3], s[2:3], 2
	s_add_u32 s2, s33, s2
	v_add_u32_e32 v13, 0x80, v19
	s_waitcnt lgkmcnt(0)
	v_max_f32_e32 v11, v11, v11
	v_max_f32_e32 v14, v8, v11
	v_xor_b32_e32 v8, 16, v9
	v_cmp_lt_i32_e64 s[24:25], v8, v10
	v_add_u32_e32 v12, 0x1e00, v20
	s_addc_u32 s3, s44, s3
	v_cndmask_b32_e64 v8, v9, v8, s[24:25]
	v_lshlrev_b32_e32 v35, 2, v8
	ds_bpermute_b32 v15, v35, v14
	s_mov_b64 s[24:25], src_private_base
	v_mov_b32_e32 v8, 0
	s_mov_b32 s24, 0
	v_mov_b32_e32 v9, v8
	v_mov_b32_e32 v10, v8
	;; [unrolled: 1-line block ×3, first 2 shown]
	scratch_store_dwordx4 off, v[8:11], off
	s_and_saveexec_b64 s[26:27], s[20:21]
	s_cbranch_execz .LBB19_366
; %bb.365:
	v_mul_lo_u32 v28, s78, v22
	v_lshlrev_b32_e32 v9, 2, v23
	v_ashrrev_i32_e32 v29, 31, v28
	v_and_b32_e32 v10, 16, v9
	v_lshl_add_u64 v[28:29], v[28:29], 2, s[2:3]
	v_mov_b32_e32 v11, v8
	v_lshl_add_u64 v[28:29], v[28:29], 0, v[10:11]
	s_mov_b64 s[20:21], 0xc0
	v_lshl_add_u64 v[28:29], v[28:29], 0, s[20:21]
	v_mov_b32_e32 v9, s25
	v_cmp_gt_i32_e64 s[20:21], s28, v22
	s_nop 1
	v_cndmask_b32_e64 v29, v9, v29, s[20:21]
	v_mov_b32_e32 v9, 0
	v_cndmask_b32_e64 v28, v9, v28, s[20:21]
	flat_load_dwordx4 v[36:39], v[28:29]
	v_mul_u32_u24_e32 v9, 0xf0, v22
	v_add3_u32 v9, 0, v9, v10
	s_waitcnt vmcnt(0) lgkmcnt(0)
	ds_write_b128 v9, v[36:39] offset:192
.LBB19_366:
	s_or_b64 exec, exec, s[26:27]
	v_mul_lo_u32 v10, s78, v21
	v_ashrrev_i32_e32 v11, 31, v10
	v_lshl_add_u64 v[10:11], v[10:11], 2, s[2:3]
	v_mov_b32_e32 v19, v8
	v_lshl_add_u64 v[10:11], v[10:11], 0, v[18:19]
	s_mov_b64 s[20:21], 0x80
	v_lshl_add_u64 v[10:11], v[10:11], 0, s[20:21]
	v_mov_b32_e32 v21, s25
	v_mov_b32_e32 v24, 0
	v_cndmask_b32_e64 v11, v21, v11, s[16:17]
	v_cndmask_b32_e64 v10, v24, v10, s[16:17]
	flat_load_dwordx4 v[38:41], v[10:11]
	s_waitcnt lgkmcnt(0)
	v_max_f32_e32 v11, v15, v15
	v_max_f32_e32 v15, v14, v14
	v_mul_u32_u24_e32 v45, 0x78, v17
	v_mul_u32_u24_e32 v22, 0xf0, v17
	v_lshl_add_u64 v[18:19], v[26:27], 2, s[2:3]
	v_mov_b32_e32 v17, v8
	v_max_f32_e32 v36, v15, v11
	v_lshl_add_u64 v[18:19], v[18:19], 0, v[16:17]
	v_cndmask_b32_e64 v28, v3, v3, s[10:11]
	v_cndmask_b32_e64 v29, v2, v2, s[10:11]
	v_or_b32_e32 v8, v45, v30
	v_sub_f32_e32 v45, v0, v36
	v_sub_f32_e32 v46, v1, v36
	v_cndmask_b32_e64 v1, v21, v19, s[14:15]
	v_cndmask_b32_e64 v0, v24, v18, s[14:15]
	v_sub_f32_e32 v47, v29, v36
	v_sub_f32_e32 v48, v28, v36
	v_mul_lo_u32 v14, s78, v82
	v_cndmask_b32_e64 v37, v7, v7, s[4:5]
	v_cndmask_b32_e64 v43, v6, v6, s[4:5]
	;; [unrolled: 1-line block ×3, first 2 shown]
	v_ashrrev_i32_e32 v15, 31, v14
	s_mov_b32 s21, 0x3fb8aa3b
	v_sub_f32_e32 v4, v4, v36
	v_sub_f32_e32 v44, v44, v36
	v_sub_f32_e32 v43, v43, v36
	v_sub_f32_e32 v37, v37, v36
	v_lshl_add_u64 v[14:15], v[14:15], 2, s[2:3]
	v_mul_f32_e32 v19, 0x3fb8aa3b, v46
	v_mul_f32_e32 v49, 0x3fb8aa3b, v37
	v_lshl_add_u64 v[14:15], v[14:15], 0, v[16:17]
	v_fma_f32 v51, v46, s21, -v19
	v_rndne_f32_e32 v52, v19
	v_fma_f32 v64, v37, s21, -v49
	v_rndne_f32_e32 v65, v49
	v_cndmask_b32_e64 v15, v21, v15, s[12:13]
	v_cndmask_b32_e64 v14, v24, v14, s[12:13]
	v_fmac_f32_e32 v51, 0x32a5705f, v46
	v_fmac_f32_e32 v64, 0x32a5705f, v37
	v_sub_f32_e32 v49, v49, v65
	s_mov_b32 s25, 0xc2ce8ed0
	v_cmp_ngt_f32_e64 s[12:13], s25, v45
	s_mov_b32 s20, 0x42b17218
	v_mov_b32_e32 v42, 0x7f800000
	s_mov_b32 s26, 0xc1a00000
	v_mov_b32_e32 v9, s24
	v_mov_b32_e32 v2, s24
	;; [unrolled: 1-line block ×7, first 2 shown]
	v_or_b32_e32 v23, 3, v83
	s_movk_i32 s17, 0x1e0
	v_mul_u32_u24_e32 v23, 0xf0, v23
	v_mad_u32_u24 v11, v81, s17, 0
	v_add3_u32 v18, v11, v22, v80
	s_mov_b32 s16, 0x5040100
	s_add_i32 s2, 0, 0x60
	s_waitcnt vmcnt(0)
	ds_write_b128 v13, v[38:41]
	flat_load_dwordx4 v[26:29], v[0:1]
	v_sub_f32_e32 v13, v25, v36
	v_mul_f32_e32 v0, 0x3fb8aa3b, v45
	v_mul_f32_e32 v25, 0x3fb8aa3b, v47
	;; [unrolled: 1-line block ×7, first 2 shown]
	v_fma_f32 v16, v45, s21, -v0
	v_rndne_f32_e32 v17, v0
	v_fma_f32 v53, v47, s21, -v25
	v_rndne_f32_e32 v54, v25
	;; [unrolled: 2-line block ×7, first 2 shown]
	v_fmac_f32_e32 v16, 0x32a5705f, v45
	v_sub_f32_e32 v0, v0, v17
	v_cvt_i32_f32_e32 v21, v17
	v_sub_f32_e32 v17, v19, v52
	v_fmac_f32_e32 v53, 0x32a5705f, v47
	v_sub_f32_e32 v24, v25, v54
	v_fmac_f32_e32 v55, 0x32a5705f, v48
	;; [unrolled: 2-line block ×6, first 2 shown]
	v_sub_f32_e32 v50, v50, v67
	v_add_f32_e32 v0, v0, v16
	v_add_f32_e32 v16, v17, v51
	;; [unrolled: 1-line block ×9, first 2 shown]
	v_exp_f32_e32 v50, v16
	v_exp_f32_e32 v51, v17
	v_exp_f32_e32 v0, v0
	v_cvt_i32_f32_e32 v19, v52
	v_cvt_i32_f32_e32 v25, v54
	;; [unrolled: 1-line block ×3, first 2 shown]
	v_exp_f32_e32 v24, v24
	v_cvt_i32_f32_e32 v54, v58
	v_exp_f32_e32 v38, v38
	v_ldexp_f32 v0, v0, v21
	v_cvt_i32_f32_e32 v56, v60
	v_exp_f32_e32 v39, v39
	v_ldexp_f32 v19, v50, v19
	v_cndmask_b32_e64 v0, 0, v0, s[12:13]
	v_cmp_ngt_f32_e64 s[12:13], s25, v46
	v_cvt_i32_f32_e32 v58, v63
	v_exp_f32_e32 v40, v40
	v_ldexp_f32 v21, v51, v25
	v_cndmask_b32_e64 v19, 0, v19, s[12:13]
	v_cmp_ngt_f32_e64 s[12:13], s25, v47
	v_cvt_i32_f32_e32 v60, v65
	v_ldexp_f32 v24, v24, v52
	v_cndmask_b32_e64 v21, 0, v21, s[12:13]
	v_cmp_ngt_f32_e64 s[12:13], s25, v48
	v_cvt_i32_f32_e32 v63, v67
	v_ldexp_f32 v25, v38, v54
	v_cndmask_b32_e64 v24, 0, v24, s[12:13]
	v_cmp_ngt_f32_e64 s[12:13], s25, v4
	v_lshlrev_b32_e32 v1, 1, v8
	v_add3_u32 v8, v11, v23, v80
	v_cndmask_b32_e64 v25, 0, v25, s[12:13]
	v_cmp_ngt_f32_e64 s[12:13], s25, v44
	s_waitcnt vmcnt(0) lgkmcnt(0)
	ds_write_b128 v20, v[26:29]
	flat_load_dwordx4 v[14:17], v[14:15]
	v_exp_f32_e32 v20, v41
	v_exp_f32_e32 v26, v49
	v_ldexp_f32 v27, v39, v56
	v_ldexp_f32 v28, v40, v58
	v_cndmask_b32_e64 v27, 0, v27, s[12:13]
	v_cmp_ngt_f32_e64 s[12:13], s25, v43
	v_ldexp_f32 v20, v20, v60
	v_ldexp_f32 v26, v26, v63
	v_cndmask_b32_e64 v28, 0, v28, s[12:13]
	v_cmp_ngt_f32_e64 s[12:13], s25, v37
	v_add_u32_e32 v11, v11, v1
	s_waitcnt vmcnt(0) lgkmcnt(0)
	ds_write_b128 v12, v[14:17]
	v_cndmask_b32_e64 v20, 0, v20, s[12:13]
	v_cmp_ngt_f32_e64 s[12:13], s25, v13
	s_waitcnt lgkmcnt(0)
	s_barrier
	v_cndmask_b32_e64 v26, 0, v26, s[12:13]
	v_cmp_nlt_f32_e64 s[12:13], s20, v45
	s_nop 1
	v_cndmask_b32_e64 v0, v42, v0, s[12:13]
	v_cmp_nlt_f32_e64 s[12:13], s20, v46
	v_cndmask_b32_e64 v0, 0, v0, s[18:19]
	s_nop 0
	v_cndmask_b32_e64 v39, v42, v19, s[12:13]
	v_cmp_nlt_f32_e64 s[12:13], s20, v47
	v_cndmask_b32_e64 v9, v9, v39, s[10:11]
	v_cvt_f16_f32_e32 v9, v9
	v_cndmask_b32_e64 v21, v42, v21, s[12:13]
	v_cmp_nlt_f32_e64 s[12:13], s20, v48
	v_cndmask_b32_e64 v2, v2, v21, s[8:9]
	v_cvt_f16_f32_e32 v2, v2
	v_cndmask_b32_e64 v40, v42, v24, s[12:13]
	v_cmp_nlt_f32_e64 s[12:13], s20, v4
	s_nop 1
	v_cndmask_b32_e64 v41, v42, v25, s[12:13]
	v_cmp_nlt_f32_e64 s[12:13], s20, v44
	v_cndmask_b32_e64 v10, v10, v41, s[4:5]
	s_nop 0
	v_cndmask_b32_e64 v44, v42, v27, s[12:13]
	v_cmp_nlt_f32_e64 s[12:13], s20, v43
	v_cndmask_b32_e64 v3, v3, v44, s[22:23]
	v_cvt_f16_f32_e32 v3, v3
	v_cndmask_b32_e64 v45, v42, v28, s[12:13]
	v_cmp_nlt_f32_e64 s[12:13], s20, v37
	v_cndmask_b32_e64 v6, v6, v45, s[0:1]
	v_cvt_f16_f32_e32 v6, v6
	v_cndmask_b32_e64 v37, v42, v20, s[12:13]
	v_cmp_nlt_f32_e64 s[12:13], s20, v13
	s_nop 1
	v_cndmask_b32_e64 v4, v42, v26, s[12:13]
	v_cmp_le_f32_e64 s[12:13], s26, v13
	s_nop 1
	v_cndmask_b32_e64 v38, 0, v4, s[12:13]
	v_cndmask_b32_e32 v4, v5, v37, vcc
	v_cndmask_b32_e64 v5, v7, v40, s[6:7]
	v_cvt_f16_f32_e32 v46, v38
	v_cvt_f16_f32_e32 v7, v10
	v_cvt_f16_f32_e32 v4, v4
	v_cvt_f16_f32_e32 v10, v0
	v_cvt_f16_f32_e32 v5, v5
	v_pk_mul_f16 v13, v46, v94 op_sel_hi:[0,1]
	v_pk_mul_f16 v19, v46, v93 op_sel_hi:[0,1]
	v_pack_b32_f16 v26, v7, v3
	v_pack_b32_f16 v27, v6, v4
	;; [unrolled: 1-line block ×4, first 2 shown]
	v_cvt_f32_f16_e32 v2, v13
	v_cvt_f32_f16_sdwa v3, v13 dst_sel:DWORD dst_unused:UNUSED_PAD src0_sel:WORD_1
	v_cvt_f32_f16_e32 v4, v19
	v_cvt_f32_f16_sdwa v5, v19 dst_sel:DWORD dst_unused:UNUSED_PAD src0_sel:WORD_1
	ds_read_u16 v7, v18 offset:480
	ds_read_u16 v10, v18 offset:7920
	;; [unrolled: 1-line block ×3, first 2 shown]
	ds_read_u16 v13, v11
	ds_read_u16 v14, v11 offset:32
	ds_read_u16 v16, v11 offset:64
	;; [unrolled: 1-line block ×11, first 2 shown]
	ds_read_u16 v9, v8
	ds_read_u16 v50, v8 offset:32
	ds_read_u16 v51, v8 offset:64
	;; [unrolled: 1-line block ×10, first 2 shown]
	s_waitcnt lgkmcnt(10)
	v_perm_b32 v9, v9, v7, s16
	v_perm_b32 v8, v15, v13, s16
	ds_read_u16 v13, v18 offset:512
	ds_read_u16 v15, v18 offset:544
	;; [unrolled: 1-line block ×6, first 2 shown]
	v_mfma_f32_16x16x16_f16 v[2:5], v[8:9], v[28:29], v[2:5]
	v_pk_mul_f16 v20, v46, v97 op_sel_hi:[0,1]
	v_pk_mul_f16 v24, v46, v96 op_sel_hi:[0,1]
	s_waitcnt lgkmcnt(7)
	v_perm_b32 v11, v11, v12, s16
	s_nop 2
	v_cvt_f16_f32_e32 v2, v2
	v_cvt_f16_f32_e32 v3, v3
	;; [unrolled: 1-line block ×4, first 2 shown]
	s_waitcnt lgkmcnt(5)
	v_perm_b32 v13, v50, v13, s16
	v_perm_b32 v12, v19, v14, s16
	v_cvt_f32_f16_e32 v6, v20
	v_cvt_f32_f16_sdwa v7, v20 dst_sel:DWORD dst_unused:UNUSED_PAD src0_sel:WORD_1
	v_cvt_f32_f16_e32 v8, v24
	v_cvt_f32_f16_sdwa v9, v24 dst_sel:DWORD dst_unused:UNUSED_PAD src0_sel:WORD_1
	v_perm_b32 v10, v10, v55, s16
	v_cvt_f32_f16_e32 v2, v2
	v_cvt_f32_f16_e32 v3, v3
	;; [unrolled: 1-line block ×4, first 2 shown]
	v_mfma_f32_16x16x16_f16 v[6:9], v[12:13], v[28:29], v[6:9]
	s_waitcnt lgkmcnt(4)
	v_perm_b32 v15, v51, v15, s16
	v_mfma_f32_16x16x16_f16 v[2:5], v[10:11], v[26:27], v[2:5]
	v_mul_u32_u24_e32 v10, 0x1e0, v81
	s_nop 2
	v_cvt_f16_f32_e32 v6, v6
	v_cvt_f16_f32_e32 v7, v7
	;; [unrolled: 1-line block ×4, first 2 shown]
	v_add3_u32 v11, 0, 32, v10
	v_add3_u32 v10, 0, 64, v10
	v_add_u32_e32 v12, v11, v1
	v_add3_u32 v13, v11, v22, v80
	v_add3_u32 v11, v11, v23, v80
	;; [unrolled: 1-line block ×3, first 2 shown]
	v_add_u32_e32 v14, v10, v1
	v_add3_u32 v10, v10, v23, v80
	ds_read_u16 v12, v12 offset:7680
	ds_read_u16 v19, v13 offset:7920
	;; [unrolled: 1-line block ×8, first 2 shown]
	s_waitcnt lgkmcnt(4)
	v_perm_b32 v11, v11, v13, s16
	v_perm_b32 v10, v19, v12, s16
	v_cvt_f32_f16_e32 v6, v6
	v_cvt_f32_f16_e32 v7, v7
	;; [unrolled: 1-line block ×4, first 2 shown]
	v_pk_mul_f16 v12, v46, v85 op_sel_hi:[0,1]
	v_pk_mul_f16 v13, v46, v84 op_sel_hi:[0,1]
	v_perm_b32 v14, v25, v16, s16
	v_mfma_f32_16x16x16_f16 v[6:9], v[10:11], v[26:27], v[6:9]
	v_cvt_f32_f16_e32 v10, v12
	v_cvt_f32_f16_sdwa v11, v12 dst_sel:DWORD dst_unused:UNUSED_PAD src0_sel:WORD_1
	v_cvt_f32_f16_e32 v12, v13
	v_cvt_f32_f16_sdwa v13, v13 dst_sel:DWORD dst_unused:UNUSED_PAD src0_sel:WORD_1
	v_pk_mul_f16 v16, v46, v87 op_sel_hi:[0,1]
	v_perm_b32 v19, v52, v59, s16
	v_mfma_f32_16x16x16_f16 v[10:13], v[14:15], v[28:29], v[10:13]
	s_waitcnt lgkmcnt(0)
	v_perm_b32 v15, v50, v18, s16
	v_perm_b32 v14, v24, v20, s16
	v_pk_mul_f16 v20, v46, v86 op_sel_hi:[0,1]
	v_perm_b32 v18, v47, v17, s16
	s_nop 1
	v_cvt_f16_f32_e32 v10, v10
	v_cvt_f16_f32_e32 v11, v11
	;; [unrolled: 1-line block ×4, first 2 shown]
	v_cvt_f32_f16_e32 v10, v10
	v_cvt_f32_f16_e32 v11, v11
	;; [unrolled: 1-line block ×4, first 2 shown]
	v_cvt_f32_f16_sdwa v17, v20 dst_sel:DWORD dst_unused:UNUSED_PAD src0_sel:WORD_1
	s_nop 0
	v_mfma_f32_16x16x16_f16 v[10:13], v[14:15], v[26:27], v[10:13]
	v_cvt_f32_f16_e32 v14, v16
	v_cvt_f32_f16_sdwa v15, v16 dst_sel:DWORD dst_unused:UNUSED_PAD src0_sel:WORD_1
	v_cvt_f32_f16_e32 v16, v20
	v_add_f32_e32 v20, v39, v0
	v_cndmask_b32_e64 v0, v0, v20, s[10:11]
	v_mfma_f32_16x16x16_f16 v[14:17], v[18:19], v[28:29], v[14:17]
	v_mov_b32_e32 v18, s2
	s_add_i32 s2, 0, 0x80
	v_mov_b32_e32 v24, s2
	v_mad_u32_u24 v18, v81, s17, v18
	s_nop 2
	v_cvt_f16_f32_e32 v14, v14
	v_cvt_f16_f32_e32 v15, v15
	;; [unrolled: 1-line block ×4, first 2 shown]
	v_mad_u32_u24 v24, v81, s17, v24
	v_add_f32_e32 v20, v0, v21
	v_add_u32_e32 v19, v18, v1
	v_add3_u32 v21, v18, v22, v80
	v_add3_u32 v18, v18, v23, v80
	v_add3_u32 v39, v24, v22, v80
	v_add_u32_e32 v25, v24, v1
	v_add3_u32 v24, v24, v23, v80
	ds_read_u16 v47, v19 offset:7680
	ds_read_u16 v50, v21 offset:7920
	;; [unrolled: 1-line block ×8, first 2 shown]
	s_waitcnt lgkmcnt(4)
	v_perm_b32 v19, v18, v19, s16
	v_perm_b32 v18, v50, v47, s16
	v_cvt_f32_f16_e32 v14, v14
	v_cvt_f32_f16_e32 v15, v15
	;; [unrolled: 1-line block ×4, first 2 shown]
	v_cndmask_b32_e64 v0, v0, v20, s[8:9]
	v_pk_mul_f16 v20, v46, v89 op_sel_hi:[0,1]
	v_pk_mul_f16 v21, v46, v88 op_sel_hi:[0,1]
	v_perm_b32 v25, v53, v60, s16
	v_perm_b32 v24, v48, v42, s16
	v_mfma_f32_16x16x16_f16 v[14:17], v[18:19], v[26:27], v[14:17]
	v_cvt_f32_f16_e32 v18, v20
	v_cvt_f32_f16_sdwa v19, v20 dst_sel:DWORD dst_unused:UNUSED_PAD src0_sel:WORD_1
	v_cvt_f32_f16_e32 v20, v21
	v_cvt_f32_f16_sdwa v21, v21 dst_sel:DWORD dst_unused:UNUSED_PAD src0_sel:WORD_1
	v_add_f32_e32 v40, v0, v40
	v_cndmask_b32_e64 v0, v0, v40, s[6:7]
	v_mfma_f32_16x16x16_f16 v[18:21], v[24:25], v[28:29], v[18:21]
	s_waitcnt lgkmcnt(0)
	v_perm_b32 v25, v55, v39, s16
	v_perm_b32 v24, v52, v51, s16
	v_add_f32_e32 v40, v41, v0
	v_pk_mul_f16 v39, v46, v91 op_sel_hi:[0,1]
	s_nop 1
	v_cvt_f16_f32_e32 v18, v18
	v_cvt_f16_f32_e32 v19, v19
	;; [unrolled: 1-line block ×4, first 2 shown]
	v_cvt_f32_f16_e32 v18, v18
	v_cvt_f32_f16_e32 v19, v19
	;; [unrolled: 1-line block ×4, first 2 shown]
	v_pk_mul_f16 v47, v46, v90 op_sel_hi:[0,1]
	v_cndmask_b32_e64 v0, v0, v40, s[4:5]
	v_mfma_f32_16x16x16_f16 v[18:21], v[24:25], v[26:27], v[18:21]
	v_perm_b32 v25, v54, v62, s16
	v_perm_b32 v24, v49, v43, s16
	v_cvt_f32_f16_e32 v40, v39
	v_cvt_f32_f16_sdwa v41, v39 dst_sel:DWORD dst_unused:UNUSED_PAD src0_sel:WORD_1
	v_cvt_f32_f16_e32 v42, v47
	v_cvt_f32_f16_sdwa v43, v47 dst_sel:DWORD dst_unused:UNUSED_PAD src0_sel:WORD_1
	v_add_f32_e32 v39, v44, v0
	v_cndmask_b32_e64 v39, v0, v39, s[22:23]
	v_mfma_f32_16x16x16_f16 v[40:43], v[24:25], v[28:29], v[40:43]
	s_add_i32 s2, 0, 0xa0
	v_add_f32_e32 v44, v45, v39
	v_cndmask_b32_e64 v39, v39, v44, s[0:1]
	v_pk_mul_f16 v44, v46, v77 op_sel_hi:[0,1]
	s_nop 2
	v_cvt_f16_f32_e32 v0, v40
	v_cvt_f16_f32_e32 v24, v41
	;; [unrolled: 1-line block ×3, first 2 shown]
	v_mov_b32_e32 v40, s2
	v_mad_u32_u24 v40, v81, s17, v40
	s_add_i32 s2, 0, 0xc0
	v_cvt_f16_f32_e32 v43, v43
	v_add_u32_e32 v45, v40, v1
	v_add3_u32 v47, v40, v22, v80
	v_add3_u32 v48, v40, v23, v80
	v_cvt_f32_f16_e32 v40, v0
	v_mov_b32_e32 v0, s2
	v_mad_u32_u24 v0, v81, s17, v0
	v_cvt_f32_f16_e32 v41, v24
	v_cvt_f32_f16_e32 v42, v25
	v_add_u32_e32 v1, v0, v1
	v_add3_u32 v22, v0, v22, v80
	v_add3_u32 v0, v0, v23, v80
	ds_read_u16 v23, v45 offset:7680
	ds_read_u16 v24, v47 offset:7920
	;; [unrolled: 1-line block ×8, first 2 shown]
	s_waitcnt lgkmcnt(4)
	v_perm_b32 v1, v45, v25, s16
	v_perm_b32 v0, v24, v23, s16
	v_cvt_f32_f16_e32 v43, v43
	v_pk_mul_f16 v45, v46, v76 op_sel_hi:[0,1]
	v_add_f32_e32 v37, v37, v39
	v_mfma_f32_16x16x16_f16 v[22:25], v[0:1], v[26:27], v[40:43]
	v_perm_b32 v1, v58, v63, s16
	v_perm_b32 v0, v57, v56, s16
	s_nop 0
	v_cvt_f32_f16_e32 v40, v44
	v_cvt_f32_f16_sdwa v41, v44 dst_sel:DWORD dst_unused:UNUSED_PAD src0_sel:WORD_1
	v_cvt_f32_f16_e32 v42, v45
	v_cvt_f32_f16_sdwa v43, v45 dst_sel:DWORD dst_unused:UNUSED_PAD src0_sel:WORD_1
	v_cndmask_b32_e32 v37, v39, v37, vcc
	v_fmac_f32_e32 v37, v73, v38
	v_mfma_f32_16x16x16_f16 v[38:41], v[0:1], v[28:29], v[40:43]
	ds_bpermute_b32 v34, v34, v37
	s_movk_i32 s4, 0xf0
	v_cmp_gt_u32_e64 s[0:1], 16, v33
	s_waitcnt lgkmcnt(0)
	s_nop 2
	v_cvt_f16_f32_e32 v28, v40
	v_cvt_f16_f32_e32 v29, v41
	;; [unrolled: 1-line block ×4, first 2 shown]
	v_cvt_f32_f16_e32 v40, v28
	v_cvt_f32_f16_e32 v41, v29
	v_perm_b32 v29, v50, v49, s16
	v_perm_b32 v28, v48, v47, s16
	v_cvt_f32_f16_e32 v38, v0
	v_cvt_f32_f16_e32 v39, v1
	v_add_f32_e32 v0, v37, v34
	ds_bpermute_b32 v1, v35, v0
	v_mfma_f32_16x16x16_f16 v[26:29], v[28:29], v[26:27], v[38:41]
	s_barrier
	s_waitcnt lgkmcnt(0)
	s_and_saveexec_b64 s[2:3], s[0:1]
	v_readlane_b32 s8, v254, 22
	v_readlane_b32 s14, v254, 28
	;; [unrolled: 1-line block ×5, first 2 shown]
	s_mov_b64 s[14:15], s[22:23]
	v_readlane_b32 s9, v254, 23
	v_readlane_b32 s10, v254, 24
	;; [unrolled: 1-line block ×11, first 2 shown]
	s_cbranch_execz .LBB19_368
; %bb.367:
	v_add_f32_e32 v0, v0, v1
	v_or_b32_e32 v1, v121, v33
	v_mad_u32_u24 v1, v1, s4, 0
	ds_write2_b32 v1, v36, v0 offset0:56 offset1:57
.LBB19_368:
	s_or_b64 exec, exec, s[2:3]
	v_cmp_eq_u32_e32 vcc, 0, v123
	v_cmp_eq_u32_e64 s[4:5], 1, v123
	s_waitcnt lgkmcnt(0)
	s_barrier
	s_and_saveexec_b64 s[2:3], s[4:5]
	s_xor_b64 s[2:3], exec, s[2:3]
	s_cbranch_execz .LBB19_370
; %bb.369:
	s_barrier
	s_waitcnt lgkmcnt(0)
                                        ; implicit-def: $vgpr122
                                        ; implicit-def: $vgpr35
.LBB19_370:
	s_andn2_saveexec_b64 s[2:3], s[2:3]
	s_cbranch_execz .LBB19_376
; %bb.371:
	v_or_b32_e32 v1, v121, v32
	s_movk_i32 s4, 0xf0
	v_mad_u32_u24 v0, v1, s4, 0
	ds_read_b64 v[36:37], v0 offset:224
	s_mov_b32 s4, 0x3fb8aa3b
	s_mov_b32 s6, 0x42b17218
	s_waitcnt lgkmcnt(0)
	s_barrier
	ds_bpermute_b32 v0, v35, v36
	v_max_f32_e32 v34, v36, v36
	s_waitcnt lgkmcnt(0)
	v_max_f32_e32 v0, v0, v0
	v_max_f32_e32 v0, v34, v0
	v_sub_f32_e32 v34, v36, v0
	v_mul_f32_e32 v36, 0x3fb8aa3b, v34
	v_fma_f32 v38, v34, s4, -v36
	v_rndne_f32_e32 v39, v36
	v_fmamk_f32 v38, v34, 0x32a5705f, v38
	v_sub_f32_e32 v36, v36, v39
	v_add_f32_e32 v36, v36, v38
	v_cvt_i32_f32_e32 v39, v39
	v_exp_f32_e32 v36, v36
	s_mov_b32 s4, 0xc2ce8ed0
	v_cmp_ngt_f32_e64 s[4:5], s4, v34
	v_mov_b32_e32 v38, 0x7f800000
	v_ldexp_f32 v36, v36, v39
	v_cndmask_b32_e64 v36, 0, v36, s[4:5]
	v_cmp_nlt_f32_e64 s[4:5], s6, v34
	s_nop 1
	v_cndmask_b32_e64 v34, v38, v36, s[4:5]
	v_mul_f32_e32 v36, v37, v34
	ds_bpermute_b32 v35, v35, v36
	v_cmp_gt_u32_e64 s[4:5], 32, v33
	s_waitcnt lgkmcnt(0)
	v_fmac_f32_e32 v35, v37, v34
	s_and_saveexec_b64 s[6:7], s[4:5]
	s_cbranch_execz .LBB19_373
; %bb.372:
	v_mul_u32_u24_e32 v1, 0xf0, v1
	v_add_u32_e32 v1, 0, v1
	ds_write_b64 v1, v[34:35] offset:224
.LBB19_373:
	s_or_b64 exec, exec, s[6:7]
	s_and_saveexec_b64 s[4:5], s[0:1]
	s_cbranch_execz .LBB19_375
; %bb.374:
	s_add_i32 s0, s67, s65
	s_lshl_b32 s0, s0, 5
	s_mov_b32 s1, 0
	s_lshl_b64 s[0:1], s[0:1], 3
	s_add_u32 s0, s14, s0
	v_or_b32_e32 v1, v122, v33
	s_addc_u32 s1, s15, s1
	v_lshlrev_b32_e32 v34, 3, v1
	v_mov_b32_e32 v1, v35
	global_store_dwordx2 v34, v[0:1], s[0:1]
.LBB19_375:
	s_or_b64 exec, exec, s[4:5]
.LBB19_376:
	s_or_b64 exec, exec, s[2:3]
	v_cvt_f16_f32_e32 v0, v2
	v_cvt_f16_f32_e32 v1, v4
	;; [unrolled: 1-line block ×6, first 2 shown]
	v_pack_b32_f16 v1, v1, v2
	v_pack_b32_f16 v0, v0, v3
	v_cvt_f16_f32_e32 v2, v6
	v_cvt_f16_f32_e32 v3, v7
	;; [unrolled: 1-line block ×6, first 2 shown]
	v_pack_b32_f16 v4, v4, v5
	v_pack_b32_f16 v2, v2, v3
	;; [unrolled: 1-line block ×4, first 2 shown]
	v_cvt_f16_f32_e32 v6, v14
	v_cvt_f16_f32_e32 v7, v15
	;; [unrolled: 1-line block ×8, first 2 shown]
	v_pack_b32_f16 v8, v8, v9
	v_pack_b32_f16 v6, v6, v7
	;; [unrolled: 1-line block ×4, first 2 shown]
	v_cvt_f16_f32_e32 v12, v24
	v_cvt_f16_f32_e32 v13, v25
	;; [unrolled: 1-line block ×8, first 2 shown]
	v_pack_b32_f16 v12, v12, v13
	v_pack_b32_f16 v13, v14, v17
	v_or_b32_e32 v14, v121, v30
	v_mad_u32_u24 v14, v14, 60, v31
	s_mov_b32 s3, 0
	v_lshl_add_u32 v14, v14, 2, 0
	v_pack_b32_f16 v10, v10, v11
	v_pack_b32_f16 v11, v15, v16
	ds_write2_b32 v14, v0, v1 offset1:1
	ds_write2_b32 v14, v2, v4 offset0:8 offset1:9
	ds_write2_b32 v14, v5, v3 offset0:16 offset1:17
	;; [unrolled: 1-line block ×6, first 2 shown]
	s_waitcnt lgkmcnt(0)
	s_barrier
	s_and_saveexec_b64 s[0:1], vcc
	s_cbranch_execz .LBB19_378
; %bb.377:
	s_mul_i32 s2, s65, 0x700
	v_add_u32_e32 v12, v79, v120
	s_lshl_b64 s[4:5], s[2:3], 3
	v_lshlrev_b32_e32 v13, 1, v12
	v_and_b32_e32 v14, 15, v12
	s_movk_i32 s2, 0xfe0
	s_add_u32 s6, s14, s4
	v_and_or_b32 v0, v13, s2, v14
	s_movk_i32 s4, 0xf0
	v_mad_u32_u24 v2, v0, s4, 0
	v_lshlrev_b32_e32 v15, 2, v32
	v_add_u32_e32 v0, v2, v15
	ds_read2st64_b32 v[0:1], v0 offset1:15
	v_add_u32_e32 v2, 0xe0, v2
	ds_read2st64_b32 v[2:3], v2 offset1:15
	s_addc_u32 s5, s15, s5
	s_lshl_b32 s2, s67, 6
	s_waitcnt lgkmcnt(1)
	v_cvt_f32_f16_e32 v4, v0
	v_cvt_f32_f16_sdwa v5, v0 dst_sel:DWORD dst_unused:UNUSED_PAD src0_sel:WORD_1
	s_lshl_b64 s[2:3], s[2:3], 3
	s_add_u32 s2, s6, s2
	s_addc_u32 s3, s5, s3
	s_waitcnt lgkmcnt(0)
	v_pk_fma_f32 v[4:5], v[2:3], v[4:5], 0 op_sel_hi:[0,1,0]
	v_add_u32_e32 v2, 4, v12
	v_lshlrev_b32_e32 v6, 1, v2
	v_and_b32_e32 v2, 15, v2
	s_movk_i32 s5, 0x1fe0
	v_and_or_b32 v2, v6, s5, v2
	v_mad_u32_u24 v8, v2, s4, 0
	v_add_u32_e32 v2, v8, v15
	ds_read2st64_b32 v[6:7], v2 offset1:15
	v_cvt_f32_f16_e32 v0, v1
	v_cvt_f32_f16_sdwa v1, v1 dst_sel:DWORD dst_unused:UNUSED_PAD src0_sel:WORD_1
	v_mov_b32_e32 v2, v3
	v_add_u32_e32 v3, 0xe0, v8
	ds_read2st64_b32 v[8:9], v3 offset1:15
	s_waitcnt lgkmcnt(1)
	v_cvt_f32_f16_e32 v10, v6
	v_cvt_f32_f16_sdwa v11, v6 dst_sel:DWORD dst_unused:UNUSED_PAD src0_sel:WORD_1
	v_pk_fma_f32 v[0:1], v[2:3], v[0:1], v[4:5] op_sel_hi:[0,1,1]
	v_add_u32_e32 v3, 8, v12
	v_mul_u32_u24_e32 v16, 56, v12
	v_lshlrev_b32_e32 v4, 1, v3
	v_and_b32_e32 v3, 15, v3
	v_add_lshl_u32 v16, v16, v32, 3
	v_and_or_b32 v3, v4, s5, v3
	global_store_dwordx2 v16, v[0:1], s[2:3]
	s_waitcnt lgkmcnt(0)
	v_pk_fma_f32 v[0:1], v[8:9], v[10:11], 0 op_sel_hi:[0,1,0]
	v_mad_u32_u24 v8, v3, s4, 0
	v_add_u32_e32 v3, v8, v15
	ds_read2st64_b32 v[4:5], v3 offset1:15
	v_cvt_f32_f16_e32 v2, v7
	v_cvt_f32_f16_sdwa v3, v7 dst_sel:DWORD dst_unused:UNUSED_PAD src0_sel:WORD_1
	v_add_u32_e32 v7, 0xe0, v8
	v_mov_b32_e32 v6, v9
	ds_read2st64_b32 v[8:9], v7 offset1:15
	s_waitcnt lgkmcnt(1)
	v_cvt_f32_f16_e32 v10, v4
	v_cvt_f32_f16_sdwa v11, v4 dst_sel:DWORD dst_unused:UNUSED_PAD src0_sel:WORD_1
	v_pk_fma_f32 v[0:1], v[6:7], v[2:3], v[0:1] op_sel_hi:[0,1,1]
	v_add_u32_e32 v3, 12, v12
	v_lshlrev_b32_e32 v4, 1, v3
	v_and_b32_e32 v3, 15, v3
	v_and_or_b32 v3, v4, s5, v3
	global_store_dwordx2 v16, v[0:1], s[2:3] offset:1792
	s_waitcnt lgkmcnt(0)
	v_pk_fma_f32 v[0:1], v[8:9], v[10:11], 0 op_sel_hi:[0,1,0]
	v_mad_u32_u24 v8, v3, s4, 0
	v_add_u32_e32 v3, v8, v15
	ds_read2st64_b32 v[6:7], v3 offset1:15
	v_cvt_f32_f16_e32 v2, v5
	v_cvt_f32_f16_sdwa v3, v5 dst_sel:DWORD dst_unused:UNUSED_PAD src0_sel:WORD_1
	v_add_u32_e32 v5, 0xe0, v8
	v_mov_b32_e32 v4, v9
	ds_read2st64_b32 v[8:9], v5 offset1:15
	s_waitcnt lgkmcnt(1)
	v_cvt_f32_f16_e32 v10, v6
	v_cvt_f32_f16_sdwa v11, v6 dst_sel:DWORD dst_unused:UNUSED_PAD src0_sel:WORD_1
	v_pk_fma_f32 v[0:1], v[4:5], v[2:3], v[0:1] op_sel_hi:[0,1,1]
	v_add_u32_e32 v3, 32, v13
	v_add_u32_e32 v17, 0xe00, v16
	v_and_or_b32 v3, v3, s5, v14
	global_store_dwordx2 v17, v[0:1], s[2:3]
	s_waitcnt lgkmcnt(0)
	v_pk_fma_f32 v[0:1], v[8:9], v[10:11], 0 op_sel_hi:[0,1,0]
	v_mad_u32_u24 v8, v3, s4, 0
	v_add_u32_e32 v3, v8, v15
	ds_read2st64_b32 v[4:5], v3 offset1:15
	v_cvt_f32_f16_e32 v2, v7
	v_cvt_f32_f16_sdwa v3, v7 dst_sel:DWORD dst_unused:UNUSED_PAD src0_sel:WORD_1
	v_add_u32_e32 v7, 0xe0, v8
	v_mov_b32_e32 v6, v9
	ds_read2st64_b32 v[8:9], v7 offset1:15
	s_waitcnt lgkmcnt(1)
	v_cvt_f32_f16_e32 v10, v4
	v_cvt_f32_f16_sdwa v11, v4 dst_sel:DWORD dst_unused:UNUSED_PAD src0_sel:WORD_1
	v_pk_fma_f32 v[0:1], v[6:7], v[2:3], v[0:1] op_sel_hi:[0,1,1]
	v_add_u32_e32 v3, 20, v12
	v_lshlrev_b32_e32 v4, 1, v3
	v_and_b32_e32 v3, 15, v3
	v_add_u32_e32 v17, 0x1500, v16
	v_and_or_b32 v3, v4, s5, v3
	global_store_dwordx2 v17, v[0:1], s[2:3]
	s_waitcnt lgkmcnt(0)
	v_pk_fma_f32 v[0:1], v[8:9], v[10:11], 0 op_sel_hi:[0,1,0]
	v_mad_u32_u24 v8, v3, s4, 0
	v_add_u32_e32 v3, v8, v15
	ds_read2st64_b32 v[6:7], v3 offset1:15
	v_cvt_f32_f16_e32 v2, v5
	v_cvt_f32_f16_sdwa v3, v5 dst_sel:DWORD dst_unused:UNUSED_PAD src0_sel:WORD_1
	v_add_u32_e32 v5, 0xe0, v8
	v_mov_b32_e32 v4, v9
	ds_read2st64_b32 v[8:9], v5 offset1:15
	s_waitcnt lgkmcnt(1)
	v_cvt_f32_f16_e32 v10, v6
	v_cvt_f32_f16_sdwa v11, v6 dst_sel:DWORD dst_unused:UNUSED_PAD src0_sel:WORD_1
	v_pk_fma_f32 v[0:1], v[4:5], v[2:3], v[0:1] op_sel_hi:[0,1,1]
	v_add_u32_e32 v3, 24, v12
	v_lshlrev_b32_e32 v4, 1, v3
	v_and_b32_e32 v3, 15, v3
	v_add_u32_e32 v13, 0x1c00, v16
	v_and_or_b32 v3, v4, s5, v3
	global_store_dwordx2 v13, v[0:1], s[2:3]
	s_waitcnt lgkmcnt(0)
	v_pk_fma_f32 v[0:1], v[8:9], v[10:11], 0 op_sel_hi:[0,1,0]
	v_mad_u32_u24 v8, v3, s4, 0
	v_add_u32_e32 v3, v8, v15
	ds_read2st64_b32 v[4:5], v3 offset1:15
	v_cvt_f32_f16_e32 v2, v7
	v_cvt_f32_f16_sdwa v3, v7 dst_sel:DWORD dst_unused:UNUSED_PAD src0_sel:WORD_1
	v_mov_b32_e32 v6, v9
	v_add_u32_e32 v7, 0xe0, v8
	ds_read2st64_b32 v[8:9], v7 offset1:15
	v_pk_fma_f32 v[0:1], v[6:7], v[2:3], v[0:1] op_sel_hi:[0,1,1]
	s_waitcnt lgkmcnt(1)
	v_cvt_f32_f16_e32 v2, v5
	v_cvt_f32_f16_sdwa v3, v5 dst_sel:DWORD dst_unused:UNUSED_PAD src0_sel:WORD_1
	v_add_u32_e32 v5, 28, v12
	v_lshlrev_b32_e32 v6, 1, v5
	v_and_b32_e32 v5, 15, v5
	v_cvt_f32_f16_e32 v10, v4
	v_cvt_f32_f16_sdwa v11, v4 dst_sel:DWORD dst_unused:UNUSED_PAD src0_sel:WORD_1
	v_and_or_b32 v5, v6, s5, v5
	v_mad_u32_u24 v5, v5, s4, 0
	v_add_u32_e32 v6, v5, v15
	v_add_u32_e32 v13, 0x2300, v16
	ds_read2st64_b32 v[6:7], v6 offset1:15
	global_store_dwordx2 v13, v[0:1], s[2:3]
	s_waitcnt lgkmcnt(1)
	v_pk_fma_f32 v[0:1], v[8:9], v[10:11], 0 op_sel_hi:[0,1,0]
	v_mov_b32_e32 v4, v9
	v_add_u32_e32 v13, 0x2a00, v16
	v_pk_fma_f32 v[0:1], v[4:5], v[2:3], v[0:1] op_sel_hi:[0,1,1]
	global_store_dwordx2 v13, v[0:1], s[2:3]
	v_add_u32_e32 v0, 0xe0, v5
	ds_read2st64_b32 v[0:1], v0 offset1:15
	s_waitcnt lgkmcnt(1)
	v_cvt_f32_f16_e32 v2, v6
	v_cvt_f32_f16_sdwa v3, v6 dst_sel:DWORD dst_unused:UNUSED_PAD src0_sel:WORD_1
	v_cvt_f32_f16_e32 v4, v7
	v_cvt_f32_f16_sdwa v5, v7 dst_sel:DWORD dst_unused:UNUSED_PAD src0_sel:WORD_1
	v_add_u32_e32 v8, v78, v119
	s_waitcnt lgkmcnt(0)
	v_pk_fma_f32 v[2:3], v[0:1], v[2:3], 0 op_sel_hi:[0,1,0]
	v_mov_b32_e32 v0, v1
	v_add_u32_e32 v6, 0x3100, v16
	v_pk_fma_f32 v[0:1], v[0:1], v[4:5], v[2:3] op_sel_hi:[0,1,1]
	v_lshlrev_b32_e32 v9, 1, v8
	v_and_b32_e32 v10, 15, v8
	global_store_dwordx2 v6, v[0:1], s[2:3]
	v_and_or_b32 v0, v9, s5, v10
	v_mad_u32_u24 v2, v0, s4, 0
	v_lshlrev_b32_e32 v11, 2, v30
	v_add_u32_e32 v0, v2, v11
	v_add_u32_e32 v0, 0x80, v0
	ds_read2st64_b32 v[0:1], v0 offset1:15
	v_add_u32_e32 v2, 0xe0, v2
	ds_read2st64_b32 v[2:3], v2 offset1:15
	v_mul_u32_u24_e32 v6, 56, v8
	v_add_lshl_u32 v6, v6, v30, 3
	s_waitcnt lgkmcnt(1)
	v_cvt_f32_f16_e32 v4, v0
	v_cvt_f32_f16_sdwa v5, v0 dst_sel:DWORD dst_unused:UNUSED_PAD src0_sel:WORD_1
	v_cvt_f32_f16_e32 v0, v1
	v_cvt_f32_f16_sdwa v1, v1 dst_sel:DWORD dst_unused:UNUSED_PAD src0_sel:WORD_1
	s_movk_i32 s5, 0x3fe0
	s_waitcnt lgkmcnt(0)
	v_pk_fma_f32 v[4:5], v[2:3], v[4:5], 0 op_sel_hi:[0,1,0]
	v_mov_b32_e32 v2, v3
	v_pk_fma_f32 v[0:1], v[2:3], v[0:1], v[4:5] op_sel_hi:[0,1,1]
	global_store_dwordx2 v6, v[0:1], s[2:3] offset:256
	v_add_u32_e32 v0, 8, v8
	v_lshlrev_b32_e32 v1, 1, v0
	v_and_b32_e32 v0, 15, v0
	v_and_or_b32 v0, v1, s5, v0
	v_mad_u32_u24 v1, v0, s4, 0
	v_add_u32_e32 v2, v1, v11
	v_add_u32_e32 v2, 0x80, v2
	ds_read2st64_b32 v[2:3], v2 offset1:15
	v_add_u32_e32 v1, 0xe0, v1
	ds_read2st64_b32 v[4:5], v1 offset1:15
	v_mov_b32_e32 v31, 0
	v_mov_b32_e32 v0, 0x1c0
	s_waitcnt lgkmcnt(1)
	v_cvt_f32_f16_e32 v6, v2
	v_cvt_f32_f16_sdwa v7, v2 dst_sel:DWORD dst_unused:UNUSED_PAD src0_sel:WORD_1
	v_cvt_f32_f16_e32 v2, v3
	v_cvt_f32_f16_sdwa v3, v3 dst_sel:DWORD dst_unused:UNUSED_PAD src0_sel:WORD_1
	v_mad_u32_u24 v0, v8, 56, v0
	v_mov_b32_e32 v1, v31
	v_lshl_add_u64 v[0:1], v[0:1], 0, v[30:31]
	s_waitcnt lgkmcnt(0)
	v_pk_fma_f32 v[6:7], v[4:5], v[6:7], 0 op_sel_hi:[0,1,0]
	v_mov_b32_e32 v4, v5
	v_lshl_add_u64 v[0:1], v[0:1], 3, s[2:3]
	v_pk_fma_f32 v[2:3], v[4:5], v[2:3], v[6:7] op_sel_hi:[0,1,1]
	global_store_dwordx2 v[0:1], v[2:3], off offset:256
	v_add_u32_e32 v0, 32, v9
	v_and_or_b32 v0, v0, s5, v10
	v_mad_u32_u24 v1, v0, s4, 0
	v_add_u32_e32 v2, v1, v11
	v_add_u32_e32 v2, 0x80, v2
	ds_read2st64_b32 v[2:3], v2 offset1:15
	v_add_u32_e32 v1, 0xe0, v1
	ds_read2st64_b32 v[4:5], v1 offset1:15
	v_mov_b32_e32 v0, 0x380
	v_mad_u32_u24 v0, v8, 56, v0
	s_waitcnt lgkmcnt(1)
	v_cvt_f32_f16_e32 v6, v2
	v_cvt_f32_f16_sdwa v7, v2 dst_sel:DWORD dst_unused:UNUSED_PAD src0_sel:WORD_1
	v_cvt_f32_f16_e32 v2, v3
	v_cvt_f32_f16_sdwa v3, v3 dst_sel:DWORD dst_unused:UNUSED_PAD src0_sel:WORD_1
	v_mov_b32_e32 v1, v31
	v_lshl_add_u64 v[0:1], v[0:1], 0, v[30:31]
	s_waitcnt lgkmcnt(0)
	v_pk_fma_f32 v[6:7], v[4:5], v[6:7], 0 op_sel_hi:[0,1,0]
	v_mov_b32_e32 v4, v5
	v_lshl_add_u64 v[0:1], v[0:1], 3, s[2:3]
	v_pk_fma_f32 v[2:3], v[4:5], v[2:3], v[6:7] op_sel_hi:[0,1,1]
	global_store_dwordx2 v[0:1], v[2:3], off offset:256
	v_add_u32_e32 v0, 24, v8
	v_lshlrev_b32_e32 v1, 1, v0
	v_and_b32_e32 v0, 15, v0
	v_and_or_b32 v0, v1, s5, v0
	v_mad_u32_u24 v3, v0, s4, 0
	v_add_u32_e32 v0, v3, v11
	v_add_u32_e32 v0, 0x80, v0
	ds_read2st64_b32 v[0:1], v0 offset1:15
	v_add_u32_e32 v3, 0xe0, v3
	ds_read2st64_b32 v[4:5], v3 offset1:15
	v_add_u32_e32 v10, v61, v118
	v_mov_b32_e32 v2, 0x540
	s_waitcnt lgkmcnt(1)
	v_cvt_f32_f16_e32 v6, v0
	v_cvt_f32_f16_sdwa v7, v0 dst_sel:DWORD dst_unused:UNUSED_PAD src0_sel:WORD_1
	v_lshlrev_b32_e32 v11, 1, v10
	v_and_b32_e32 v12, 15, v10
	v_mad_u32_u24 v2, v8, 56, v2
	s_waitcnt lgkmcnt(0)
	v_pk_fma_f32 v[6:7], v[4:5], v[6:7], 0 op_sel_hi:[0,1,0]
	v_mov_b32_e32 v4, v5
	v_and_b32_e32 v5, 7, v33
	v_and_or_b32 v8, v11, s5, v12
	v_mad_u32_u24 v13, v8, s4, 0
	v_lshlrev_b32_e32 v14, 2, v5
	v_cvt_f32_f16_e32 v0, v1
	v_cvt_f32_f16_sdwa v1, v1 dst_sel:DWORD dst_unused:UNUSED_PAD src0_sel:WORD_1
	v_add_u32_e32 v8, v13, v14
	v_add_u32_e32 v8, 0xc0, v8
	v_mov_b32_e32 v3, v31
	ds_read2st64_b32 v[8:9], v8 offset1:15
	v_lshl_add_u64 v[2:3], v[2:3], 0, v[30:31]
	v_lshl_add_u64 v[2:3], v[2:3], 3, s[2:3]
	v_pk_fma_f32 v[0:1], v[4:5], v[0:1], v[6:7] op_sel_hi:[0,1,1]
	global_store_dwordx2 v[2:3], v[0:1], off offset:256
	v_add_u32_e32 v0, 0xe0, v13
	ds_read2st64_b32 v[0:1], v0 offset1:15
	s_waitcnt lgkmcnt(1)
	v_cvt_f32_f16_e32 v2, v8
	v_cvt_f32_f16_sdwa v3, v8 dst_sel:DWORD dst_unused:UNUSED_PAD src0_sel:WORD_1
	v_mul_u32_u24_e32 v4, 56, v10
	s_movk_i32 s5, 0x7fe0
	v_or_b32_e32 v4, v4, v5
	s_waitcnt lgkmcnt(0)
	v_pk_fma_f32 v[2:3], v[0:1], v[2:3], 0 op_sel_hi:[0,1,0]
	v_mov_b32_e32 v0, v1
	v_add_u32_e32 v1, 32, v11
	v_and_or_b32 v1, v1, s5, v12
	v_lshlrev_b32_e32 v8, 3, v4
	v_cvt_f32_f16_e32 v4, v9
	v_cvt_f32_f16_sdwa v5, v9 dst_sel:DWORD dst_unused:UNUSED_PAD src0_sel:WORD_1
	v_mad_u32_u24 v9, v1, s4, 0
	v_add_u32_e32 v1, v9, v14
	v_add_u32_e32 v1, 0xc0, v1
	ds_read2st64_b32 v[6:7], v1 offset1:15
	v_pk_fma_f32 v[0:1], v[0:1], v[4:5], v[2:3] op_sel_hi:[0,1,1]
	global_store_dwordx2 v8, v[0:1], s[2:3] offset:384
	v_add_u32_e32 v0, 0xe0, v9
	ds_read2st64_b32 v[0:1], v0 offset1:15
	s_waitcnt lgkmcnt(1)
	v_cvt_f32_f16_e32 v2, v6
	v_cvt_f32_f16_sdwa v3, v6 dst_sel:DWORD dst_unused:UNUSED_PAD src0_sel:WORD_1
	v_cvt_f32_f16_e32 v4, v7
	v_cvt_f32_f16_sdwa v5, v7 dst_sel:DWORD dst_unused:UNUSED_PAD src0_sel:WORD_1
	v_add_u32_e32 v6, 0x1c00, v8
	s_waitcnt lgkmcnt(0)
	v_pk_fma_f32 v[2:3], v[0:1], v[2:3], 0 op_sel_hi:[0,1,0]
	v_mov_b32_e32 v0, v1
	v_pk_fma_f32 v[0:1], v[0:1], v[4:5], v[2:3] op_sel_hi:[0,1,1]
	global_store_dwordx2 v6, v[0:1], s[2:3] offset:384
.LBB19_378:
	s_or_b64 exec, exec, s[0:1]
	s_barrier
	s_endpgm
.LBB19_379:
                                        ; implicit-def: $vgpr0_vgpr1_vgpr2_vgpr3
                                        ; implicit-def: $vgpr4_vgpr5_vgpr6_vgpr7
                                        ; implicit-def: $vgpr29
                                        ; implicit-def: $vgpr28
	s_branch .LBB19_363
	.section	.rodata,"a",@progbits
	.p2align	6, 0x0
	.amdhsa_kernel _ZL18flash_attn_ext_f16ILi112ELi112ELi32ELi1ELb0ELb0EEvPKcS1_S1_S1_S1_PKiPfP15HIP_vector_typeIfLj2EEffffjfiS5_IjLj3EEiiiiiiiiiiiliiliiiiil
		.amdhsa_group_segment_fixed_size 0
		.amdhsa_private_segment_fixed_size 80
		.amdhsa_kernarg_size 464
		.amdhsa_user_sgpr_count 2
		.amdhsa_user_sgpr_dispatch_ptr 0
		.amdhsa_user_sgpr_queue_ptr 0
		.amdhsa_user_sgpr_kernarg_segment_ptr 1
		.amdhsa_user_sgpr_dispatch_id 0
		.amdhsa_user_sgpr_kernarg_preload_length 0
		.amdhsa_user_sgpr_kernarg_preload_offset 0
		.amdhsa_user_sgpr_private_segment_size 0
		.amdhsa_uses_dynamic_stack 0
		.amdhsa_enable_private_segment 1
		.amdhsa_system_sgpr_workgroup_id_x 1
		.amdhsa_system_sgpr_workgroup_id_y 0
		.amdhsa_system_sgpr_workgroup_id_z 0
		.amdhsa_system_sgpr_workgroup_info 0
		.amdhsa_system_vgpr_workitem_id 1
		.amdhsa_next_free_vgpr 256
		.amdhsa_next_free_sgpr 100
		.amdhsa_accum_offset 256
		.amdhsa_reserve_vcc 1
		.amdhsa_float_round_mode_32 0
		.amdhsa_float_round_mode_16_64 0
		.amdhsa_float_denorm_mode_32 3
		.amdhsa_float_denorm_mode_16_64 3
		.amdhsa_dx10_clamp 1
		.amdhsa_ieee_mode 1
		.amdhsa_fp16_overflow 0
		.amdhsa_tg_split 0
		.amdhsa_exception_fp_ieee_invalid_op 0
		.amdhsa_exception_fp_denorm_src 0
		.amdhsa_exception_fp_ieee_div_zero 0
		.amdhsa_exception_fp_ieee_overflow 0
		.amdhsa_exception_fp_ieee_underflow 0
		.amdhsa_exception_fp_ieee_inexact 0
		.amdhsa_exception_int_div_zero 0
	.end_amdhsa_kernel
	.section	.text._ZL18flash_attn_ext_f16ILi112ELi112ELi32ELi1ELb0ELb0EEvPKcS1_S1_S1_S1_PKiPfP15HIP_vector_typeIfLj2EEffffjfiS5_IjLj3EEiiiiiiiiiiiliiliiiiil,"axG",@progbits,_ZL18flash_attn_ext_f16ILi112ELi112ELi32ELi1ELb0ELb0EEvPKcS1_S1_S1_S1_PKiPfP15HIP_vector_typeIfLj2EEffffjfiS5_IjLj3EEiiiiiiiiiiiliiliiiiil,comdat
.Lfunc_end19:
	.size	_ZL18flash_attn_ext_f16ILi112ELi112ELi32ELi1ELb0ELb0EEvPKcS1_S1_S1_S1_PKiPfP15HIP_vector_typeIfLj2EEffffjfiS5_IjLj3EEiiiiiiiiiiiliiliiiiil, .Lfunc_end19-_ZL18flash_attn_ext_f16ILi112ELi112ELi32ELi1ELb0ELb0EEvPKcS1_S1_S1_S1_PKiPfP15HIP_vector_typeIfLj2EEffffjfiS5_IjLj3EEiiiiiiiiiiiliiliiiiil
                                        ; -- End function
	.section	.AMDGPU.csdata,"",@progbits
; Kernel info:
; codeLenInByte = 54960
; NumSgprs: 106
; NumVgprs: 256
; NumAgprs: 0
; TotalNumVgprs: 256
; ScratchSize: 80
; MemoryBound: 0
; FloatMode: 240
; IeeeMode: 1
; LDSByteSize: 0 bytes/workgroup (compile time only)
; SGPRBlocks: 13
; VGPRBlocks: 31
; NumSGPRsForWavesPerEU: 106
; NumVGPRsForWavesPerEU: 256
; AccumOffset: 256
; Occupancy: 2
; WaveLimiterHint : 0
; COMPUTE_PGM_RSRC2:SCRATCH_EN: 1
; COMPUTE_PGM_RSRC2:USER_SGPR: 2
; COMPUTE_PGM_RSRC2:TRAP_HANDLER: 0
; COMPUTE_PGM_RSRC2:TGID_X_EN: 1
; COMPUTE_PGM_RSRC2:TGID_Y_EN: 0
; COMPUTE_PGM_RSRC2:TGID_Z_EN: 0
; COMPUTE_PGM_RSRC2:TIDIG_COMP_CNT: 1
; COMPUTE_PGM_RSRC3_GFX90A:ACCUM_OFFSET: 63
; COMPUTE_PGM_RSRC3_GFX90A:TG_SPLIT: 0
	.section	.text._ZL18flash_attn_ext_f16ILi112ELi112ELi32ELi1ELb1ELb0EEvPKcS1_S1_S1_S1_PKiPfP15HIP_vector_typeIfLj2EEffffjfiS5_IjLj3EEiiiiiiiiiiiliiliiiiil,"axG",@progbits,_ZL18flash_attn_ext_f16ILi112ELi112ELi32ELi1ELb1ELb0EEvPKcS1_S1_S1_S1_PKiPfP15HIP_vector_typeIfLj2EEffffjfiS5_IjLj3EEiiiiiiiiiiiliiliiiiil,comdat
	.globl	_ZL18flash_attn_ext_f16ILi112ELi112ELi32ELi1ELb1ELb0EEvPKcS1_S1_S1_S1_PKiPfP15HIP_vector_typeIfLj2EEffffjfiS5_IjLj3EEiiiiiiiiiiiliiliiiiil ; -- Begin function _ZL18flash_attn_ext_f16ILi112ELi112ELi32ELi1ELb1ELb0EEvPKcS1_S1_S1_S1_PKiPfP15HIP_vector_typeIfLj2EEffffjfiS5_IjLj3EEiiiiiiiiiiiliiliiiiil
	.p2align	8
	.type	_ZL18flash_attn_ext_f16ILi112ELi112ELi32ELi1ELb1ELb0EEvPKcS1_S1_S1_S1_PKiPfP15HIP_vector_typeIfLj2EEffffjfiS5_IjLj3EEiiiiiiiiiiiliiliiiiil,@function
_ZL18flash_attn_ext_f16ILi112ELi112ELi32ELi1ELb1ELb0EEvPKcS1_S1_S1_S1_PKiPfP15HIP_vector_typeIfLj2EEffffjfiS5_IjLj3EEiiiiiiiiiiiliiliiiiil: ; @_ZL18flash_attn_ext_f16ILi112ELi112ELi32ELi1ELb1ELb0EEvPKcS1_S1_S1_S1_PKiPfP15HIP_vector_typeIfLj2EEffffjfiS5_IjLj3EEiiiiiiiiiiiliiliiiiil
; %bb.0:
	s_add_u32 s8, s0, 0xd0
	s_addc_u32 s9, s1, 0
	s_mov_b32 s32, 0
	s_getpc_b64 s[0:1]
	s_add_u32 s0, s0, _ZL14no_device_codePKciS0_iS0_@rel32@lo+4
	s_addc_u32 s1, s1, _ZL14no_device_codePKciS0_iS0_@rel32@hi+12
	s_swappc_b64 s[30:31], s[0:1]
	.section	.rodata,"a",@progbits
	.p2align	6, 0x0
	.amdhsa_kernel _ZL18flash_attn_ext_f16ILi112ELi112ELi32ELi1ELb1ELb0EEvPKcS1_S1_S1_S1_PKiPfP15HIP_vector_typeIfLj2EEffffjfiS5_IjLj3EEiiiiiiiiiiiliiliiiiil
		.amdhsa_group_segment_fixed_size 0
		.amdhsa_private_segment_fixed_size 16
		.amdhsa_kernarg_size 464
		.amdhsa_user_sgpr_count 2
		.amdhsa_user_sgpr_dispatch_ptr 0
		.amdhsa_user_sgpr_queue_ptr 0
		.amdhsa_user_sgpr_kernarg_segment_ptr 1
		.amdhsa_user_sgpr_dispatch_id 0
		.amdhsa_user_sgpr_kernarg_preload_length 0
		.amdhsa_user_sgpr_kernarg_preload_offset 0
		.amdhsa_user_sgpr_private_segment_size 0
		.amdhsa_uses_dynamic_stack 0
		.amdhsa_enable_private_segment 1
		.amdhsa_system_sgpr_workgroup_id_x 1
		.amdhsa_system_sgpr_workgroup_id_y 0
		.amdhsa_system_sgpr_workgroup_id_z 0
		.amdhsa_system_sgpr_workgroup_info 0
		.amdhsa_system_vgpr_workitem_id 0
		.amdhsa_next_free_vgpr 39
		.amdhsa_next_free_sgpr 34
		.amdhsa_accum_offset 40
		.amdhsa_reserve_vcc 1
		.amdhsa_float_round_mode_32 0
		.amdhsa_float_round_mode_16_64 0
		.amdhsa_float_denorm_mode_32 3
		.amdhsa_float_denorm_mode_16_64 3
		.amdhsa_dx10_clamp 1
		.amdhsa_ieee_mode 1
		.amdhsa_fp16_overflow 0
		.amdhsa_tg_split 0
		.amdhsa_exception_fp_ieee_invalid_op 0
		.amdhsa_exception_fp_denorm_src 0
		.amdhsa_exception_fp_ieee_div_zero 0
		.amdhsa_exception_fp_ieee_overflow 0
		.amdhsa_exception_fp_ieee_underflow 0
		.amdhsa_exception_fp_ieee_inexact 0
		.amdhsa_exception_int_div_zero 0
	.end_amdhsa_kernel
	.section	.text._ZL18flash_attn_ext_f16ILi112ELi112ELi32ELi1ELb1ELb0EEvPKcS1_S1_S1_S1_PKiPfP15HIP_vector_typeIfLj2EEffffjfiS5_IjLj3EEiiiiiiiiiiiliiliiiiil,"axG",@progbits,_ZL18flash_attn_ext_f16ILi112ELi112ELi32ELi1ELb1ELb0EEvPKcS1_S1_S1_S1_PKiPfP15HIP_vector_typeIfLj2EEffffjfiS5_IjLj3EEiiiiiiiiiiiliiliiiiil,comdat
.Lfunc_end20:
	.size	_ZL18flash_attn_ext_f16ILi112ELi112ELi32ELi1ELb1ELb0EEvPKcS1_S1_S1_S1_PKiPfP15HIP_vector_typeIfLj2EEffffjfiS5_IjLj3EEiiiiiiiiiiiliiliiiiil, .Lfunc_end20-_ZL18flash_attn_ext_f16ILi112ELi112ELi32ELi1ELb1ELb0EEvPKcS1_S1_S1_S1_PKiPfP15HIP_vector_typeIfLj2EEffffjfiS5_IjLj3EEiiiiiiiiiiiliiliiiiil
                                        ; -- End function
	.section	.AMDGPU.csdata,"",@progbits
; Kernel info:
; codeLenInByte = 40
; NumSgprs: 40
; NumVgprs: 39
; NumAgprs: 0
; TotalNumVgprs: 39
; ScratchSize: 16
; MemoryBound: 0
; FloatMode: 240
; IeeeMode: 1
; LDSByteSize: 0 bytes/workgroup (compile time only)
; SGPRBlocks: 4
; VGPRBlocks: 4
; NumSGPRsForWavesPerEU: 40
; NumVGPRsForWavesPerEU: 39
; AccumOffset: 40
; Occupancy: 8
; WaveLimiterHint : 1
; COMPUTE_PGM_RSRC2:SCRATCH_EN: 1
; COMPUTE_PGM_RSRC2:USER_SGPR: 2
; COMPUTE_PGM_RSRC2:TRAP_HANDLER: 0
; COMPUTE_PGM_RSRC2:TGID_X_EN: 1
; COMPUTE_PGM_RSRC2:TGID_Y_EN: 0
; COMPUTE_PGM_RSRC2:TGID_Z_EN: 0
; COMPUTE_PGM_RSRC2:TIDIG_COMP_CNT: 0
; COMPUTE_PGM_RSRC3_GFX90A:ACCUM_OFFSET: 9
; COMPUTE_PGM_RSRC3_GFX90A:TG_SPLIT: 0
	.section	.text._ZL33flash_attn_stream_k_fixup_uniformILi112ELi32ELi1EEvPfPK15HIP_vector_typeIfLj2EEiiiiiiS1_IjLj3EES5_S5_,"axG",@progbits,_ZL33flash_attn_stream_k_fixup_uniformILi112ELi32ELi1EEvPfPK15HIP_vector_typeIfLj2EEiiiiiiS1_IjLj3EES5_S5_,comdat
	.globl	_ZL33flash_attn_stream_k_fixup_uniformILi112ELi32ELi1EEvPfPK15HIP_vector_typeIfLj2EEiiiiiiS1_IjLj3EES5_S5_ ; -- Begin function _ZL33flash_attn_stream_k_fixup_uniformILi112ELi32ELi1EEvPfPK15HIP_vector_typeIfLj2EEiiiiiiS1_IjLj3EES5_S5_
	.p2align	8
	.type	_ZL33flash_attn_stream_k_fixup_uniformILi112ELi32ELi1EEvPfPK15HIP_vector_typeIfLj2EEiiiiiiS1_IjLj3EES5_S5_,@function
_ZL33flash_attn_stream_k_fixup_uniformILi112ELi32ELi1EEvPfPK15HIP_vector_typeIfLj2EEiiiiiiS1_IjLj3EES5_S5_: ; @_ZL33flash_attn_stream_k_fixup_uniformILi112ELi32ELi1EEvPfPK15HIP_vector_typeIfLj2EEiiiiiiS1_IjLj3EES5_S5_
; %bb.0:
	s_load_dwordx8 s[8:15], s[0:1], 0x1c
	s_load_dwordx2 s[6:7], s[0:1], 0x10
	s_load_dwordx4 s[16:19], s[0:1], 0x3c
	s_waitcnt lgkmcnt(0)
	s_mul_hi_u32 s5, s11, s2
	s_add_i32 s5, s2, s5
	s_lshr_b32 s5, s5, s12
	s_mul_i32 s11, s5, s13
	s_sub_i32 s12, s2, s11
	s_mul_hi_u32 s11, s12, s14
	s_add_i32 s11, s12, s11
	s_lshr_b32 s11, s11, s15
	s_mul_i32 s13, s11, s16
	s_sub_i32 s12, s12, s13
	;; [unrolled: 5-line block ×3, first 2 shown]
	s_lshl_b32 s12, s17, 5
	s_add_i32 s12, s12, s3
	s_cmp_lt_i32 s12, s6
	s_cselect_b64 s[12:13], -1, 0
	s_add_i32 s16, s16, s4
	s_cmp_lt_i32 s16, s9
	s_cselect_b64 s[14:15], -1, 0
	s_and_b64 s[12:13], s[12:13], s[14:15]
	s_andn2_b64 vcc, exec, s[12:13]
	s_cbranch_vccnz .LBB21_6
; %bb.1:
	s_load_dwordx4 s[12:15], s[0:1], 0x0
	s_mul_i32 s0, s5, s6
	s_mul_i32 s11, s11, s9
	s_add_i32 s0, s0, s3
	s_mul_i32 s0, s0, s7
	s_add_i32 s5, s16, s11
	;; [unrolled: 2-line block ×3, first 2 shown]
	s_mulk_i32 s1, 0xe00
	s_mulk_i32 s0, 0x70
	s_add_i32 s0, s0, s1
	v_add_u32_e32 v4, s0, v0
	s_waitcnt lgkmcnt(0)
	v_mov_b32_e32 v2, s12
	v_mov_b32_e32 v3, s13
	v_ashrrev_i32_e32 v5, 31, v4
	v_lshl_add_u64 v[2:3], v[4:5], 2, v[2:3]
	global_load_dword v7, v[2:3], off
	s_mul_i32 s6, s2, s10
	s_add_i32 s7, s6, s10
	s_add_i32 s3, s3, s4
	s_lshl_b32 s0, s7, 5
	s_add_i32 s0, s3, s0
	s_sub_i32 s0, s0, 32
	s_ashr_i32 s1, s0, 31
	s_lshl_b64 s[0:1], s[0:1], 3
	s_add_u32 s0, s14, s0
	s_addc_u32 s1, s15, s1
	s_load_dword s9, s[0:1], 0x4
	s_add_i32 s4, s7, -2
	s_cmp_lt_i32 s4, s6
	s_cbranch_scc1 .LBB21_4
; %bb.2:
	s_lshl_b32 s4, s8, 7
	s_ashr_i32 s5, s4, 31
	s_lshl_b64 s[4:5], s[4:5], 2
	s_add_u32 s4, s14, s4
	s_addc_u32 s5, s15, s5
	s_load_dword s0, s[0:1], 0x0
	s_add_i32 s2, s2, 1
	s_mul_i32 s10, s10, s2
	s_mul_i32 s1, s3, 0x70
	s_lshl_b32 s2, s10, 5
	s_mulk_i32 s10, 0xe00
	s_add_i32 s2, s3, s2
	s_lshl_b32 s3, s8, 5
	s_add_i32 s1, s1, s10
	s_add_i32 s2, s2, s3
	v_add_u32_e32 v0, s1, v0
	s_add_i32 s7, s7, -1
	s_sub_i32 s2, s2, 64
	v_add_u32_e32 v0, 0xffffe400, v0
	s_waitcnt lgkmcnt(0)
	v_mov_b32_e32 v6, s9
	v_mov_b32_e32 v5, s0
	s_mov_b32 s8, 0x3fb8aa3b
	s_mov_b32 s9, 0xc2ce8ed0
	;; [unrolled: 1-line block ×3, first 2 shown]
	v_mov_b32_e32 v4, 0x7f800000
	s_mov_b32 s11, 0xc1a00000
.LBB21_3:                               ; =>This Inner Loop Header: Depth=1
	v_ashrrev_i32_e32 v1, 31, v0
	v_lshl_add_u64 v[8:9], v[0:1], 2, s[4:5]
	global_load_dword v1, v[8:9], off
	s_ashr_i32 s3, s2, 31
	s_lshl_b64 s[0:1], s[2:3], 3
	s_add_u32 s0, s14, s0
	s_addc_u32 s1, s15, s1
	s_load_dwordx2 s[12:13], s[0:1], 0x0
	s_waitcnt vmcnt(1)
	v_mov_b32_e32 v8, v7
	v_max_f32_e32 v7, v5, v5
	v_mov_b32_e32 v9, v6
	s_add_i32 s7, s7, -1
	s_waitcnt lgkmcnt(0)
	v_max_f32_e64 v6, s12, s12
	v_max_f32_e32 v6, v7, v6
	v_sub_f32_e32 v10, s12, v6
	v_sub_f32_e32 v7, v5, v6
	v_mul_f32_e32 v11, 0x3fb8aa3b, v10
	v_mov_b32_e32 v5, v6
	v_mul_f32_e32 v6, 0x3fb8aa3b, v7
	v_fma_f32 v14, v10, s8, -v11
	v_rndne_f32_e32 v15, v11
	v_fma_f32 v12, v7, s8, -v6
	v_rndne_f32_e32 v13, v6
	v_fmac_f32_e32 v14, 0x32a5705f, v10
	v_sub_f32_e32 v11, v11, v15
	v_fmac_f32_e32 v12, 0x32a5705f, v7
	v_sub_f32_e32 v6, v6, v13
	v_add_f32_e32 v11, v11, v14
	v_cvt_i32_f32_e32 v15, v15
	v_add_f32_e32 v6, v6, v12
	v_exp_f32_e32 v11, v11
	v_cvt_i32_f32_e32 v13, v13
	v_exp_f32_e32 v6, v6
	v_cmp_ngt_f32_e32 vcc, s9, v10
	v_ldexp_f32 v11, v11, v15
	v_cmp_ngt_f32_e64 s[0:1], s9, v7
	v_ldexp_f32 v6, v6, v13
	v_cndmask_b32_e32 v11, 0, v11, vcc
	v_cmp_nlt_f32_e32 vcc, s10, v10
	v_cndmask_b32_e64 v6, 0, v6, s[0:1]
	v_cmp_nlt_f32_e64 s[0:1], s10, v7
	v_cndmask_b32_e32 v11, v4, v11, vcc
	v_cmp_le_f32_e32 vcc, s11, v10
	v_cndmask_b32_e64 v6, v4, v6, s[0:1]
	v_cmp_le_f32_e64 s[0:1], s11, v7
	v_cndmask_b32_e32 v7, 0, v11, vcc
	s_sub_i32 s2, s2, 32
	v_cndmask_b32_e64 v10, 0, v6, s[0:1]
	v_mul_f32_e32 v6, s13, v7
	v_add_u32_e32 v0, 0xfffff200, v0
	s_cmp_le_i32 s7, s6
	v_fmac_f32_e32 v6, v9, v10
	s_waitcnt vmcnt(0)
	v_mul_f32_e32 v7, v1, v7
	v_fmac_f32_e32 v7, v8, v10
	s_cbranch_scc0 .LBB21_3
	s_branch .LBB21_5
.LBB21_4:
	s_waitcnt lgkmcnt(0)
	v_mov_b32_e32 v6, s9
.LBB21_5:
	s_waitcnt vmcnt(0)
	v_div_scale_f32 v0, s[0:1], v6, v6, v7
	v_rcp_f32_e32 v1, v0
	v_div_scale_f32 v4, vcc, v7, v6, v7
	v_fma_f32 v5, -v0, v1, 1.0
	v_fmac_f32_e32 v1, v5, v1
	v_mul_f32_e32 v5, v4, v1
	v_fma_f32 v8, -v0, v5, v4
	v_fmac_f32_e32 v5, v8, v1
	v_fma_f32 v0, -v0, v5, v4
	v_div_fmas_f32 v0, v0, v1, v5
	v_div_fixup_f32 v0, v0, v6, v7
	global_store_dword v[2:3], v0, off
.LBB21_6:
	s_endpgm
	.section	.rodata,"a",@progbits
	.p2align	6, 0x0
	.amdhsa_kernel _ZL33flash_attn_stream_k_fixup_uniformILi112ELi32ELi1EEvPfPK15HIP_vector_typeIfLj2EEiiiiiiS1_IjLj3EES5_S5_
		.amdhsa_group_segment_fixed_size 0
		.amdhsa_private_segment_fixed_size 0
		.amdhsa_kernarg_size 76
		.amdhsa_user_sgpr_count 2
		.amdhsa_user_sgpr_dispatch_ptr 0
		.amdhsa_user_sgpr_queue_ptr 0
		.amdhsa_user_sgpr_kernarg_segment_ptr 1
		.amdhsa_user_sgpr_dispatch_id 0
		.amdhsa_user_sgpr_kernarg_preload_length 0
		.amdhsa_user_sgpr_kernarg_preload_offset 0
		.amdhsa_user_sgpr_private_segment_size 0
		.amdhsa_uses_dynamic_stack 0
		.amdhsa_enable_private_segment 0
		.amdhsa_system_sgpr_workgroup_id_x 1
		.amdhsa_system_sgpr_workgroup_id_y 1
		.amdhsa_system_sgpr_workgroup_id_z 1
		.amdhsa_system_sgpr_workgroup_info 0
		.amdhsa_system_vgpr_workitem_id 0
		.amdhsa_next_free_vgpr 16
		.amdhsa_next_free_sgpr 20
		.amdhsa_accum_offset 16
		.amdhsa_reserve_vcc 1
		.amdhsa_float_round_mode_32 0
		.amdhsa_float_round_mode_16_64 0
		.amdhsa_float_denorm_mode_32 3
		.amdhsa_float_denorm_mode_16_64 3
		.amdhsa_dx10_clamp 1
		.amdhsa_ieee_mode 1
		.amdhsa_fp16_overflow 0
		.amdhsa_tg_split 0
		.amdhsa_exception_fp_ieee_invalid_op 0
		.amdhsa_exception_fp_denorm_src 0
		.amdhsa_exception_fp_ieee_div_zero 0
		.amdhsa_exception_fp_ieee_overflow 0
		.amdhsa_exception_fp_ieee_underflow 0
		.amdhsa_exception_fp_ieee_inexact 0
		.amdhsa_exception_int_div_zero 0
	.end_amdhsa_kernel
	.section	.text._ZL33flash_attn_stream_k_fixup_uniformILi112ELi32ELi1EEvPfPK15HIP_vector_typeIfLj2EEiiiiiiS1_IjLj3EES5_S5_,"axG",@progbits,_ZL33flash_attn_stream_k_fixup_uniformILi112ELi32ELi1EEvPfPK15HIP_vector_typeIfLj2EEiiiiiiS1_IjLj3EES5_S5_,comdat
.Lfunc_end21:
	.size	_ZL33flash_attn_stream_k_fixup_uniformILi112ELi32ELi1EEvPfPK15HIP_vector_typeIfLj2EEiiiiiiS1_IjLj3EES5_S5_, .Lfunc_end21-_ZL33flash_attn_stream_k_fixup_uniformILi112ELi32ELi1EEvPfPK15HIP_vector_typeIfLj2EEiiiiiiS1_IjLj3EES5_S5_
                                        ; -- End function
	.section	.AMDGPU.csdata,"",@progbits
; Kernel info:
; codeLenInByte = 820
; NumSgprs: 26
; NumVgprs: 16
; NumAgprs: 0
; TotalNumVgprs: 16
; ScratchSize: 0
; MemoryBound: 0
; FloatMode: 240
; IeeeMode: 1
; LDSByteSize: 0 bytes/workgroup (compile time only)
; SGPRBlocks: 3
; VGPRBlocks: 1
; NumSGPRsForWavesPerEU: 26
; NumVGPRsForWavesPerEU: 16
; AccumOffset: 16
; Occupancy: 8
; WaveLimiterHint : 0
; COMPUTE_PGM_RSRC2:SCRATCH_EN: 0
; COMPUTE_PGM_RSRC2:USER_SGPR: 2
; COMPUTE_PGM_RSRC2:TRAP_HANDLER: 0
; COMPUTE_PGM_RSRC2:TGID_X_EN: 1
; COMPUTE_PGM_RSRC2:TGID_Y_EN: 1
; COMPUTE_PGM_RSRC2:TGID_Z_EN: 1
; COMPUTE_PGM_RSRC2:TIDIG_COMP_CNT: 0
; COMPUTE_PGM_RSRC3_GFX90A:ACCUM_OFFSET: 3
; COMPUTE_PGM_RSRC3_GFX90A:TG_SPLIT: 0
	.section	.text._ZL33flash_attn_stream_k_fixup_generalILi112ELi32ELi1EEvPfPK15HIP_vector_typeIfLj2EEiiiiS1_IjLj3EES5_S5_S5_,"axG",@progbits,_ZL33flash_attn_stream_k_fixup_generalILi112ELi32ELi1EEvPfPK15HIP_vector_typeIfLj2EEiiiiS1_IjLj3EES5_S5_S5_,comdat
	.globl	_ZL33flash_attn_stream_k_fixup_generalILi112ELi32ELi1EEvPfPK15HIP_vector_typeIfLj2EEiiiiS1_IjLj3EES5_S5_S5_ ; -- Begin function _ZL33flash_attn_stream_k_fixup_generalILi112ELi32ELi1EEvPfPK15HIP_vector_typeIfLj2EEiiiiS1_IjLj3EES5_S5_S5_
	.p2align	8
	.type	_ZL33flash_attn_stream_k_fixup_generalILi112ELi32ELi1EEvPfPK15HIP_vector_typeIfLj2EEiiiiS1_IjLj3EES5_S5_S5_,@function
_ZL33flash_attn_stream_k_fixup_generalILi112ELi32ELi1EEvPfPK15HIP_vector_typeIfLj2EEiiiiS1_IjLj3EES5_S5_S5_: ; @_ZL33flash_attn_stream_k_fixup_generalILi112ELi32ELi1EEvPfPK15HIP_vector_typeIfLj2EEiiiiS1_IjLj3EES5_S5_S5_
; %bb.0:
	s_load_dwordx4 s[12:15], s[0:1], 0x10
	s_load_dword s22, s[0:1], 0x50
	s_mov_b32 s8, 0
	s_waitcnt lgkmcnt(0)
	s_mul_hi_i32 s9, s15, s2
	s_cmp_lg_u64 s[8:9], 0
	s_mul_i32 s5, s15, s2
	s_cbranch_scc0 .LBB22_21
; %bb.1:
	v_cvt_f32_u32_e32 v1, s22
	v_cvt_f32_ubyte0_e32 v2, 0
	s_sub_u32 s8, 0, s22
	s_subb_u32 s10, 0, 0
	v_fmamk_f32 v1, v2, 0x4f800000, v1
	v_rcp_f32_e32 v1, v1
	s_nop 0
	v_mul_f32_e32 v1, 0x5f7ffffc, v1
	v_mul_f32_e32 v2, 0x2f800000, v1
	v_trunc_f32_e32 v2, v2
	v_fmamk_f32 v1, v2, 0xcf800000, v1
	v_cvt_u32_f32_e32 v2, v2
	v_cvt_u32_f32_e32 v1, v1
	v_readfirstlane_b32 s11, v2
	v_readfirstlane_b32 s16, v1
	s_mul_i32 s17, s8, s11
	s_mul_hi_u32 s19, s8, s16
	s_mul_i32 s18, s10, s16
	s_add_i32 s17, s19, s17
	s_add_i32 s17, s17, s18
	s_mul_i32 s20, s8, s16
	s_mul_hi_u32 s18, s16, s17
	s_mul_i32 s19, s16, s17
	s_mul_hi_u32 s16, s16, s20
	s_add_u32 s16, s16, s19
	s_addc_u32 s18, 0, s18
	s_mul_hi_u32 s21, s11, s20
	s_mul_i32 s20, s11, s20
	s_add_u32 s16, s16, s20
	s_mul_hi_u32 s19, s11, s17
	s_addc_u32 s16, s18, s21
	s_addc_u32 s18, s19, 0
	s_mul_i32 s17, s11, s17
	s_add_u32 s16, s16, s17
	s_addc_u32 s17, 0, s18
	v_add_co_u32_e32 v1, vcc, s16, v1
	s_cmp_lg_u64 vcc, 0
	s_addc_u32 s11, s11, s17
	v_readfirstlane_b32 s17, v1
	s_mul_i32 s16, s8, s11
	s_mul_hi_u32 s18, s8, s17
	s_add_i32 s16, s18, s16
	s_mul_i32 s10, s10, s17
	s_add_i32 s16, s16, s10
	s_mul_i32 s8, s8, s17
	s_mul_hi_u32 s18, s11, s8
	s_mul_i32 s19, s11, s8
	s_mul_i32 s21, s17, s16
	s_mul_hi_u32 s8, s17, s8
	s_mul_hi_u32 s20, s17, s16
	s_add_u32 s8, s8, s21
	s_addc_u32 s17, 0, s20
	s_add_u32 s8, s8, s19
	s_mul_hi_u32 s10, s11, s16
	s_addc_u32 s8, s17, s18
	s_addc_u32 s10, s10, 0
	s_mul_i32 s16, s11, s16
	s_add_u32 s8, s8, s16
	s_addc_u32 s10, 0, s10
	v_add_co_u32_e32 v1, vcc, s8, v1
	s_cmp_lg_u64 vcc, 0
	s_addc_u32 s16, s11, s10
	s_ashr_i32 s10, s9, 31
	s_add_u32 s8, s5, s10
	s_mov_b32 s11, s10
	s_addc_u32 s9, s9, s10
	s_xor_b64 s[8:9], s[8:9], s[10:11]
	v_readfirstlane_b32 s19, v1
	s_mul_i32 s18, s8, s16
	s_mul_hi_u32 s20, s8, s19
	s_mul_hi_u32 s17, s8, s16
	s_add_u32 s18, s20, s18
	s_addc_u32 s17, 0, s17
	s_mul_hi_u32 s21, s9, s19
	s_mul_i32 s19, s9, s19
	s_add_u32 s18, s18, s19
	s_mul_hi_u32 s20, s9, s16
	s_addc_u32 s17, s17, s21
	s_addc_u32 s18, s20, 0
	s_mul_i32 s16, s9, s16
	s_add_u32 s16, s17, s16
	s_addc_u32 s17, 0, s18
	s_add_u32 s18, s16, 1
	s_addc_u32 s19, s17, 0
	s_add_u32 s20, s16, 2
	s_mul_i32 s23, s22, s17
	s_mul_hi_u32 s24, s22, s16
	s_addc_u32 s21, s17, 0
	s_add_i32 s24, s24, s23
	s_mul_i32 s23, s22, s16
	v_mov_b32_e32 v1, s23
	v_sub_co_u32_e32 v1, vcc, s8, v1
	s_cmp_lg_u64 vcc, 0
	s_subb_u32 s8, s9, s24
	v_subrev_co_u32_e32 v2, vcc, s22, v1
	s_cmp_lg_u64 vcc, 0
	s_subb_u32 s9, s8, 0
	v_readfirstlane_b32 s23, v2
	s_cmp_ge_u32 s23, s22
	s_cselect_b32 s23, -1, 0
	s_cmp_eq_u32 s9, 0
	s_cselect_b32 s9, s23, -1
	s_cmp_lg_u32 s9, 0
	s_cselect_b32 s9, s21, s19
	v_readfirstlane_b32 s19, v1
	s_cselect_b32 s18, s20, s18
	s_cmp_ge_u32 s19, s22
	s_cselect_b32 s19, -1, 0
	s_cmp_eq_u32 s8, 0
	s_cselect_b32 s8, s19, -1
	s_cmp_lg_u32 s8, 0
	s_cselect_b32 s9, s9, s17
	s_cselect_b32 s8, s18, s16
	s_xor_b64 s[8:9], s[8:9], s[10:11]
	s_sub_u32 s20, s8, s10
	s_load_dwordx4 s[16:19], s[0:1], 0x44
	s_cbranch_execnz .LBB22_3
.LBB22_2:
	v_cvt_f32_u32_e32 v1, s22
	s_sub_i32 s6, 0, s22
	v_rcp_iflag_f32_e32 v1, v1
	s_nop 0
	v_mul_f32_e32 v1, 0x4f7ffffe, v1
	v_cvt_u32_f32_e32 v1, v1
	s_nop 0
	v_readfirstlane_b32 s7, v1
	s_mul_i32 s6, s6, s7
	s_mul_hi_u32 s6, s7, s6
	s_add_i32 s7, s7, s6
	s_mul_hi_u32 s6, s5, s7
	s_mul_i32 s8, s6, s22
	s_sub_i32 s5, s5, s8
	s_add_i32 s7, s6, 1
	s_sub_i32 s8, s5, s22
	s_cmp_ge_u32 s5, s22
	s_cselect_b32 s6, s7, s6
	s_cselect_b32 s5, s8, s5
	s_add_i32 s7, s6, 1
	s_cmp_ge_u32 s5, s22
	s_cselect_b32 s20, s7, s6
.LBB22_3:
	s_add_i32 s5, s2, 1
	s_mul_hi_i32 s9, s15, s5
	s_mov_b32 s8, 0
	s_cmp_lg_u64 s[8:9], 0
	s_mul_i32 s5, s15, s5
	s_cbranch_scc0 .LBB22_22
; %bb.4:
	v_cvt_f32_u32_e32 v1, s22
	v_cvt_f32_ubyte0_e32 v2, 0
	s_sub_u32 s8, 0, s22
	s_subb_u32 s10, 0, 0
	v_fmamk_f32 v1, v2, 0x4f800000, v1
	v_rcp_f32_e32 v1, v1
	s_nop 0
	v_mul_f32_e32 v1, 0x5f7ffffc, v1
	v_mul_f32_e32 v2, 0x2f800000, v1
	v_trunc_f32_e32 v2, v2
	v_fmamk_f32 v1, v2, 0xcf800000, v1
	v_cvt_u32_f32_e32 v2, v2
	v_cvt_u32_f32_e32 v1, v1
	v_readfirstlane_b32 s11, v2
	s_waitcnt lgkmcnt(0)
	v_readfirstlane_b32 s19, v1
	s_mul_i32 s21, s8, s11
	s_mul_hi_u32 s24, s8, s19
	s_mul_i32 s23, s10, s19
	s_add_i32 s21, s24, s21
	s_add_i32 s21, s21, s23
	s_mul_i32 s25, s8, s19
	s_mul_hi_u32 s23, s19, s21
	s_mul_i32 s24, s19, s21
	s_mul_hi_u32 s19, s19, s25
	s_add_u32 s19, s19, s24
	s_addc_u32 s23, 0, s23
	s_mul_hi_u32 s26, s11, s25
	s_mul_i32 s25, s11, s25
	s_add_u32 s19, s19, s25
	s_mul_hi_u32 s24, s11, s21
	s_addc_u32 s19, s23, s26
	s_addc_u32 s23, s24, 0
	s_mul_i32 s21, s11, s21
	s_add_u32 s19, s19, s21
	s_addc_u32 s21, 0, s23
	v_add_co_u32_e32 v1, vcc, s19, v1
	s_cmp_lg_u64 vcc, 0
	s_addc_u32 s11, s11, s21
	v_readfirstlane_b32 s21, v1
	s_mul_i32 s19, s8, s11
	s_mul_hi_u32 s23, s8, s21
	s_add_i32 s19, s23, s19
	s_mul_i32 s10, s10, s21
	s_add_i32 s19, s19, s10
	s_mul_i32 s8, s8, s21
	s_mul_hi_u32 s23, s11, s8
	s_mul_i32 s24, s11, s8
	s_mul_i32 s26, s21, s19
	s_mul_hi_u32 s8, s21, s8
	s_mul_hi_u32 s25, s21, s19
	s_add_u32 s8, s8, s26
	s_addc_u32 s21, 0, s25
	s_add_u32 s8, s8, s24
	s_mul_hi_u32 s10, s11, s19
	s_addc_u32 s8, s21, s23
	s_addc_u32 s10, s10, 0
	s_mul_i32 s19, s11, s19
	s_add_u32 s8, s8, s19
	s_addc_u32 s10, 0, s10
	v_add_co_u32_e32 v1, vcc, s8, v1
	s_cmp_lg_u64 vcc, 0
	s_addc_u32 s19, s11, s10
	s_ashr_i32 s10, s9, 31
	s_add_u32 s8, s5, s10
	s_mov_b32 s11, s10
	s_addc_u32 s9, s9, s10
	s_xor_b64 s[8:9], s[8:9], s[10:11]
	v_readfirstlane_b32 s23, v1
	s_mul_i32 s21, s8, s19
	s_mul_hi_u32 s24, s8, s23
	s_mul_hi_u32 s11, s8, s19
	s_add_u32 s21, s24, s21
	s_addc_u32 s11, 0, s11
	s_mul_hi_u32 s25, s9, s23
	s_mul_i32 s23, s9, s23
	s_add_u32 s21, s21, s23
	s_mul_hi_u32 s24, s9, s19
	s_addc_u32 s11, s11, s25
	s_addc_u32 s21, s24, 0
	s_mul_i32 s19, s9, s19
	s_add_u32 s11, s11, s19
	s_addc_u32 s19, 0, s21
	s_mul_i32 s19, s22, s19
	s_mul_hi_u32 s24, s22, s11
	s_add_i32 s24, s24, s19
	s_mul_i32 s19, s22, s11
	v_mov_b32_e32 v1, s19
	s_add_u32 s21, s11, 1
	s_add_u32 s23, s11, 2
	v_sub_co_u32_e32 v1, vcc, s8, v1
	s_cmp_lg_u64 vcc, 0
	s_subb_u32 s8, s9, s24
	v_subrev_co_u32_e32 v2, vcc, s22, v1
	s_cmp_lg_u64 vcc, 0
	s_subb_u32 s9, s8, 0
	v_cmp_le_u32_e32 vcc, s22, v2
	s_cmp_eq_u32 s9, 0
	v_mov_b32_e32 v3, s21
	v_cndmask_b32_e64 v2, 0, -1, vcc
	s_cselect_b64 vcc, -1, 0
	v_cndmask_b32_e32 v2, -1, v2, vcc
	v_mov_b32_e32 v4, s23
	v_cmp_ne_u32_e32 vcc, 0, v2
	s_cmp_eq_u32 s8, 0
	s_nop 0
	v_cndmask_b32_e32 v2, v3, v4, vcc
	v_cmp_le_u32_e32 vcc, s22, v1
	v_mov_b32_e32 v3, s11
	s_nop 0
	v_cndmask_b32_e64 v1, 0, -1, vcc
	s_cselect_b64 vcc, -1, 0
	v_cndmask_b32_e32 v1, -1, v1, vcc
	v_cmp_ne_u32_e32 vcc, 0, v1
	s_nop 1
	v_cndmask_b32_e32 v1, v3, v2, vcc
	v_xor_b32_e32 v1, s10, v1
	v_subrev_co_u32_e32 v2, vcc, s10, v1
	s_cbranch_execnz .LBB22_6
.LBB22_5:
	v_cvt_f32_u32_e32 v1, s22
	s_sub_i32 s6, 0, s22
	s_mov_b32 s7, 0
	v_rcp_iflag_f32_e32 v1, v1
	s_nop 0
	v_mul_f32_e32 v1, 0x4f7ffffe, v1
	v_cvt_u32_f32_e32 v1, v1
	s_nop 0
	v_readfirstlane_b32 s8, v1
	s_mul_i32 s6, s6, s8
	s_mul_hi_u32 s6, s8, s6
	s_add_i32 s8, s8, s6
	s_mul_hi_u32 s6, s5, s8
	s_mul_i32 s9, s6, s22
	s_sub_i32 s5, s5, s9
	s_add_i32 s8, s6, 1
	s_sub_i32 s9, s5, s22
	s_cmp_ge_u32 s5, s22
	s_cselect_b32 s6, s8, s6
	s_cselect_b32 s5, s9, s5
	s_add_i32 s8, s6, 1
	s_cmp_ge_u32 s5, s22
	s_cselect_b32 s6, s8, s6
	v_mov_b64_e32 v[2:3], s[6:7]
.LBB22_6:
	s_waitcnt lgkmcnt(0)
	s_mul_hi_u32 s5, s20, s16
	s_add_i32 s5, s5, s20
	v_mul_hi_u32 v1, v2, s16
	s_lshr_b32 s19, s5, s17
	v_add_u32_e32 v1, v1, v2
	s_mul_i32 s5, s19, s18
	v_lshrrev_b32_e32 v1, s17, v1
	s_cmp_eq_u32 s5, s20
	v_cmp_eq_u32_e64 s[6:7], s19, v1
	v_mul_lo_u32 v1, v1, s18
	v_cmp_eq_u32_e32 vcc, s20, v2
	s_cselect_b64 s[10:11], -1, 0
	v_cmp_ne_u32_e64 s[8:9], v1, v2
	s_and_b64 s[6:7], s[6:7], s[8:9]
	s_or_b64 s[8:9], vcc, s[10:11]
	s_or_b64 s[6:7], s[8:9], s[6:7]
	s_and_b64 vcc, exec, s[6:7]
	s_cbranch_vccnz .LBB22_24
; %bb.7:
	s_load_dwordx8 s[24:31], s[0:1], 0x20
	s_load_dword s5, s[0:1], 0x40
	s_waitcnt lgkmcnt(0)
	s_mul_hi_u32 s6, s20, s24
	s_add_i32 s6, s6, s20
	s_lshr_b32 s7, s6, s25
	s_mul_i32 s6, s7, s26
	s_sub_i32 s6, s20, s6
	s_mul_hi_u32 s8, s6, s27
	s_add_i32 s8, s6, s8
	s_lshr_b32 s23, s8, s28
	s_mul_i32 s8, s23, s29
	s_sub_i32 s6, s6, s8
	;; [unrolled: 5-line block ×3, first 2 shown]
	s_mul_hi_u32 s6, s5, s16
	s_add_i32 s5, s5, s6
	s_lshr_b32 s24, s5, s17
	s_lshl_b32 s5, s24, 5
	s_add_i32 s5, s5, s3
	s_cmp_lt_i32 s5, s12
	s_cselect_b64 s[8:9], -1, 0
	s_add_i32 s25, s25, s4
	s_cmp_lt_i32 s25, s14
	s_cselect_b64 s[10:11], -1, 0
	s_and_b64 s[8:9], s[8:9], s[10:11]
	s_andn2_b64 vcc, exec, s[8:9]
	s_mov_b32 s6, 0
	s_cbranch_vccnz .LBB22_24
; %bb.8:
	s_load_dwordx4 s[8:11], s[0:1], 0x0
	s_lshl_b32 s0, s22, 7
	s_mov_b32 s1, s6
	s_add_i32 s21, s3, s4
	s_lshl_b64 s[0:1], s[0:1], 2
	s_waitcnt lgkmcnt(0)
	s_add_u32 s4, s10, s0
	s_mul_i32 s0, s7, s12
	s_addc_u32 s5, s11, s1
	s_mul_i32 s23, s23, s14
	s_add_i32 s0, s0, s3
	s_mul_i32 s0, s0, s13
	s_add_i32 s3, s25, s23
	s_mul_i32 s1, s13, s24
	s_add_i32 s0, s3, s0
	s_mulk_i32 s1, 0xe00
	s_mulk_i32 s0, 0x70
	s_add_i32 s1, s1, s0
	v_add_u32_e32 v4, s1, v0
	v_mov_b32_e32 v2, s8
	v_mov_b32_e32 v3, s9
	v_ashrrev_i32_e32 v5, 31, v4
	v_lshl_add_u64 v[2:3], v[4:5], 2, v[2:3]
	global_load_dword v5, v[2:3], off
	s_lshl_b32 s0, s2, 5
	s_add_i32 s0, s0, s21
	s_ashr_i32 s1, s0, 31
	s_lshl_b64 s[0:1], s[0:1], 3
	s_add_u32 s0, s10, s0
	s_addc_u32 s1, s11, s1
	s_add_i32 s12, s2, -1
	s_mul_i32 s2, s21, 0x70
	v_add_u32_e32 v4, s2, v0
	v_cvt_f32_u32_e32 v0, s22
	v_cvt_f32_ubyte0_e32 v1, 0
	s_load_dwordx2 s[0:1], s[0:1], 0x0
	v_mov_b32_e32 v8, s20
	v_fmac_f32_e32 v0, 0x4f800000, v1
	v_rcp_f32_e32 v0, v0
	v_cvt_f32_u32_e32 v1, s22
	s_waitcnt lgkmcnt(0)
	v_mov_b32_e32 v6, s1
	v_mov_b32_e32 v7, s0
	v_mul_f32_e32 v0, 0x5f7ffffc, v0
	v_rcp_iflag_f32_e32 v1, v1
	v_mul_f32_e32 v9, 0x2f800000, v0
	v_trunc_f32_e32 v10, v9
	v_fmac_f32_e32 v0, 0xcf800000, v10
	v_cvt_u32_f32_e32 v9, v0
	v_mul_f32_e32 v0, 0x4f7ffffe, v1
	v_cvt_u32_f32_e32 v10, v10
	v_cvt_u32_f32_e32 v11, v0
	s_mov_b32 s8, 0x3fb8aa3b
	s_mov_b32 s9, 0xc2ce8ed0
	;; [unrolled: 1-line block ×4, first 2 shown]
	v_mov_b32_e32 v12, 0x7f800000
	s_mul_hi_i32 s7, s12, s15
	s_cmp_lg_u64 s[6:7], 0
	s_mul_i32 s2, s12, s15
	s_cbranch_scc0 .LBB22_15
.LBB22_9:
	s_sub_u32 s0, 0, s22
	v_readfirstlane_b32 s3, v9
	v_readfirstlane_b32 s24, v10
	s_subb_u32 s1, 0, 0
	s_mul_hi_u32 s23, s0, s3
	s_mul_i32 s25, s0, s24
	s_mul_i32 s20, s1, s3
	s_add_i32 s23, s23, s25
	s_add_i32 s23, s23, s20
	s_mul_i32 s26, s0, s3
	s_mul_hi_u32 s20, s3, s23
	s_mul_i32 s25, s3, s23
	s_mul_hi_u32 s3, s3, s26
	s_add_u32 s3, s3, s25
	s_addc_u32 s20, 0, s20
	s_mul_hi_u32 s27, s24, s26
	s_mul_i32 s26, s24, s26
	s_add_u32 s3, s3, s26
	s_mul_hi_u32 s25, s24, s23
	s_addc_u32 s3, s20, s27
	s_addc_u32 s20, s25, 0
	s_mul_i32 s23, s24, s23
	s_add_u32 s3, s3, s23
	s_addc_u32 s20, 0, s20
	v_add_co_u32_e32 v0, vcc, s3, v9
	s_cmp_lg_u64 vcc, 0
	s_addc_u32 s3, s24, s20
	v_readfirstlane_b32 s23, v0
	s_mul_i32 s20, s0, s3
	s_mul_hi_u32 s24, s0, s23
	s_add_i32 s20, s24, s20
	s_mul_i32 s1, s1, s23
	s_add_i32 s20, s20, s1
	s_mul_i32 s0, s0, s23
	s_mul_hi_u32 s24, s3, s0
	s_mul_i32 s25, s3, s0
	s_mul_i32 s27, s23, s20
	s_mul_hi_u32 s0, s23, s0
	s_mul_hi_u32 s26, s23, s20
	s_add_u32 s0, s0, s27
	s_addc_u32 s23, 0, s26
	s_add_u32 s0, s0, s25
	s_mul_hi_u32 s1, s3, s20
	s_addc_u32 s0, s23, s24
	s_addc_u32 s1, s1, 0
	s_mul_i32 s20, s3, s20
	s_add_u32 s0, s0, s20
	s_addc_u32 s1, 0, s1
	v_add_co_u32_e32 v0, vcc, s0, v0
	s_cmp_lg_u64 vcc, 0
	s_addc_u32 s3, s3, s1
	s_ashr_i32 s0, s7, 31
	s_add_u32 s24, s2, s0
	s_mov_b32 s1, s0
	s_addc_u32 s25, s7, s0
	s_xor_b64 s[24:25], s[24:25], s[0:1]
	v_readfirstlane_b32 s20, v0
	s_mul_i32 s7, s24, s3
	s_mul_hi_u32 s23, s24, s20
	s_mul_hi_u32 s1, s24, s3
	s_add_u32 s7, s23, s7
	s_addc_u32 s1, 0, s1
	s_mul_hi_u32 s26, s25, s20
	s_mul_i32 s20, s25, s20
	s_add_u32 s7, s7, s20
	s_mul_hi_u32 s23, s25, s3
	s_addc_u32 s1, s1, s26
	s_addc_u32 s7, s23, 0
	s_mul_i32 s3, s25, s3
	s_add_u32 s1, s1, s3
	s_addc_u32 s3, 0, s7
	s_mul_i32 s3, s22, s3
	s_mul_hi_u32 s23, s22, s1
	s_add_i32 s23, s23, s3
	s_mul_i32 s3, s22, s1
	v_mov_b32_e32 v0, s3
	s_add_u32 s7, s1, 1
	s_add_u32 s20, s1, 2
	v_sub_co_u32_e32 v0, vcc, s24, v0
	s_cmp_lg_u64 vcc, 0
	s_subb_u32 s3, s25, s23
	v_subrev_co_u32_e32 v1, vcc, s22, v0
	s_cmp_lg_u64 vcc, 0
	s_subb_u32 s23, s3, 0
	v_cmp_le_u32_e32 vcc, s22, v1
	s_cmp_eq_u32 s23, 0
	v_mov_b32_e32 v13, s7
	v_cndmask_b32_e64 v1, 0, -1, vcc
	s_cselect_b64 vcc, -1, 0
	v_cndmask_b32_e32 v1, -1, v1, vcc
	v_mov_b32_e32 v14, s20
	v_cmp_ne_u32_e32 vcc, 0, v1
	s_cmp_eq_u32 s3, 0
	s_nop 0
	v_cndmask_b32_e32 v1, v13, v14, vcc
	v_cmp_le_u32_e32 vcc, s22, v0
	v_mov_b32_e32 v13, s1
	s_nop 0
	v_cndmask_b32_e64 v0, 0, -1, vcc
	s_cselect_b64 vcc, -1, 0
	v_cndmask_b32_e32 v0, -1, v0, vcc
	v_cmp_ne_u32_e32 vcc, 0, v0
	s_nop 1
	v_cndmask_b32_e32 v0, v13, v1, vcc
	v_xor_b32_e32 v0, s0, v0
	v_subrev_co_u32_e32 v0, vcc, s0, v0
	s_cbranch_execnz .LBB22_11
.LBB22_10:
	s_sub_i32 s0, 0, s22
	v_mul_lo_u32 v0, s0, v11
	v_mul_hi_u32 v0, v11, v0
	v_add_u32_e32 v0, v11, v0
	v_mul_hi_u32 v0, s2, v0
	v_mul_lo_u32 v13, v0, s22
	v_sub_u32_e32 v13, s2, v13
	v_add_u32_e32 v1, 1, v0
	v_subrev_u32_e32 v14, s22, v13
	v_cmp_le_u32_e32 vcc, s22, v13
	s_nop 1
	v_cndmask_b32_e32 v13, v13, v14, vcc
	v_cndmask_b32_e32 v0, v0, v1, vcc
	v_add_u32_e32 v1, 1, v0
	v_cmp_le_u32_e32 vcc, s22, v13
	s_nop 1
	v_cndmask_b32_e32 v0, v0, v1, vcc
.LBB22_11:
	v_cmp_ne_u32_e32 vcc, v8, v0
	s_cbranch_vccz .LBB22_14
; %bb.12:
	s_add_i32 s0, s12, s22
	s_lshl_b32 s0, s0, 5
	v_mul_hi_u32 v1, v0, s16
	s_add_i32 s0, s0, s21
	s_mov_b32 s1, s6
	v_add_u32_e32 v1, v1, v0
	s_lshl_b64 s[0:1], s[0:1], 3
	v_lshrrev_b32_e32 v1, s17, v1
	s_add_u32 s2, s10, s0
	v_mul_lo_u32 v13, v1, s18
	s_addc_u32 s3, s11, s1
	v_cmp_eq_u32_e32 vcc, v13, v0
	v_cmp_gt_u32_e64 s[0:1], s19, v1
	s_or_b64 s[0:1], s[0:1], vcc
	s_and_b64 vcc, exec, s[0:1]
	s_cbranch_vccnz .LBB22_16
; %bb.13:
	s_add_i32 s7, s12, -1
	s_mov_b64 s[0:1], 0
	s_branch .LBB22_17
.LBB22_14:
                                        ; implicit-def: $sgpr0_sgpr1
                                        ; implicit-def: $vgpr14
                                        ; implicit-def: $vgpr1
                                        ; implicit-def: $vgpr13
                                        ; implicit-def: $sgpr7
                                        ; implicit-def: $vgpr0
	s_branch .LBB22_18
.LBB22_15:
                                        ; implicit-def: $vgpr0_vgpr1
	s_branch .LBB22_10
.LBB22_16:
	s_mov_b64 s[0:1], -1
	s_mov_b32 s7, s12
	v_mov_b32_e32 v0, v8
.LBB22_17:
	s_mul_i32 s20, s12, 0xe00
	v_add_u32_e32 v14, s20, v4
	v_ashrrev_i32_e32 v15, 31, v14
	v_lshl_add_u64 v[14:15], v[14:15], 2, s[4:5]
	global_load_dword v14, v[14:15], off
	s_load_dwordx2 s[2:3], s[2:3], 0x0
	v_max_f32_e32 v1, v7, v7
	s_waitcnt lgkmcnt(0)
	v_max_f32_e64 v13, s2, s2
	v_max_f32_e32 v1, v1, v13
	v_sub_f32_e32 v13, v7, v1
	v_sub_f32_e32 v15, s2, v1
	v_mul_f32_e32 v16, 0x3fb8aa3b, v13
	v_mul_f32_e32 v17, 0x3fb8aa3b, v15
	v_fma_f32 v18, v13, s8, -v16
	v_rndne_f32_e32 v19, v16
	v_fma_f32 v20, v15, s8, -v17
	v_rndne_f32_e32 v21, v17
	v_fmac_f32_e32 v18, 0x32a5705f, v13
	v_sub_f32_e32 v16, v16, v19
	v_fmac_f32_e32 v20, 0x32a5705f, v15
	v_sub_f32_e32 v17, v17, v21
	v_add_f32_e32 v16, v16, v18
	v_cvt_i32_f32_e32 v19, v19
	v_add_f32_e32 v17, v17, v20
	v_exp_f32_e32 v16, v16
	v_cvt_i32_f32_e32 v21, v21
	v_exp_f32_e32 v17, v17
	v_cmp_ngt_f32_e32 vcc, s9, v13
	v_ldexp_f32 v16, v16, v19
	v_ldexp_f32 v17, v17, v21
	v_cndmask_b32_e32 v16, 0, v16, vcc
	v_cmp_ngt_f32_e32 vcc, s9, v15
	s_nop 1
	v_cndmask_b32_e32 v17, 0, v17, vcc
	v_cmp_nlt_f32_e32 vcc, s13, v13
	s_nop 1
	v_cndmask_b32_e32 v16, v12, v16, vcc
	v_cmp_nlt_f32_e32 vcc, s13, v15
	s_nop 1
	v_cndmask_b32_e32 v17, v12, v17, vcc
	v_cmp_le_f32_e32 vcc, s14, v13
	s_nop 1
	v_cndmask_b32_e32 v16, 0, v16, vcc
	v_cmp_le_f32_e32 vcc, s14, v15
	s_nop 1
	v_cndmask_b32_e32 v15, 0, v17, vcc
	v_mul_f32_e32 v13, s3, v15
	v_fmac_f32_e32 v13, v6, v16
	s_waitcnt vmcnt(0)
	v_mul_f32_e32 v14, v14, v15
	v_fmac_f32_e32 v14, v5, v16
	s_cbranch_execnz .LBB22_19
.LBB22_18:
	s_add_i32 s7, s12, -1
	s_mov_b64 s[0:1], 0
	v_mov_b32_e32 v0, v8
	v_mov_b32_e32 v13, v6
	;; [unrolled: 1-line block ×3, first 2 shown]
	s_waitcnt vmcnt(0)
	v_mov_b32_e32 v14, v5
.LBB22_19:
	s_andn2_b64 vcc, exec, s[0:1]
	s_cbranch_vccz .LBB22_23
; %bb.20:
	v_mov_b32_e32 v8, v0
	s_mov_b32 s12, s7
	v_mov_b32_e32 v6, v13
	v_mov_b32_e32 v7, v1
	s_waitcnt vmcnt(0)
	v_mov_b32_e32 v5, v14
	s_mul_hi_i32 s7, s12, s15
	s_cmp_lg_u64 s[6:7], 0
	s_mul_i32 s2, s12, s15
	s_cbranch_scc1 .LBB22_9
	s_branch .LBB22_15
.LBB22_21:
                                        ; implicit-def: $sgpr20_sgpr21
	s_load_dwordx4 s[16:19], s[0:1], 0x44
	s_branch .LBB22_2
.LBB22_22:
                                        ; implicit-def: $vgpr2_vgpr3
	s_branch .LBB22_5
.LBB22_23:
	v_div_scale_f32 v0, s[0:1], v13, v13, v14
	v_rcp_f32_e32 v1, v0
	v_div_scale_f32 v4, vcc, v14, v13, v14
	s_waitcnt vmcnt(0)
	v_fma_f32 v5, -v0, v1, 1.0
	v_fmac_f32_e32 v1, v5, v1
	v_mul_f32_e32 v5, v4, v1
	v_fma_f32 v6, -v0, v5, v4
	v_fmac_f32_e32 v5, v6, v1
	v_fma_f32 v0, -v0, v5, v4
	v_div_fmas_f32 v0, v0, v1, v5
	v_div_fixup_f32 v0, v0, v13, v14
	global_store_dword v[2:3], v0, off
.LBB22_24:
	s_endpgm
	.section	.rodata,"a",@progbits
	.p2align	6, 0x0
	.amdhsa_kernel _ZL33flash_attn_stream_k_fixup_generalILi112ELi32ELi1EEvPfPK15HIP_vector_typeIfLj2EEiiiiS1_IjLj3EES5_S5_S5_
		.amdhsa_group_segment_fixed_size 0
		.amdhsa_private_segment_fixed_size 0
		.amdhsa_kernarg_size 336
		.amdhsa_user_sgpr_count 2
		.amdhsa_user_sgpr_dispatch_ptr 0
		.amdhsa_user_sgpr_queue_ptr 0
		.amdhsa_user_sgpr_kernarg_segment_ptr 1
		.amdhsa_user_sgpr_dispatch_id 0
		.amdhsa_user_sgpr_kernarg_preload_length 0
		.amdhsa_user_sgpr_kernarg_preload_offset 0
		.amdhsa_user_sgpr_private_segment_size 0
		.amdhsa_uses_dynamic_stack 0
		.amdhsa_enable_private_segment 0
		.amdhsa_system_sgpr_workgroup_id_x 1
		.amdhsa_system_sgpr_workgroup_id_y 1
		.amdhsa_system_sgpr_workgroup_id_z 1
		.amdhsa_system_sgpr_workgroup_info 0
		.amdhsa_system_vgpr_workitem_id 0
		.amdhsa_next_free_vgpr 22
		.amdhsa_next_free_sgpr 32
		.amdhsa_accum_offset 24
		.amdhsa_reserve_vcc 1
		.amdhsa_float_round_mode_32 0
		.amdhsa_float_round_mode_16_64 0
		.amdhsa_float_denorm_mode_32 3
		.amdhsa_float_denorm_mode_16_64 3
		.amdhsa_dx10_clamp 1
		.amdhsa_ieee_mode 1
		.amdhsa_fp16_overflow 0
		.amdhsa_tg_split 0
		.amdhsa_exception_fp_ieee_invalid_op 0
		.amdhsa_exception_fp_denorm_src 0
		.amdhsa_exception_fp_ieee_div_zero 0
		.amdhsa_exception_fp_ieee_overflow 0
		.amdhsa_exception_fp_ieee_underflow 0
		.amdhsa_exception_fp_ieee_inexact 0
		.amdhsa_exception_int_div_zero 0
	.end_amdhsa_kernel
	.section	.text._ZL33flash_attn_stream_k_fixup_generalILi112ELi32ELi1EEvPfPK15HIP_vector_typeIfLj2EEiiiiS1_IjLj3EES5_S5_S5_,"axG",@progbits,_ZL33flash_attn_stream_k_fixup_generalILi112ELi32ELi1EEvPfPK15HIP_vector_typeIfLj2EEiiiiS1_IjLj3EES5_S5_S5_,comdat
.Lfunc_end22:
	.size	_ZL33flash_attn_stream_k_fixup_generalILi112ELi32ELi1EEvPfPK15HIP_vector_typeIfLj2EEiiiiS1_IjLj3EES5_S5_S5_, .Lfunc_end22-_ZL33flash_attn_stream_k_fixup_generalILi112ELi32ELi1EEvPfPK15HIP_vector_typeIfLj2EEiiiiS1_IjLj3EES5_S5_S5_
                                        ; -- End function
	.section	.AMDGPU.csdata,"",@progbits
; Kernel info:
; codeLenInByte = 2860
; NumSgprs: 38
; NumVgprs: 22
; NumAgprs: 0
; TotalNumVgprs: 22
; ScratchSize: 0
; MemoryBound: 0
; FloatMode: 240
; IeeeMode: 1
; LDSByteSize: 0 bytes/workgroup (compile time only)
; SGPRBlocks: 4
; VGPRBlocks: 2
; NumSGPRsForWavesPerEU: 38
; NumVGPRsForWavesPerEU: 22
; AccumOffset: 24
; Occupancy: 8
; WaveLimiterHint : 0
; COMPUTE_PGM_RSRC2:SCRATCH_EN: 0
; COMPUTE_PGM_RSRC2:USER_SGPR: 2
; COMPUTE_PGM_RSRC2:TRAP_HANDLER: 0
; COMPUTE_PGM_RSRC2:TGID_X_EN: 1
; COMPUTE_PGM_RSRC2:TGID_Y_EN: 1
; COMPUTE_PGM_RSRC2:TGID_Z_EN: 1
; COMPUTE_PGM_RSRC2:TIDIG_COMP_CNT: 0
; COMPUTE_PGM_RSRC3_GFX90A:ACCUM_OFFSET: 5
; COMPUTE_PGM_RSRC3_GFX90A:TG_SPLIT: 0
	.section	.text._ZL26flash_attn_combine_resultsILi112EEvPKfPK15HIP_vector_typeIfLj2EEPfi,"axG",@progbits,_ZL26flash_attn_combine_resultsILi112EEvPKfPK15HIP_vector_typeIfLj2EEPfi,comdat
	.globl	_ZL26flash_attn_combine_resultsILi112EEvPKfPK15HIP_vector_typeIfLj2EEPfi ; -- Begin function _ZL26flash_attn_combine_resultsILi112EEvPKfPK15HIP_vector_typeIfLj2EEPfi
	.p2align	8
	.type	_ZL26flash_attn_combine_resultsILi112EEvPKfPK15HIP_vector_typeIfLj2EEPfi,@function
_ZL26flash_attn_combine_resultsILi112EEvPKfPK15HIP_vector_typeIfLj2EEPfi: ; @_ZL26flash_attn_combine_resultsILi112EEvPKfPK15HIP_vector_typeIfLj2EEPfi
; %bb.0:
	s_load_dwordx2 s[6:7], s[0:1], 0x20
	s_load_dword s25, s[0:1], 0x18
	s_load_dwordx4 s[16:19], s[0:1], 0x0
	s_load_dwordx2 s[14:15], s[0:1], 0x10
	s_waitcnt lgkmcnt(0)
	s_mul_i32 s0, s6, s4
	s_add_i32 s0, s0, s2
	s_mul_i32 s24, s0, s7
	s_add_i32 s24, s24, s3
	s_lshl_b32 s12, s25, 1
	s_mul_i32 s0, s24, s25
	v_cmp_gt_i32_e32 vcc, s12, v0
	s_and_saveexec_b64 s[2:3], vcc
	s_cbranch_execz .LBB23_13
; %bb.1:
	v_xad_u32 v1, v0, -1, s12
	s_movk_i32 s4, 0x6f
	s_ashr_i32 s1, s0, 31
	v_cmp_lt_u32_e32 vcc, s4, v1
	s_mov_b64 s[6:7], -1
	v_mov_b32_e32 v2, v0
	s_and_saveexec_b64 s[4:5], vcc
	s_cbranch_execz .LBB23_10
; %bb.2:
	v_lshrrev_b32_e32 v1, 4, v1
	s_mov_b32 s6, 0x24924925
	v_mul_hi_u32 v6, v1, s6
	s_lshl_b64 s[6:7], s[0:1], 3
	v_add_u32_e32 v2, -1, v6
	s_add_u32 s6, s18, s6
	v_add_u32_e32 v1, 0x70, v0
	v_lshrrev_b32_e32 v3, 1, v2
	s_addc_u32 s7, s19, s7
	v_add_u32_e32 v7, 1, v3
	v_cmp_lt_u32_e32 vcc, 13, v2
	v_mov_b32_e32 v4, 0
	v_mov_b64_e32 v[2:3], v[0:1]
	s_and_saveexec_b64 s[8:9], vcc
	s_cbranch_execz .LBB23_6
; %bb.3:
	v_and_b32_e32 v8, -8, v7
	s_mov_b32 s13, 0
	v_lshl_add_u32 v9, v0, 2, 0
	s_mov_b64 s[10:11], 0
	v_mov_b32_e32 v5, 0
	v_mov_b64_e32 v[2:3], v[0:1]
.LBB23_4:                               ; =>This Inner Loop Header: Depth=1
	v_mov_b32_e32 v4, v2
	v_lshl_add_u64 v[24:25], v[4:5], 2, s[6:7]
	v_mov_b32_e32 v4, v3
	v_lshl_add_u64 v[26:27], v[4:5], 2, s[6:7]
	v_add_u32_e32 v4, 0xe0, v2
	v_add_u32_e32 v10, 0xe0, v3
	v_mov_b32_e32 v11, v5
	global_load_dword v1, v[24:25], off
	global_load_dword v28, v[26:27], off
	v_lshl_add_u64 v[24:25], v[4:5], 2, s[6:7]
	v_add_u32_e32 v4, 0x1c0, v2
	v_lshl_add_u64 v[10:11], v[10:11], 2, s[6:7]
	v_lshl_add_u64 v[26:27], v[4:5], 2, s[6:7]
	v_add_u32_e32 v4, 0x2a0, v2
	v_add_u32_e32 v12, 0x1c0, v3
	v_mov_b32_e32 v13, v5
	v_add_u32_e32 v14, 0x2a0, v3
	v_mov_b32_e32 v15, v5
	global_load_dword v29, v[24:25], off
	global_load_dword v30, v[10:11], off
	v_lshl_add_u64 v[10:11], v[4:5], 2, s[6:7]
	v_add_u32_e32 v4, 0x380, v2
	v_lshl_add_u64 v[12:13], v[12:13], 2, s[6:7]
	v_lshl_add_u64 v[14:15], v[14:15], 2, s[6:7]
	global_load_dword v24, v[26:27], off
	global_load_dword v25, v[12:13], off
	;; [unrolled: 1-line block ×4, first 2 shown]
	v_lshl_add_u64 v[10:11], v[4:5], 2, s[6:7]
	v_add_u32_e32 v4, 0x460, v2
	v_add_u32_e32 v16, 0x380, v3
	v_mov_b32_e32 v17, v5
	v_add_u32_e32 v18, 0x460, v3
	v_mov_b32_e32 v19, v5
	v_lshl_add_u64 v[12:13], v[4:5], 2, s[6:7]
	v_add_u32_e32 v4, 0x540, v2
	v_add_u32_e32 v20, 0x540, v3
	v_mov_b32_e32 v21, v5
	v_add_u32_e32 v22, 0x620, v3
	v_mov_b32_e32 v23, v5
	v_lshl_add_u64 v[16:17], v[16:17], 2, s[6:7]
	v_lshl_add_u64 v[18:19], v[18:19], 2, s[6:7]
	global_load_dword v14, v[10:11], off
	global_load_dword v15, v[16:17], off
	v_lshl_add_u64 v[10:11], v[4:5], 2, s[6:7]
	v_add_u32_e32 v4, 0x620, v2
	v_lshl_add_u64 v[20:21], v[20:21], 2, s[6:7]
	v_lshl_add_u64 v[22:23], v[22:23], 2, s[6:7]
	global_load_dword v16, v[12:13], off
	global_load_dword v17, v[18:19], off
	v_lshl_add_u64 v[12:13], v[4:5], 2, s[6:7]
	global_load_dword v18, v[10:11], off
	global_load_dword v19, v[20:21], off
	;; [unrolled: 1-line block ×4, first 2 shown]
	v_add_u32_e32 v8, -8, v8
	s_add_i32 s13, s13, 16
	v_cmp_eq_u32_e32 vcc, 0, v8
	v_add_u32_e32 v10, 0x200, v9
	v_add_u32_e32 v11, 0x600, v9
	;; [unrolled: 1-line block ×8, first 2 shown]
	v_mov_b32_e32 v4, s13
	s_or_b64 s[10:11], vcc, s[10:11]
	v_add_u32_e32 v2, 0x700, v2
	s_waitcnt vmcnt(14)
	ds_write2_b32 v9, v1, v28 offset1:112
	v_add_u32_e32 v9, 0x1c00, v9
	s_waitcnt vmcnt(12)
	ds_write2_b32 v10, v29, v30 offset0:96 offset1:208
	s_waitcnt vmcnt(10)
	ds_write2_b32 v11, v24, v25 offset0:64 offset1:176
	;; [unrolled: 2-line block ×7, first 2 shown]
	s_andn2_b64 exec, exec, s[10:11]
	s_cbranch_execnz .LBB23_4
; %bb.5:
	s_or_b64 exec, exec, s[10:11]
.LBB23_6:
	s_or_b64 exec, exec, s[8:9]
	v_and_b32_e32 v1, 7, v7
	v_cmp_ne_u32_e32 vcc, 0, v1
	s_and_saveexec_b64 s[8:9], vcc
	s_cbranch_execz .LBB23_9
; %bb.7:
	s_movk_i32 s10, 0x1c0
	v_mul_lo_u32 v4, v4, s10
	v_lshlrev_b32_e32 v5, 2, v0
	v_add3_u32 v7, v4, v5, 0
	s_mov_b64 s[10:11], 0
	v_mov_b32_e32 v5, 0
.LBB23_8:                               ; =>This Inner Loop Header: Depth=1
	v_mov_b32_e32 v4, v2
	v_lshl_add_u64 v[8:9], v[4:5], 2, s[6:7]
	v_mov_b32_e32 v4, v3
	v_lshl_add_u64 v[10:11], v[4:5], 2, s[6:7]
	global_load_dword v4, v[8:9], off
	global_load_dword v12, v[10:11], off
	v_add_u32_e32 v1, -1, v1
	v_cmp_eq_u32_e32 vcc, 0, v1
	v_add_u32_e32 v2, 0xe0, v2
	v_add_u32_e32 v3, 0xe0, v3
	s_or_b64 s[10:11], vcc, s[10:11]
	s_waitcnt vmcnt(0)
	ds_write2_b32 v7, v4, v12 offset1:112
	v_add_u32_e32 v7, 0x380, v7
	s_andn2_b64 exec, exec, s[10:11]
	s_cbranch_execnz .LBB23_8
.LBB23_9:
	s_or_b64 exec, exec, s[8:9]
	v_add_u32_e32 v1, 1, v6
	v_and_b32_e32 v4, 0x7fffffe, v1
	s_movk_i32 s6, 0x70
	v_mad_u64_u32 v[2:3], s[6:7], v4, s6, v[0:1]
	v_cmp_ne_u32_e32 vcc, v1, v4
	s_orn2_b64 s[6:7], vcc, exec
.LBB23_10:
	s_or_b64 exec, exec, s[4:5]
	s_and_b64 exec, exec, s[6:7]
	s_cbranch_execz .LBB23_13
; %bb.11:
	s_lshl_b64 s[4:5], s[0:1], 3
	s_add_u32 s4, s18, s4
	v_mov_b32_e32 v3, 0
	s_addc_u32 s5, s19, s5
	v_lshl_add_u64 v[4:5], v[2:3], 2, s[4:5]
	v_lshl_add_u32 v1, v2, 2, 0
	s_mov_b64 s[4:5], 0
	s_mov_b64 s[6:7], 0x1c0
.LBB23_12:                              ; =>This Inner Loop Header: Depth=1
	global_load_dword v3, v[4:5], off
	v_add_u32_e32 v2, 0x70, v2
	v_cmp_le_i32_e32 vcc, s12, v2
	v_lshl_add_u64 v[4:5], v[4:5], 0, s[6:7]
	s_or_b64 s[4:5], vcc, s[4:5]
	s_waitcnt vmcnt(0)
	ds_write_b32 v1, v3
	v_add_u32_e32 v1, 0x1c0, v1
	s_andn2_b64 exec, exec, s[4:5]
	s_cbranch_execnz .LBB23_12
.LBB23_13:
	s_or_b64 exec, exec, s[2:3]
	v_mov_b32_e32 v1, 0
	s_waitcnt lgkmcnt(0)
	s_barrier
	ds_read_b32 v1, v1
	s_cmp_lt_i32 s25, 2
	s_cbranch_scc1 .LBB23_21
; %bb.14:
	s_add_i32 s1, s25, -1
	s_add_i32 s2, s25, -2
	s_cmp_lt_u32 s2, 7
	s_cbranch_scc1 .LBB23_18
; %bb.15:
	s_mov_b32 s4, 0
	s_add_i32 s2, 0, 8
	s_and_b32 s3, s1, -8
.LBB23_16:                              ; =>This Inner Loop Header: Depth=1
	v_mov_b32_e32 v8, s2
	ds_read2_b32 v[2:3], v8 offset1:2
	ds_read2_b32 v[4:5], v8 offset0:4 offset1:6
	ds_read2_b32 v[6:7], v8 offset0:8 offset1:10
	;; [unrolled: 1-line block ×3, first 2 shown]
	s_mov_b32 s5, s4
	s_waitcnt lgkmcnt(3)
	v_max3_f32 v1, v1, v2, v3
	s_waitcnt lgkmcnt(2)
	v_max3_f32 v1, v1, v4, v5
	s_add_i32 s2, s2, 64
	s_add_i32 s4, s4, 8
	s_waitcnt lgkmcnt(1)
	v_max3_f32 v1, v1, v6, v7
	s_cmp_eq_u32 s3, s4
	s_waitcnt lgkmcnt(0)
	v_max3_f32 v1, v1, v8, v9
	s_cbranch_scc0 .LBB23_16
; %bb.17:
	s_add_i32 s2, s5, 9
	s_and_b32 s1, s1, 7
	s_cmp_eq_u32 s1, 0
	s_cbranch_scc0 .LBB23_19
	s_branch .LBB23_21
.LBB23_18:
	s_mov_b32 s2, 1
	s_and_b32 s1, s1, 7
	s_cmp_eq_u32 s1, 0
	s_cbranch_scc1 .LBB23_21
.LBB23_19:
	s_lshl_b32 s2, s2, 3
	s_add_i32 s2, s2, 0
.LBB23_20:                              ; =>This Inner Loop Header: Depth=1
	v_mov_b32_e32 v2, s2
	ds_read_b32 v2, v2
	s_waitcnt lgkmcnt(1)
	v_max_f32_e32 v1, v1, v1
	s_add_i32 s2, s2, 8
	s_add_i32 s1, s1, -1
	s_cmp_lg_u32 s1, 0
	s_waitcnt lgkmcnt(0)
	v_max_f32_e32 v2, v2, v2
	v_max_f32_e32 v1, v1, v2
	s_cbranch_scc1 .LBB23_20
.LBB23_21:
	s_cmp_lt_i32 s25, 1
	s_cbranch_scc1 .LBB23_26
; %bb.22:
	s_mul_i32 s18, s0, 0x70
	s_ashr_i32 s19, s18, 31
	s_cmp_lt_u32 s25, 8
	v_mov_b32_e32 v8, 0
	s_cbranch_scc1 .LBB23_27
; %bb.23:
	s_lshl_b64 s[0:1], s[18:19], 2
	s_add_u32 s20, s16, s0
	s_addc_u32 s21, s17, s1
	v_lshlrev_b32_e32 v2, 2, v0
	v_mov_b32_e32 v3, 0
	v_lshl_add_u64 v[4:5], s[20:21], 0, v[2:3]
	s_mov_b64 s[0:1], 0x1c0
	s_and_b32 s26, s25, 0x7ffffff8
	v_lshl_add_u64 v[4:5], v[4:5], 0, s[0:1]
	v_add_u32_e32 v6, 0x1c0, v0
	s_mov_b32 s27, 0
	s_mov_b32 s28, 0x3fb8aa3b
	s_mov_b32 s29, 0xc2ce8ed0
	s_mov_b32 s30, 0x42b17218
	v_mov_b32_e32 v10, 0x7f800000
	s_mov_b64 s[22:23], 0xe00
	s_mov_b32 s31, 0
	v_mov_b32_e32 v9, 0
	v_mov_b32_e32 v8, 0
.LBB23_24:                              ; =>This Inner Loop Header: Depth=1
	v_add_u32_e32 v2, 0xfffffe40, v6
	v_mov_b32_e32 v11, s27
	v_mov_b32_e32 v7, v3
	v_lshl_add_u64 v[28:29], v[2:3], 2, s[20:21]
	global_load_dword v34, v[4:5], off
	global_load_dword v35, v[4:5], off offset:448
	ds_read2_b64 v[12:15], v11 offset1:1
	ds_read2_b64 v[16:19], v11 offset0:2 offset1:3
	v_lshl_add_u64 v[30:31], v[6:7], 2, s[20:21]
	ds_read2_b64 v[20:23], v11 offset0:4 offset1:5
	ds_read2_b64 v[24:27], v11 offset0:6 offset1:7
	global_load_dword v7, v[28:29], off
	v_add_u32_e32 v2, 0xffffff90, v6
	v_lshl_add_u64 v[32:33], v[2:3], 2, s[20:21]
	v_add_u32_e32 v2, 0x70, v6
	v_lshl_add_u64 v[28:29], v[2:3], 2, s[20:21]
	v_add_u32_e32 v2, 0xe0, v6
	global_load_dword v11, v[32:33], off
	global_load_dword v36, v[30:31], off
	v_lshl_add_u64 v[30:31], v[2:3], 2, s[20:21]
	v_add_u32_e32 v2, 0x150, v6
	global_load_dword v32, v[28:29], off
	v_lshl_add_u64 v[28:29], v[2:3], 2, s[20:21]
	global_load_dword v2, v[30:31], off
	s_waitcnt lgkmcnt(3)
	v_sub_f32_e32 v12, v12, v1
	global_load_dword v28, v[28:29], off
	v_sub_f32_e32 v14, v14, v1
	v_mul_f32_e32 v29, 0x3fb8aa3b, v12
	v_mul_f32_e32 v30, 0x3fb8aa3b, v14
	s_waitcnt lgkmcnt(2)
	v_sub_f32_e32 v16, v16, v1
	v_sub_f32_e32 v18, v18, v1
	s_waitcnt lgkmcnt(1)
	v_sub_f32_e32 v20, v20, v1
	v_sub_f32_e32 v22, v22, v1
	v_fma_f32 v41, v12, s28, -v29
	v_rndne_f32_e32 v42, v29
	v_fma_f32 v43, v14, s28, -v30
	v_rndne_f32_e32 v44, v30
	v_mul_f32_e32 v31, 0x3fb8aa3b, v16
	v_mul_f32_e32 v33, 0x3fb8aa3b, v18
	;; [unrolled: 1-line block ×4, first 2 shown]
	v_fmac_f32_e32 v41, 0x32a5705f, v12
	v_sub_f32_e32 v29, v29, v42
	v_fmac_f32_e32 v43, 0x32a5705f, v14
	v_sub_f32_e32 v30, v30, v44
	s_waitcnt lgkmcnt(0)
	v_sub_f32_e32 v24, v24, v1
	v_sub_f32_e32 v26, v26, v1
	v_fma_f32 v45, v16, s28, -v31
	v_rndne_f32_e32 v46, v31
	v_fma_f32 v47, v18, s28, -v33
	v_rndne_f32_e32 v48, v33
	;; [unrolled: 2-line block ×3, first 2 shown]
	v_add_f32_e32 v29, v29, v41
	v_fma_f32 v41, v22, s28, -v38
	v_add_f32_e32 v30, v30, v43
	v_rndne_f32_e32 v43, v38
	v_mul_f32_e32 v39, 0x3fb8aa3b, v24
	v_mul_f32_e32 v40, 0x3fb8aa3b, v26
	v_fmac_f32_e32 v45, 0x32a5705f, v16
	v_sub_f32_e32 v31, v31, v46
	v_fmac_f32_e32 v47, 0x32a5705f, v18
	v_sub_f32_e32 v33, v33, v48
	;; [unrolled: 2-line block ×4, first 2 shown]
	v_add_f32_e32 v31, v31, v45
	v_fma_f32 v45, v24, s28, -v39
	v_add_f32_e32 v33, v33, v47
	v_rndne_f32_e32 v47, v39
	v_add_f32_e32 v37, v37, v49
	v_fma_f32 v49, v26, s28, -v40
	v_add_f32_e32 v38, v38, v41
	v_rndne_f32_e32 v41, v40
	v_cvt_i32_f32_e32 v42, v42
	v_fmac_f32_e32 v45, 0x32a5705f, v24
	v_sub_f32_e32 v39, v39, v47
	v_fmac_f32_e32 v49, 0x32a5705f, v26
	v_sub_f32_e32 v40, v40, v41
	v_exp_f32_e32 v29, v29
	v_cvt_i32_f32_e32 v44, v44
	v_add_f32_e32 v39, v39, v45
	v_add_f32_e32 v40, v40, v49
	v_exp_f32_e32 v30, v30
	v_cvt_i32_f32_e32 v46, v46
	v_cvt_i32_f32_e32 v48, v48
	v_cvt_i32_f32_e32 v50, v50
	v_cvt_i32_f32_e32 v43, v43
	v_cvt_i32_f32_e32 v47, v47
	v_cvt_i32_f32_e32 v41, v41
	v_exp_f32_e32 v31, v31
	v_exp_f32_e32 v33, v33
	;; [unrolled: 1-line block ×6, first 2 shown]
	v_ldexp_f32 v29, v29, v42
	v_cmp_ngt_f32_e64 s[12:13], s29, v12
	v_ldexp_f32 v30, v30, v44
	v_cmp_ngt_f32_e32 vcc, s29, v14
	v_cndmask_b32_e64 v29, 0, v29, s[12:13]
	v_cmp_nlt_f32_e64 s[12:13], s30, v12
	v_ldexp_f32 v31, v31, v46
	v_cmp_ngt_f32_e64 s[0:1], s29, v16
	v_ldexp_f32 v33, v33, v48
	v_cmp_ngt_f32_e64 s[2:3], s29, v18
	;; [unrolled: 2-line block ×6, first 2 shown]
	v_cndmask_b32_e32 v30, 0, v30, vcc
	v_cmp_nlt_f32_e32 vcc, s30, v14
	v_cndmask_b32_e64 v12, v10, v29, s[12:13]
	v_cndmask_b32_e64 v14, 0, v31, s[0:1]
	v_cmp_nlt_f32_e64 s[0:1], s30, v16
	v_cndmask_b32_e64 v16, 0, v33, s[2:3]
	v_cmp_nlt_f32_e64 s[2:3], s30, v18
	;; [unrolled: 2-line block ×6, first 2 shown]
	v_cndmask_b32_e32 v26, v10, v30, vcc
	v_fmac_f32_e32 v9, v12, v13
	s_waitcnt vmcnt(5)
	v_fmac_f32_e32 v8, v7, v12
	v_cndmask_b32_e64 v14, v10, v14, s[0:1]
	v_fmac_f32_e32 v9, v26, v15
	v_fmac_f32_e32 v8, v34, v26
	v_cndmask_b32_e64 v16, v10, v16, s[2:3]
	v_fmac_f32_e32 v9, v14, v17
	;; [unrolled: 3-line block ×3, first 2 shown]
	s_waitcnt vmcnt(4)
	v_fmac_f32_e32 v8, v11, v16
	v_cndmask_b32_e64 v20, v10, v20, s[6:7]
	v_fmac_f32_e32 v9, v18, v21
	s_waitcnt vmcnt(3)
	v_fmac_f32_e32 v8, v36, v18
	v_cndmask_b32_e64 v22, v10, v22, s[8:9]
	v_fmac_f32_e32 v9, v20, v23
	s_waitcnt vmcnt(2)
	v_fmac_f32_e32 v8, v32, v20
	s_add_i32 s31, s31, 8
	s_add_i32 s27, s27, 64
	v_cndmask_b32_e64 v24, v10, v24, s[10:11]
	v_fmac_f32_e32 v9, v22, v25
	s_waitcnt vmcnt(1)
	v_fmac_f32_e32 v8, v2, v22
	v_lshl_add_u64 v[4:5], v[4:5], 0, s[22:23]
	s_cmp_eq_u32 s26, s31
	v_add_u32_e32 v6, 0x380, v6
	v_fmac_f32_e32 v9, v24, v27
	s_waitcnt vmcnt(0)
	v_fmac_f32_e32 v8, v28, v24
	s_cbranch_scc0 .LBB23_24
; %bb.25:
	s_and_b32 s2, s25, 7
	s_cmp_eq_u32 s2, 0
	s_cbranch_scc0 .LBB23_28
	s_branch .LBB23_30
.LBB23_26:
	s_waitcnt lgkmcnt(0)
	v_mov_b32_e32 v1, 0x7fc00000
	s_branch .LBB23_31
.LBB23_27:
	s_mov_b32 s26, 0
	v_mov_b32_e32 v9, 0
	s_and_b32 s2, s25, 7
	s_cmp_eq_u32 s2, 0
	s_cbranch_scc1 .LBB23_30
.LBB23_28:
	s_lshl_b64 s[0:1], s[18:19], 2
	s_mul_i32 s3, s26, 0x70
	s_add_u32 s0, s16, s0
	v_add_u32_e32 v2, s3, v0
	v_mov_b32_e32 v3, 0
	s_addc_u32 s1, s17, s1
	v_lshl_add_u64 v[2:3], v[2:3], 2, s[0:1]
	s_lshl_b32 s0, s26, 3
	s_add_i32 s3, s0, 0
	s_mov_b32 s4, 0x3fb8aa3b
	s_mov_b32 s5, 0xc2ce8ed0
	s_mov_b32 s6, 0x42b17218
	v_mov_b32_e32 v4, 0x7f800000
	s_mov_b64 s[0:1], 0x1c0
.LBB23_29:                              ; =>This Inner Loop Header: Depth=1
	global_load_dword v5, v[2:3], off
	v_mov_b32_e32 v6, s3
	ds_read_b64 v[6:7], v6
	s_add_i32 s3, s3, 8
	s_add_i32 s2, s2, -1
	v_lshl_add_u64 v[2:3], v[2:3], 0, s[0:1]
	s_cmp_lg_u32 s2, 0
	s_waitcnt lgkmcnt(0)
	v_sub_f32_e32 v6, v6, v1
	v_mul_f32_e32 v10, 0x3fb8aa3b, v6
	v_fma_f32 v11, v6, s4, -v10
	v_rndne_f32_e32 v12, v10
	v_fmac_f32_e32 v11, 0x32a5705f, v6
	v_sub_f32_e32 v10, v10, v12
	v_add_f32_e32 v10, v10, v11
	v_cvt_i32_f32_e32 v12, v12
	v_exp_f32_e32 v10, v10
	v_cmp_ngt_f32_e32 vcc, s5, v6
	v_ldexp_f32 v10, v10, v12
	s_nop 0
	v_cndmask_b32_e32 v10, 0, v10, vcc
	v_cmp_nlt_f32_e32 vcc, s6, v6
	s_nop 1
	v_cndmask_b32_e32 v6, v4, v10, vcc
	v_fmac_f32_e32 v9, v6, v7
	s_waitcnt vmcnt(0)
	v_fmac_f32_e32 v8, v5, v6
	s_cbranch_scc1 .LBB23_29
.LBB23_30:
	s_waitcnt lgkmcnt(0)
	v_div_scale_f32 v1, s[0:1], v9, v9, v8
	v_rcp_f32_e32 v2, v1
	v_div_scale_f32 v3, vcc, v8, v9, v8
	v_fma_f32 v4, -v1, v2, 1.0
	v_fmac_f32_e32 v2, v4, v2
	v_mul_f32_e32 v4, v3, v2
	v_fma_f32 v5, -v1, v4, v3
	v_fmac_f32_e32 v4, v5, v2
	v_fma_f32 v1, -v1, v4, v3
	v_div_fmas_f32 v1, v1, v2, v4
	v_div_fixup_f32 v1, v1, v9, v8
.LBB23_31:
	s_mul_i32 s0, s24, 0x70
	s_ashr_i32 s1, s0, 31
	s_lshl_b64 s[0:1], s[0:1], 2
	s_add_u32 s0, s14, s0
	s_addc_u32 s1, s15, s1
	v_lshlrev_b32_e32 v0, 2, v0
	global_store_dword v0, v1, s[0:1]
	s_endpgm
	.section	.rodata,"a",@progbits
	.p2align	6, 0x0
	.amdhsa_kernel _ZL26flash_attn_combine_resultsILi112EEvPKfPK15HIP_vector_typeIfLj2EEPfi
		.amdhsa_group_segment_fixed_size 0
		.amdhsa_private_segment_fixed_size 0
		.amdhsa_kernarg_size 288
		.amdhsa_user_sgpr_count 2
		.amdhsa_user_sgpr_dispatch_ptr 0
		.amdhsa_user_sgpr_queue_ptr 0
		.amdhsa_user_sgpr_kernarg_segment_ptr 1
		.amdhsa_user_sgpr_dispatch_id 0
		.amdhsa_user_sgpr_kernarg_preload_length 0
		.amdhsa_user_sgpr_kernarg_preload_offset 0
		.amdhsa_user_sgpr_private_segment_size 0
		.amdhsa_uses_dynamic_stack 0
		.amdhsa_enable_private_segment 0
		.amdhsa_system_sgpr_workgroup_id_x 1
		.amdhsa_system_sgpr_workgroup_id_y 1
		.amdhsa_system_sgpr_workgroup_id_z 1
		.amdhsa_system_sgpr_workgroup_info 0
		.amdhsa_system_vgpr_workitem_id 0
		.amdhsa_next_free_vgpr 51
		.amdhsa_next_free_sgpr 32
		.amdhsa_accum_offset 52
		.amdhsa_reserve_vcc 1
		.amdhsa_float_round_mode_32 0
		.amdhsa_float_round_mode_16_64 0
		.amdhsa_float_denorm_mode_32 3
		.amdhsa_float_denorm_mode_16_64 3
		.amdhsa_dx10_clamp 1
		.amdhsa_ieee_mode 1
		.amdhsa_fp16_overflow 0
		.amdhsa_tg_split 0
		.amdhsa_exception_fp_ieee_invalid_op 0
		.amdhsa_exception_fp_denorm_src 0
		.amdhsa_exception_fp_ieee_div_zero 0
		.amdhsa_exception_fp_ieee_overflow 0
		.amdhsa_exception_fp_ieee_underflow 0
		.amdhsa_exception_fp_ieee_inexact 0
		.amdhsa_exception_int_div_zero 0
	.end_amdhsa_kernel
	.section	.text._ZL26flash_attn_combine_resultsILi112EEvPKfPK15HIP_vector_typeIfLj2EEPfi,"axG",@progbits,_ZL26flash_attn_combine_resultsILi112EEvPKfPK15HIP_vector_typeIfLj2EEPfi,comdat
.Lfunc_end23:
	.size	_ZL26flash_attn_combine_resultsILi112EEvPKfPK15HIP_vector_typeIfLj2EEPfi, .Lfunc_end23-_ZL26flash_attn_combine_resultsILi112EEvPKfPK15HIP_vector_typeIfLj2EEPfi
                                        ; -- End function
	.section	.AMDGPU.csdata,"",@progbits
; Kernel info:
; codeLenInByte = 2932
; NumSgprs: 38
; NumVgprs: 51
; NumAgprs: 0
; TotalNumVgprs: 51
; ScratchSize: 0
; MemoryBound: 0
; FloatMode: 240
; IeeeMode: 1
; LDSByteSize: 0 bytes/workgroup (compile time only)
; SGPRBlocks: 4
; VGPRBlocks: 6
; NumSGPRsForWavesPerEU: 38
; NumVGPRsForWavesPerEU: 51
; AccumOffset: 52
; Occupancy: 8
; WaveLimiterHint : 1
; COMPUTE_PGM_RSRC2:SCRATCH_EN: 0
; COMPUTE_PGM_RSRC2:USER_SGPR: 2
; COMPUTE_PGM_RSRC2:TRAP_HANDLER: 0
; COMPUTE_PGM_RSRC2:TGID_X_EN: 1
; COMPUTE_PGM_RSRC2:TGID_Y_EN: 1
; COMPUTE_PGM_RSRC2:TGID_Z_EN: 1
; COMPUTE_PGM_RSRC2:TIDIG_COMP_CNT: 0
; COMPUTE_PGM_RSRC3_GFX90A:ACCUM_OFFSET: 12
; COMPUTE_PGM_RSRC3_GFX90A:TG_SPLIT: 0
	.section	.text._ZL18flash_attn_ext_f16ILi128ELi128ELi32ELi1ELb0ELb0EEvPKcS1_S1_S1_S1_PKiPfP15HIP_vector_typeIfLj2EEffffjfiS5_IjLj3EEiiiiiiiiiiiliiliiiiil,"axG",@progbits,_ZL18flash_attn_ext_f16ILi128ELi128ELi32ELi1ELb0ELb0EEvPKcS1_S1_S1_S1_PKiPfP15HIP_vector_typeIfLj2EEffffjfiS5_IjLj3EEiiiiiiiiiiiliiliiiiil,comdat
	.globl	_ZL18flash_attn_ext_f16ILi128ELi128ELi32ELi1ELb0ELb0EEvPKcS1_S1_S1_S1_PKiPfP15HIP_vector_typeIfLj2EEffffjfiS5_IjLj3EEiiiiiiiiiiiliiliiiiil ; -- Begin function _ZL18flash_attn_ext_f16ILi128ELi128ELi32ELi1ELb0ELb0EEvPKcS1_S1_S1_S1_PKiPfP15HIP_vector_typeIfLj2EEffffjfiS5_IjLj3EEiiiiiiiiiiiliiliiiiil
	.p2align	8
	.type	_ZL18flash_attn_ext_f16ILi128ELi128ELi32ELi1ELb0ELb0EEvPKcS1_S1_S1_S1_PKiPfP15HIP_vector_typeIfLj2EEffffjfiS5_IjLj3EEiiiiiiiiiiiliiliiiiil,@function
_ZL18flash_attn_ext_f16ILi128ELi128ELi32ELi1ELb0ELb0EEvPKcS1_S1_S1_S1_PKiPfP15HIP_vector_typeIfLj2EEffffjfiS5_IjLj3EEiiiiiiiiiiiliiliiiiil: ; @_ZL18flash_attn_ext_f16ILi128ELi128ELi32ELi1ELb0ELb0EEvPKcS1_S1_S1_S1_PKiPfP15HIP_vector_typeIfLj2EEffffjfiS5_IjLj3EEiiiiiiiiiiiliiliiiiil
; %bb.0:
	s_load_dwordx2 s[10:11], s[0:1], 0x80
	s_load_dwordx4 s[80:83], s[0:1], 0x64
	s_mov_b32 s56, s2
                                        ; implicit-def: $vgpr254 : SGPR spill to VGPR lane
	s_load_dword s51, s[0:1], 0xd0
	s_mov_b32 s4, 0
	s_waitcnt lgkmcnt(0)
	s_abs_i32 s2, s11
	v_cvt_f32_u32_e32 v1, s2
	s_sub_i32 s6, 0, s2
	s_abs_i32 s5, s81
	s_xor_b32 s3, s81, s11
	v_rcp_iflag_f32_e32 v1, v1
	s_ashr_i32 s3, s3, 31
	v_cvt_f32_u32_e32 v2, s51
	v_cvt_f32_ubyte0_e32 v3, 0
	v_mul_f32_e32 v1, 0x4f7ffffe, v1
	v_cvt_u32_f32_e32 v1, v1
	s_nop 0
	v_readfirstlane_b32 s7, v1
	s_mul_i32 s6, s6, s7
	s_mul_hi_u32 s6, s7, s6
	s_add_i32 s7, s7, s6
	s_mul_hi_u32 s6, s5, s7
	s_mul_i32 s7, s6, s2
	s_sub_i32 s5, s5, s7
	s_add_i32 s8, s6, 1
	s_sub_i32 s7, s5, s2
	s_cmp_ge_u32 s5, s2
	s_cselect_b32 s6, s8, s6
	s_cselect_b32 s5, s7, s5
	s_add_i32 s7, s6, 1
	s_cmp_ge_u32 s5, s2
	s_cselect_b32 s2, s7, s6
	s_add_i32 s5, s10, 63
	s_xor_b32 s2, s2, s3
	s_ashr_i32 s6, s5, 31
	s_sub_i32 s3, s2, s3
	s_lshr_b32 s2, s6, 26
	s_add_i32 s5, s5, s2
	s_add_i32 s2, s80, 31
	s_lshr_b32 s2, s2, 5
	s_ashr_i32 s5, s5, 6
	v_writelane_b32 v254, s2, 0
	v_writelane_b32 v254, s5, 1
	s_mul_i32 s2, s2, s5
	v_writelane_b32 v254, s3, 2
	v_writelane_b32 v254, s2, 3
	s_mul_i32 s3, s2, s3
	s_mov_b32 s2, s10
	v_writelane_b32 v254, s2, 4
	s_nop 1
	v_writelane_b32 v254, s3, 5
	s_mul_i32 s2, s3, s11
	s_mul_i32 s6, s2, s82
	v_writelane_b32 v254, s3, 6
	s_ashr_i32 s7, s6, 31
	v_writelane_b32 v254, s2, 7
	s_mul_i32 s2, s7, s56
	s_mul_hi_u32 s3, s6, s56
	s_add_i32 s5, s3, s2
	s_mul_i32 s8, s6, s56
	s_cmp_lg_u64 s[4:5], 0
	s_cbranch_scc0 .LBB24_2
; %bb.1:
	v_fmamk_f32 v1, v3, 0x4f800000, v2
	v_rcp_f32_e32 v1, v1
	s_sub_u32 s4, 0, s51
	s_subb_u32 s9, 0, 0
	s_mov_b64 s[2:3], 0
	v_mul_f32_e32 v1, 0x5f7ffffc, v1
	v_mul_f32_e32 v4, 0x2f800000, v1
	v_trunc_f32_e32 v4, v4
	v_fmamk_f32 v1, v4, 0xcf800000, v1
	v_cvt_u32_f32_e32 v4, v4
	v_cvt_u32_f32_e32 v1, v1
	v_readfirstlane_b32 s10, v4
	v_readfirstlane_b32 s11, v1
	s_mul_hi_u32 s13, s4, s11
	s_mul_i32 s14, s4, s10
	s_mul_i32 s12, s9, s11
	s_add_i32 s13, s13, s14
	s_add_i32 s13, s13, s12
	s_mul_i32 s15, s4, s11
	s_mul_hi_u32 s12, s11, s13
	s_mul_i32 s14, s11, s13
	s_mul_hi_u32 s11, s11, s15
	s_add_u32 s11, s11, s14
	s_addc_u32 s12, 0, s12
	s_mul_hi_u32 s16, s10, s15
	s_mul_i32 s15, s10, s15
	s_add_u32 s11, s11, s15
	s_mul_hi_u32 s14, s10, s13
	s_addc_u32 s11, s12, s16
	s_addc_u32 s12, s14, 0
	s_mul_i32 s13, s10, s13
	s_add_u32 s11, s11, s13
	s_addc_u32 s12, 0, s12
	v_add_co_u32_e32 v1, vcc, s11, v1
	s_cmp_lg_u64 vcc, 0
	s_addc_u32 s10, s10, s12
	v_readfirstlane_b32 s12, v1
	s_mul_i32 s11, s4, s10
	s_mul_hi_u32 s13, s4, s12
	s_add_i32 s11, s13, s11
	s_mul_i32 s9, s9, s12
	s_add_i32 s11, s11, s9
	s_mul_i32 s4, s4, s12
	s_mul_hi_u32 s13, s10, s4
	s_mul_i32 s14, s10, s4
	s_mul_i32 s16, s12, s11
	s_mul_hi_u32 s4, s12, s4
	s_mul_hi_u32 s15, s12, s11
	s_add_u32 s4, s4, s16
	s_addc_u32 s12, 0, s15
	s_add_u32 s4, s4, s14
	s_mul_hi_u32 s9, s10, s11
	s_addc_u32 s4, s12, s13
	s_addc_u32 s9, s9, 0
	s_mul_i32 s11, s10, s11
	s_add_u32 s4, s4, s11
	s_addc_u32 s9, 0, s9
	v_add_co_u32_e32 v1, vcc, s4, v1
	s_cmp_lg_u64 vcc, 0
	s_addc_u32 s9, s10, s9
	s_ashr_i32 s10, s5, 31
	s_add_u32 s4, s8, s10
	s_mov_b32 s11, s10
	s_addc_u32 s5, s5, s10
	s_xor_b64 s[4:5], s[4:5], s[10:11]
	v_readfirstlane_b32 s14, v1
	s_mul_i32 s13, s4, s9
	s_mul_hi_u32 s15, s4, s14
	s_mul_hi_u32 s12, s4, s9
	s_add_u32 s13, s15, s13
	s_addc_u32 s12, 0, s12
	s_mul_hi_u32 s16, s5, s14
	s_mul_i32 s14, s5, s14
	s_add_u32 s13, s13, s14
	s_mul_hi_u32 s15, s5, s9
	s_addc_u32 s12, s12, s16
	s_addc_u32 s13, s15, 0
	s_mul_i32 s9, s5, s9
	s_add_u32 s9, s12, s9
	s_addc_u32 s12, 0, s13
	s_add_u32 s13, s9, 1
	s_addc_u32 s14, s12, 0
	s_add_u32 s15, s9, 2
	s_mul_i32 s17, s51, s12
	s_mul_hi_u32 s18, s51, s9
	s_addc_u32 s16, s12, 0
	s_add_i32 s18, s18, s17
	s_mul_i32 s17, s51, s9
	v_mov_b32_e32 v1, s17
	v_sub_co_u32_e32 v1, vcc, s4, v1
	s_cmp_lg_u64 vcc, 0
	s_subb_u32 s4, s5, s18
	v_subrev_co_u32_e32 v4, vcc, s51, v1
	s_cmp_lg_u64 vcc, 0
	s_subb_u32 s5, s4, 0
	v_readfirstlane_b32 s17, v4
	s_cmp_ge_u32 s17, s51
	s_cselect_b32 s17, -1, 0
	s_cmp_eq_u32 s5, 0
	s_cselect_b32 s5, s17, -1
	s_cmp_lg_u32 s5, 0
	s_cselect_b32 s5, s16, s14
	v_readfirstlane_b32 s14, v1
	s_cselect_b32 s13, s15, s13
	s_cmp_ge_u32 s14, s51
	s_cselect_b32 s14, -1, 0
	s_cmp_eq_u32 s4, 0
	s_cselect_b32 s4, s14, -1
	s_cmp_lg_u32 s4, 0
	s_cselect_b32 s5, s5, s12
	s_cselect_b32 s4, s13, s9
	s_xor_b64 s[4:5], s[4:5], s[10:11]
	s_sub_u32 s46, s4, s10
	s_branch .LBB24_3
.LBB24_2:
	s_mov_b64 s[2:3], -1
                                        ; implicit-def: $sgpr46_sgpr47
.LBB24_3:
	s_load_dwordx2 s[4:5], s[0:1], 0x74
	v_cvt_f32_u32_e32 v1, s51
	s_andn2_b64 vcc, exec, s[2:3]
	s_waitcnt lgkmcnt(0)
	v_writelane_b32 v254, s4, 8
	s_nop 1
	v_writelane_b32 v254, s5, 9
	s_cbranch_vccnz .LBB24_5
; %bb.4:
	v_rcp_iflag_f32_e32 v4, v1
	s_sub_i32 s2, 0, s51
	v_mul_f32_e32 v4, 0x4f7ffffe, v4
	v_cvt_u32_f32_e32 v4, v4
	s_nop 0
	v_readfirstlane_b32 s3, v4
	s_mul_i32 s2, s2, s3
	s_mul_hi_u32 s2, s3, s2
	s_add_i32 s3, s3, s2
	s_mul_hi_u32 s2, s8, s3
	s_mul_i32 s4, s2, s51
	s_sub_i32 s4, s8, s4
	s_add_i32 s3, s2, 1
	s_sub_i32 s5, s4, s51
	s_cmp_ge_u32 s4, s51
	s_cselect_b32 s2, s3, s2
	s_cselect_b32 s4, s5, s4
	s_add_i32 s3, s2, 1
	s_cmp_ge_u32 s4, s51
	s_cselect_b32 s46, s3, s2
.LBB24_5:
	s_add_i32 s2, s56, 1
	s_mul_i32 s3, s7, s2
	s_mul_hi_u32 s4, s6, s2
	s_add_i32 s5, s4, s3
	s_mov_b32 s4, 0
	s_cmp_lg_u64 s[4:5], 0
	s_mul_i32 s4, s6, s2
	s_cbranch_scc0 .LBB24_366
; %bb.6:
	v_fmamk_f32 v2, v3, 0x4f800000, v2
	v_rcp_f32_e32 v2, v2
	s_sub_u32 s6, 0, s51
	s_subb_u32 s7, 0, 0
	v_mov_b32_e32 v5, 0
	v_mul_f32_e32 v2, 0x5f7ffffc, v2
	v_mul_f32_e32 v3, 0x2f800000, v2
	v_trunc_f32_e32 v3, v3
	v_fmamk_f32 v2, v3, 0xcf800000, v2
	v_cvt_u32_f32_e32 v6, v3
	v_cvt_u32_f32_e32 v7, v2
	v_mul_lo_u32 v2, s6, v6
	v_mul_hi_u32 v4, s6, v7
	v_mul_lo_u32 v3, s7, v7
	v_add_u32_e32 v2, v4, v2
	v_add_u32_e32 v8, v2, v3
	v_mul_lo_u32 v9, s6, v7
	v_mul_hi_u32 v3, v7, v8
	v_mul_lo_u32 v2, v7, v8
	v_mul_hi_u32 v4, v7, v9
	v_lshl_add_u64 v[2:3], v[4:5], 0, v[2:3]
	v_mul_hi_u32 v4, v6, v9
	v_mul_lo_u32 v9, v6, v9
	v_add_co_u32_e32 v2, vcc, v2, v9
	v_mul_hi_u32 v10, v6, v8
	s_nop 0
	v_addc_co_u32_e32 v4, vcc, v3, v4, vcc
	v_mul_lo_u32 v2, v6, v8
	s_nop 0
	v_addc_co_u32_e32 v3, vcc, 0, v10, vcc
	v_lshl_add_u64 v[2:3], v[4:5], 0, v[2:3]
	v_add_co_u32_e32 v7, vcc, v7, v2
	v_mul_lo_u32 v4, s6, v7
	s_nop 0
	v_addc_co_u32_e32 v6, vcc, v6, v3, vcc
	v_mul_lo_u32 v2, s6, v6
	v_mul_hi_u32 v3, s6, v7
	v_add_u32_e32 v2, v3, v2
	v_mul_lo_u32 v3, s7, v7
	v_add_u32_e32 v8, v2, v3
	v_mul_hi_u32 v10, v6, v4
	v_mul_lo_u32 v11, v6, v4
	v_mul_hi_u32 v3, v7, v8
	v_mul_lo_u32 v2, v7, v8
	v_mul_hi_u32 v4, v7, v4
	v_lshl_add_u64 v[2:3], v[4:5], 0, v[2:3]
	v_add_co_u32_e32 v2, vcc, v2, v11
	v_mul_hi_u32 v9, v6, v8
	s_nop 0
	v_addc_co_u32_e32 v4, vcc, v3, v10, vcc
	v_mul_lo_u32 v2, v6, v8
	s_nop 0
	v_addc_co_u32_e32 v3, vcc, 0, v9, vcc
	s_ashr_i32 s6, s5, 31
	v_lshl_add_u64 v[2:3], v[4:5], 0, v[2:3]
	s_add_u32 s8, s4, s6
	v_add_co_u32_e32 v7, vcc, v7, v2
	s_mov_b32 s7, s6
	s_addc_u32 s9, s5, s6
	v_addc_co_u32_e32 v6, vcc, v6, v3, vcc
	s_xor_b64 s[8:9], s[8:9], s[6:7]
	v_mul_hi_u32 v3, s8, v6
	v_mul_lo_u32 v2, s8, v6
	v_mul_hi_u32 v4, s8, v7
	v_lshl_add_u64 v[2:3], v[4:5], 0, v[2:3]
	v_mul_hi_u32 v4, s9, v7
	v_mul_lo_u32 v7, s9, v7
	v_add_co_u32_e32 v2, vcc, v2, v7
	v_mul_hi_u32 v8, s9, v6
	s_nop 0
	v_addc_co_u32_e32 v4, vcc, v3, v4, vcc
	v_mul_lo_u32 v2, s9, v6
	s_nop 0
	v_addc_co_u32_e32 v3, vcc, 0, v8, vcc
	v_lshl_add_u64 v[2:3], v[4:5], 0, v[2:3]
	v_lshl_add_u64 v[4:5], v[2:3], 0, 1
	;; [unrolled: 1-line block ×3, first 2 shown]
	v_mul_lo_u32 v3, s51, v3
	v_mul_hi_u32 v5, s51, v2
	v_add_u32_e32 v3, v5, v3
	v_mul_lo_u32 v5, s51, v2
	v_mov_b32_e32 v7, s9
	v_sub_co_u32_e32 v5, vcc, s8, v5
	s_nop 1
	v_subb_co_u32_e32 v3, vcc, v7, v3, vcc
	v_subrev_co_u32_e32 v7, vcc, s51, v5
	s_nop 1
	v_subbrev_co_u32_e32 v8, vcc, 0, v3, vcc
	v_cmp_le_u32_e32 vcc, s51, v7
	s_nop 1
	v_cndmask_b32_e64 v7, 0, -1, vcc
	v_cmp_eq_u32_e32 vcc, 0, v8
	s_nop 1
	v_cndmask_b32_e32 v7, -1, v7, vcc
	v_cmp_ne_u32_e32 vcc, 0, v7
	s_nop 1
	v_cndmask_b32_e32 v4, v4, v6, vcc
	v_cmp_le_u32_e32 vcc, s51, v5
	s_nop 1
	v_cndmask_b32_e64 v5, 0, -1, vcc
	v_cmp_eq_u32_e32 vcc, 0, v3
	s_nop 1
	v_cndmask_b32_e32 v3, -1, v5, vcc
	v_cmp_ne_u32_e32 vcc, 0, v3
	s_nop 1
	v_cndmask_b32_e32 v2, v2, v4, vcc
	v_xor_b32_e32 v2, s6, v2
	v_subrev_co_u32_e32 v30, vcc, s6, v2
	s_load_dwordx2 s[42:43], s[0:1], 0x5c
	s_cbranch_execnz .LBB24_8
.LBB24_7:
	v_rcp_iflag_f32_e32 v1, v1
	s_sub_i32 s2, 0, s51
	v_mul_f32_e32 v1, 0x4f7ffffe, v1
	v_cvt_u32_f32_e32 v1, v1
	v_mul_lo_u32 v2, s2, v1
	v_mul_hi_u32 v2, v1, v2
	v_add_u32_e32 v1, v1, v2
	v_mul_hi_u32 v1, s4, v1
	v_mul_lo_u32 v3, v1, s51
	v_sub_u32_e32 v3, s4, v3
	v_add_u32_e32 v2, 1, v1
	v_subrev_u32_e32 v4, s51, v3
	v_cmp_le_u32_e32 vcc, s51, v3
	s_nop 1
	v_cndmask_b32_e32 v3, v3, v4, vcc
	v_cndmask_b32_e32 v1, v1, v2, vcc
	v_add_u32_e32 v2, 1, v1
	v_cmp_le_u32_e32 vcc, s51, v3
	s_nop 1
	v_cndmask_b32_e32 v30, v1, v2, vcc
.LBB24_8:
	s_load_dwordx16 s[84:99], s[0:1], 0x0
	s_load_dwordx4 s[36:39], s[0:1], 0x40
	s_load_dword s2, s[0:1], 0x50
	s_ashr_i32 s47, s83, 3
	v_bfe_u32 v35, v0, 10, 10
	s_waitcnt lgkmcnt(0)
	s_mov_b64 s[60:61], s[84:85]
	s_mov_b64 s[62:63], s[86:87]
	v_writelane_b32 v254, s2, 10
	s_load_dwordx2 s[2:3], s[0:1], 0x8c
	s_load_dwordx4 s[4:7], s[0:1], 0x98
	s_load_dwordx2 s[8:9], s[0:1], 0xa8
	s_load_dwordx2 s[14:15], s[0:1], 0xb8
	s_nop 0
	s_load_dwordx2 s[0:1], s[0:1], 0xc8
	s_mov_b64 s[64:65], s[88:89]
	s_waitcnt lgkmcnt(0)
	s_ashr_i32 s82, s2, 2
	s_mov_b64 s[66:67], s[90:91]
	v_writelane_b32 v254, s8, 11
	s_mov_b64 s[68:69], s[92:93]
	s_mov_b64 s[70:71], s[94:95]
	v_writelane_b32 v254, s9, 12
	v_writelane_b32 v254, s0, 13
	s_mov_b64 s[72:73], s[96:97]
	s_mov_b64 s[74:75], s[98:99]
	v_writelane_b32 v254, s1, 14
	s_mov_b32 s1, s3
	v_readlane_b32 s8, v254, 1
	s_abs_i32 s33, s8
	v_cvt_f32_u32_e32 v1, s33
	v_writelane_b32 v254, s0, 15
	s_mov_b32 s3, s7
	s_ashr_i32 s54, s15, 1
	v_rcp_iflag_f32_e32 v1, v1
	v_writelane_b32 v254, s1, 16
	s_mov_b64 s[0:1], s[4:5]
	v_writelane_b32 v254, s0, 17
	v_mul_f32_e32 v1, 0x4f7ffffe, v1
	v_cvt_u32_f32_e32 v1, v1
	v_writelane_b32 v254, s1, 18
	v_writelane_b32 v254, s2, 19
	;; [unrolled: 1-line block ×3, first 2 shown]
	s_sub_i32 s2, 0, s33
	v_readfirstlane_b32 s3, v1
	s_mul_i32 s2, s2, s3
	s_ashr_i32 s1, s8, 31
	s_mul_hi_u32 s2, s3, s2
	v_writelane_b32 v254, s1, 21
	s_abs_i32 s1, s46
	s_add_i32 s2, s3, s2
	s_mov_b32 s45, s2
	s_mul_hi_u32 s2, s1, s2
	s_mul_i32 s2, s2, s33
	v_writelane_b32 v254, s84, 22
	s_sub_i32 s1, s1, s2
	s_ashr_i32 s76, s6, 2
	v_writelane_b32 v254, s85, 23
	s_ashr_i32 s0, s46, 31
	s_sub_i32 s2, s1, s33
	v_writelane_b32 v254, s86, 24
	s_cmp_ge_u32 s1, s33
	v_writelane_b32 v254, s87, 25
	s_cselect_b32 s1, s2, s1
	v_writelane_b32 v254, s88, 26
	s_sub_i32 s2, s1, s33
	v_writelane_b32 v254, s89, 27
	s_cmp_ge_u32 s1, s33
	v_writelane_b32 v254, s90, 28
	s_cselect_b32 s1, s2, s1
	v_writelane_b32 v254, s91, 29
	s_mov_b32 s4, s46
	s_xor_b32 s1, s1, s0
	v_writelane_b32 v254, s92, 30
	s_sub_i32 s44, s1, s0
	v_subrev_u32_e32 v1, s4, v30
	v_writelane_b32 v254, s93, 31
	v_add_u32_e32 v1, s44, v1
	v_writelane_b32 v254, s94, 32
	v_min_i32_e32 v100, s8, v1
	v_cmp_gt_i32_e64 s[0:1], s8, v1
	v_cvt_f16_f32_e32 v1, s36
	v_writelane_b32 v254, s95, 33
	v_writelane_b32 v254, s96, 34
	v_cmp_ge_i32_e32 vcc, s4, v30
	v_writelane_b32 v254, s97, 35
	s_or_b64 s[0:1], s[0:1], vcc
	v_writelane_b32 v254, s98, 36
	s_mov_b32 s35, 0
	v_cmp_lt_i32_e64 s[26:27], s4, v30
	s_and_b64 vcc, exec, s[0:1]
	v_pack_b32_f16 v31, v1, v1
	v_lshlrev_b32_e32 v113, 3, v35
	v_add_u32_e32 v120, 4, v35
	v_add_u32_e32 v119, 8, v35
	;; [unrolled: 1-line block ×7, first 2 shown]
	v_lshlrev_b32_e32 v112, 4, v35
	v_and_b32_e32 v114, 1, v35
	v_writelane_b32 v254, s99, 37
	s_cbranch_vccnz .LBB24_313
; %bb.9:
	v_and_b32_e32 v32, 0x3ff, v0
	v_lshrrev_b32_e32 v3, 3, v32
	s_cmp_lg_u64 s[66:67], 0
	v_and_b32_e32 v1, 15, v32
	v_and_b32_e32 v3, 30, v3
	v_writelane_b32 v254, s51, 38
	s_cselect_b64 s[0:1], -1, 0
	v_mul_u32_u24_e32 v2, 0x110, v1
	v_lshlrev_b32_e32 v4, 2, v3
	v_writelane_b32 v254, s0, 39
	s_cmp_eq_u64 s[68:69], 0
	v_add3_u32 v121, 0, v2, v4
	v_lshrrev_b32_e32 v2, 4, v32
	v_lshlrev_b32_e32 v4, 2, v32
	v_writelane_b32 v254, s1, 40
	s_cselect_b64 s[0:1], -1, 0
	v_lshl_add_u32 v122, v35, 2, v2
	v_and_b32_e32 v34, 60, v4
	v_writelane_b32 v254, s0, 41
	s_cmp_lg_u64 s[70:71], 0
	v_mul_u32_u24_e32 v2, 0x110, v122
	v_lshlrev_b32_e32 v4, 2, v34
	v_writelane_b32 v254, s1, 42
	s_cselect_b64 s[0:1], -1, 0
	v_add3_u32 v123, 0, v2, v4
	v_lshrrev_b32_e32 v2, 2, v32
	v_writelane_b32 v254, s0, 43
	v_and_b32_e32 v4, 60, v2
	v_and_b32_e32 v5, 8, v113
	v_writelane_b32 v254, s1, 44
	v_mul_u32_u24_e32 v6, 0x88, v4
	s_movk_i32 s1, 0x220
	v_or_b32_e32 v6, v6, v1
	v_mul_u32_u24_e32 v7, 0x110, v4
	v_or_b32_e32 v2, 3, v2
	v_mul_u32_u24_e32 v8, 0x220, v5
	v_mad_u32_u24 v9, v5, s1, 0
	v_lshlrev_b32_e32 v10, 1, v1
	s_movk_i32 s10, 0x110
	v_mul_u32_u24_e32 v2, 0x110, v2
	v_lshlrev_b32_e32 v6, 1, v6
	v_add3_u32 v125, v9, v7, v10
	v_add3_u32 v7, 0, 32, v8
	v_add_u32_e32 v124, v9, v6
	v_add3_u32 v126, v9, v2, v10
	v_add_u32_e32 v127, v7, v6
	v_mad_u32_u24 v9, v4, s10, v7
	v_add3_u32 v129, v7, v2, v10
	v_add3_u32 v7, 0, 64, v8
	s_add_i32 s2, 0, 0x60
	v_add_u32_e32 v130, v7, v6
	v_mad_u32_u24 v8, v4, s10, v7
	v_add3_u32 v132, v7, v2, v10
	v_mov_b32_e32 v7, s2
	s_movk_i32 s0, 0x2200
	v_mad_u32_u24 v7, v5, s1, v7
	s_add_i32 s2, 0, 0x80
	v_add3_u32 v131, v8, v10, s0
	v_add_u32_e32 v133, v7, v6
	v_mad_u32_u24 v8, v4, s10, v7
	v_add3_u32 v135, v7, v2, v10
	v_mov_b32_e32 v7, s2
	v_mad_u32_u24 v7, v5, s1, v7
	s_add_i32 s2, 0, 0xa0
	v_add3_u32 v134, v8, v10, s0
	v_add_u32_e32 v136, v7, v6
	v_mad_u32_u24 v8, v4, s10, v7
	v_add3_u32 v138, v7, v2, v10
	v_mov_b32_e32 v7, s2
	;; [unrolled: 7-line block ×4, first 2 shown]
	v_mad_u32_u24 v5, v5, s1, v7
	v_lshrrev_b32_e32 v148, 1, v35
	v_add3_u32 v147, v5, v2, v10
	v_or_b32_e32 v2, v112, v1
	s_movk_i32 s24, 0x44
	v_add_u32_e32 v149, 2, v148
	v_add_u32_e32 v145, v5, v6
	v_mad_u32_u24 v6, v4, s10, v5
	v_mad_u32_u24 v3, v2, s24, v3
	v_lshlrev_b32_e32 v2, 1, v149
	v_and_b32_e32 v5, 15, v149
	s_movk_i32 s25, 0x1e0
	v_add_u32_e32 v150, 4, v148
	v_add3_u32 v146, v6, v10, s0
	v_and_or_b32 v6, v2, s25, v5
	v_lshlrev_b32_e32 v2, 1, v150
	v_and_b32_e32 v5, 15, v150
	v_add_u32_e32 v151, 6, v148
	v_and_or_b32 v7, v2, s25, v5
	v_lshlrev_b32_e32 v2, 1, v151
	v_and_b32_e32 v5, 15, v151
	v_add_u32_e32 v152, 8, v148
	v_add3_u32 v143, v8, v10, s0
	v_and_or_b32 v8, v2, s25, v5
	v_lshlrev_b32_e32 v2, 1, v152
	v_and_b32_e32 v5, 15, v152
	v_add_u32_e32 v153, 10, v148
	v_add3_u32 v128, v9, v10, s0
	v_and_or_b32 v9, v2, s25, v5
	v_lshlrev_b32_e32 v2, 1, v153
	v_and_b32_e32 v5, 15, v153
	v_add_u32_e32 v154, 12, v148
	v_and_or_b32 v10, v2, s25, v5
	v_lshlrev_b32_e32 v2, 1, v154
	v_and_b32_e32 v5, 15, v154
	v_add_u32_e32 v155, 14, v148
	v_and_or_b32 v11, v2, s25, v5
	v_lshlrev_b32_e32 v2, 1, v155
	v_and_b32_e32 v5, 15, v155
	v_add_u32_e32 v156, 18, v148
	v_and_or_b32 v12, v2, s25, v5
	v_lshlrev_b32_e32 v2, 1, v156
	v_and_b32_e32 v5, 15, v156
	v_add_u32_e32 v157, 20, v148
	v_and_or_b32 v13, v2, s25, v5
	v_lshlrev_b32_e32 v2, 1, v157
	v_and_b32_e32 v5, 15, v157
	v_add_u32_e32 v177, 22, v148
	v_and_or_b32 v14, v2, s25, v5
	v_lshlrev_b32_e32 v2, 1, v177
	v_and_b32_e32 v5, 15, v177
	v_and_or_b32 v15, v2, s25, v5
	v_add_u32_e32 v5, 24, v148
	v_lshlrev_b32_e32 v2, 1, v5
	v_and_b32_e32 v5, 15, v5
	v_and_or_b32 v16, v2, s25, v5
	v_add_u32_e32 v5, 26, v148
	s_lshl_b32 s34, s56, 5
	v_lshlrev_b32_e32 v2, 1, v5
	v_and_b32_e32 v5, 15, v5
	s_ashr_i32 s55, s54, 31
	s_ashr_i32 s83, s82, 31
	s_ashr_i32 s77, s76, 31
	s_lshl_b32 s11, s82, 4
	s_lshl_b32 s26, s76, 4
	v_writelane_b32 v254, s56, 45
	s_lshl_b64 s[0:1], s[34:35], 3
	v_and_or_b32 v17, v2, s25, v5
	v_add_u32_e32 v5, 28, v148
	s_add_u32 s2, s74, s0
	v_readlane_b32 s34, v254, 7
	v_lshlrev_b32_e32 v2, 1, v5
	v_and_b32_e32 v5, 15, v5
	s_addc_u32 s3, s75, s1
	s_abs_i32 s36, s34
	v_and_or_b32 v18, v2, s25, v5
	v_cvt_f32_u32_e32 v2, s36
	v_readlane_b32 s31, v254, 6
	s_abs_i32 s40, s31
	v_cvt_f32_u32_e32 v20, s40
	v_rcp_iflag_f32_e32 v2, v2
	s_mov_b32 s0, s14
	v_add_u32_e32 v162, 30, v148
	v_readlane_b32 s30, v254, 3
	v_writelane_b32 v254, s0, 46
	v_lshlrev_b32_e32 v5, 1, v162
	v_and_b32_e32 v19, 15, v162
	v_mul_f32_e32 v2, 0x4f7ffffe, v2
	s_abs_i32 s41, s30
	v_writelane_b32 v254, s1, 47
	s_abs_i32 s0, s14
	v_and_or_b32 v19, v5, s25, v19
	v_cvt_u32_f32_e32 v2, v2
	v_rcp_iflag_f32_e32 v5, v20
	v_cvt_f32_u32_e32 v20, s41
	v_cvt_f32_u32_e32 v21, s0
	v_readfirstlane_b32 s27, v2
	v_writelane_b32 v254, s0, 48
	v_rcp_iflag_f32_e32 v2, v20
	v_rcp_iflag_f32_e32 v20, v21
	s_sub_i32 s0, 0, s0
	v_lshlrev_b32_e32 v36, 1, v32
	v_mul_f32_e32 v2, 0x4f7ffffe, v2
	v_mul_f32_e32 v20, 0x4f7ffffe, v20
	v_cvt_u32_f32_e32 v2, v2
	v_cvt_u32_f32_e32 v20, v20
	s_movk_i32 s12, 0x90
	v_mul_f32_e32 v5, 0x4f7ffffe, v5
	v_readfirstlane_b32 s29, v2
	v_mul_lo_u32 v2, s0, v20
	v_mul_hi_u32 v2, v20, v2
	v_add_u32_e32 v163, v20, v2
	v_mul_u32_u24_e32 v2, 0x90, v35
	v_add3_u32 v164, 0, v2, v36
	v_and_b32_e32 v2, 16, v112
	v_add_u32_e32 v165, v2, v4
	v_add_u16_e32 v4, v2, v4
	v_mul_u32_u24_e32 v166, 0x110, v2
	v_and_b32_e32 v2, 0x7f0, v113
	v_mad_u32_u24 v167, v2, s10, v121
	v_or_b32_e32 v2, v2, v1
	v_mad_u32_u24 v2, v2, s12, 0
	v_lshrrev_b16_e32 v4, 1, v4
	v_add_u32_e32 v169, 32, v165
	v_add_u32_e32 v171, 34, v165
	v_lshl_add_u32 v168, v4, 2, v2
	v_lshl_add_u32 v170, v169, 1, v2
	;; [unrolled: 1-line block ×3, first 2 shown]
	v_add_u32_e32 v2, v112, v32
	v_cvt_u32_f32_e32 v5, v5
	v_mul_u32_u24_e32 v173, 0x110, v2
	v_and_b32_e32 v2, 31, v32
	v_add_u32_e32 v2, v112, v2
	v_mul_u32_u24_e32 v174, 0x110, v2
	v_or_b32_e32 v2, v113, v32
	v_mul_lo_u32 v46, s76, v122
	v_lshlrev_b32_e32 v4, 3, v2
	v_mov_b32_e32 v2, 0
	v_readfirstlane_b32 s28, v5
	v_add_u32_e32 v48, s26, v46
	v_mov_b32_e32 v5, v2
	v_add_u32_e32 v50, s26, v48
	v_lshl_add_u64 v[54:55], s[2:3], 0, v[4:5]
	v_lshl_add_u32 v175, v3, 2, 0
	v_mad_u32_u24 v3, v35, s24, v32
	v_add_u32_e32 v4, 16, v148
	v_add_u32_e32 v52, s26, v50
	s_movk_i32 s26, 0xe0
	v_lshl_add_u32 v176, v3, 2, 0
	v_bfe_u32 v3, v35, 1, 4
	v_lshlrev_b32_e32 v4, 1, v4
	v_and_or_b32 v4, v4, s25, v3
	v_and_or_b32 v3, v35, s26, v3
	v_mul_u32_u24_e32 v178, 0x110, v3
	v_mad_u32_u24 v3, v3, s24, v32
	v_lshl_add_u32 v179, v3, 2, 0
	v_mad_u32_u24 v3, v6, s24, v32
	v_lshl_add_u32 v181, v3, 2, 0
	;; [unrolled: 2-line block ×3, first 2 shown]
	v_mul_u32_u24_e32 v3, 0x110, v8
	scratch_store_dword off, v3, off offset:16 ; 4-byte Folded Spill
	v_mad_u32_u24 v3, v8, s24, v32
	v_lshl_add_u32 v3, v3, 2, 0
	scratch_store_dword off, v3, off offset:20 ; 4-byte Folded Spill
	v_mul_u32_u24_e32 v3, 0x110, v9
	scratch_store_dword off, v3, off offset:24 ; 4-byte Folded Spill
	v_mad_u32_u24 v3, v9, s24, v32
	s_mul_i32 s0, s80, s81
	v_lshl_add_u32 v3, v3, 2, 0
	v_writelane_b32 v254, s0, 49
	s_mov_b64 s[6:7], s[38:39]
	s_mov_b32 s5, s37
	scratch_store_dword off, v3, off offset:28 ; 4-byte Folded Spill
	v_mul_u32_u24_e32 v3, 0x110, v10
	v_writelane_b32 v254, s4, 50
	scratch_store_dword off, v3, off offset:32 ; 4-byte Folded Spill
	v_mad_u32_u24 v3, v10, s24, v32
	v_writelane_b32 v254, s5, 51
	v_lshl_add_u32 v3, v3, 2, 0
	v_writelane_b32 v254, s6, 52
	scratch_store_dword off, v3, off offset:36 ; 4-byte Folded Spill
	v_mul_u32_u24_e32 v3, 0x110, v11
	v_writelane_b32 v254, s7, 53
	v_cmp_nle_f32_e64 s[0:1], s37, 0
	scratch_store_dword off, v3, off offset:40 ; 4-byte Folded Spill
	v_mad_u32_u24 v3, v11, s24, v32
	v_writelane_b32 v254, s0, 54
	v_lshl_add_u32 v3, v3, 2, 0
	s_lshl_b32 s2, s81, 6
	v_writelane_b32 v254, s1, 55
	scratch_store_dword off, v3, off offset:44 ; 4-byte Folded Spill
	v_mul_u32_u24_e32 v3, 0x110, v12
	v_writelane_b32 v254, s2, 56
	scratch_store_dword off, v3, off offset:48 ; 4-byte Folded Spill
	v_mad_u32_u24 v3, v12, s24, v32
	s_ashr_i32 s2, s34, 31
	v_lshl_add_u32 v3, v3, 2, 0
	v_writelane_b32 v254, s2, 57
	s_sub_i32 s2, 0, s36
	scratch_store_dword off, v3, off offset:52 ; 4-byte Folded Spill
	v_mul_u32_u24_e32 v3, 0x110, v4
	s_mul_i32 s2, s2, s27
	scratch_store_dword off, v3, off offset:56 ; 4-byte Folded Spill
	v_mad_u32_u24 v3, v4, s24, v32
	s_mul_hi_u32 s2, s27, s2
	v_lshl_add_u32 v3, v3, 2, 0
	v_writelane_b32 v254, s36, 58
	s_add_i32 s2, s27, s2
	scratch_store_dword off, v3, off offset:60 ; 4-byte Folded Spill
	v_mul_u32_u24_e32 v3, 0x110, v13
	v_writelane_b32 v254, s2, 59
	s_ashr_i32 s2, s31, 31
	scratch_store_dword off, v3, off offset:64 ; 4-byte Folded Spill
	v_mad_u32_u24 v3, v13, s24, v32
	v_writelane_b32 v254, s2, 60
	s_sub_i32 s2, 0, s40
	v_lshl_add_u32 v3, v3, 2, 0
	s_mul_i32 s2, s2, s28
	scratch_store_dword off, v3, off offset:68 ; 4-byte Folded Spill
	v_mul_u32_u24_e32 v3, 0x110, v14
	s_mul_hi_u32 s2, s28, s2
	scratch_store_dword off, v3, off offset:72 ; 4-byte Folded Spill
	v_mad_u32_u24 v3, v14, s24, v32
	v_writelane_b32 v254, s40, 61
	s_add_i32 s2, s28, s2
	v_lshl_add_u32 v3, v3, 2, 0
	v_writelane_b32 v254, s2, 62
	s_ashr_i32 s2, s30, 31
	scratch_store_dword off, v3, off offset:76 ; 4-byte Folded Spill
	v_mul_u32_u24_e32 v3, 0x110, v15
	v_writelane_b32 v254, s2, 63
	s_sub_i32 s2, 0, s41
	scratch_store_dword off, v3, off offset:80 ; 4-byte Folded Spill
	v_mad_u32_u24 v3, v15, s24, v32
	s_mul_i32 s2, s2, s29
	v_lshl_add_u32 v3, v3, 2, 0
	s_mul_hi_u32 s2, s29, s2
	scratch_store_dword off, v3, off offset:84 ; 4-byte Folded Spill
	v_mul_u32_u24_e32 v3, 0x110, v16
	s_add_i32 s2, s29, s2
                                        ; implicit-def: $vgpr255 : SGPR spill to VGPR lane
	scratch_store_dword off, v3, off offset:88 ; 4-byte Folded Spill
	v_mad_u32_u24 v3, v16, s24, v32
	v_writelane_b32 v255, s2, 0
	v_cmp_eq_u32_e64 s[2:3], 0, v114
	v_lshl_add_u32 v3, v3, 2, 0
	scratch_store_dword off, v3, off offset:92 ; 4-byte Folded Spill
	v_writelane_b32 v255, s2, 1
	v_mul_u32_u24_e32 v3, 0x110, v17
	scratch_store_dword off, v3, off offset:96 ; 4-byte Folded Spill
	v_writelane_b32 v255, s3, 2
	v_cmp_eq_u32_e64 s[2:3], 1, v114
	v_mad_u32_u24 v3, v17, s24, v32
	v_lshl_add_u32 v3, v3, 2, 0
	v_writelane_b32 v255, s2, 3
	v_mul_lo_u32 v38, s82, v122
	scratch_store_dword off, v3, off offset:100 ; 4-byte Folded Spill
	v_writelane_b32 v255, s3, 4
	v_cmp_gt_u32_e64 s[2:3], 16, v32
	v_mul_u32_u24_e32 v3, 0x110, v18
	v_add_u32_e32 v40, s11, v38
	v_writelane_b32 v255, s2, 5
	scratch_store_dword off, v3, off offset:104 ; 4-byte Folded Spill
	v_mad_u32_u24 v3, v18, s24, v32
	v_writelane_b32 v255, s3, 6
	v_cmp_gt_u32_e64 s[2:3], 32, v32
	v_add_u32_e32 v42, s11, v40
	v_lshl_add_u32 v3, v3, 2, 0
	v_writelane_b32 v255, s2, 7
	s_mov_b64 s[56:57], s[60:61]
	v_add_u32_e32 v44, s11, v42
	scratch_store_dword off, v3, off offset:108 ; 4-byte Folded Spill
	v_mul_u32_u24_e32 v3, 0x110, v19
	v_lshlrev_b32_e32 v56, 4, v1
                                        ; implicit-def: $vgpr1
	v_writelane_b32 v255, s3, 8
	s_lshl_b64 s[26:27], s[54:55], 1
	s_mov_b64 s[58:59], s[62:63]
	s_mov_b64 s[60:61], s[64:65]
	;; [unrolled: 1-line block ×4, first 2 shown]
	s_mov_b64 s[92:93], src_private_base
	v_ashrrev_i32_e32 v39, 31, v38
	v_ashrrev_i32_e32 v41, 31, v40
	;; [unrolled: 1-line block ×8, first 2 shown]
	scratch_store_dword off, v3, off offset:112 ; 4-byte Folded Spill
	v_mad_u32_u24 v3, v19, s24, v32
	v_mbcnt_lo_u32_b32 v1, -1, 0
	v_writelane_b32 v255, s26, 9
	s_mov_b64 s[66:67], s[70:71]
	s_mov_b64 s[68:69], s[72:73]
	;; [unrolled: 1-line block ×3, first 2 shown]
	v_cmp_lt_u32_e64 s[0:1], 63, v32
	s_mov_b32 s92, 0
	v_cmp_gt_u32_e64 s[78:79], 64, v122
	v_cmp_gt_u32_e64 s[4:5], 48, v122
	;; [unrolled: 1-line block ×11, first 2 shown]
	v_mul_u32_u24_e32 v180, 0x110, v6
	v_mul_u32_u24_e32 v182, 0x110, v7
	v_lshl_add_u32 v3, v3, 2, 0
	s_mov_b32 s65, s41
	v_mov_b32_e32 v57, v2
	v_mov_b32_e32 v37, v2
	s_mov_b32 s81, 0x42b17218
	s_mov_b32 s89, 0x3fb8aa3b
	;; [unrolled: 1-line block ×5, first 2 shown]
	v_mbcnt_hi_u32_b32 v210, -1, v1
	v_add_u32_e32 v211, 0x240, v164
	v_add_u32_e32 v212, 0x480, v164
	;; [unrolled: 1-line block ×28, first 2 shown]
	v_or_b32_e32 v239, 1, v165
	v_or_b32_e32 v240, 2, v165
	;; [unrolled: 1-line block ×3, first 2 shown]
	v_add_u32_e32 v242, 33, v165
	v_add_u32_e32 v243, 35, v165
	v_mov_b32_e32 v244, 0x3e91f4c4
	v_mov_b32_e32 v245, 0x37000000
	;; [unrolled: 1-line block ×4, first 2 shown]
	v_lshl_add_u64 v[58:59], v[46:47], 2, s[60:61]
	v_lshl_add_u64 v[60:61], v[48:49], 2, s[60:61]
	;; [unrolled: 1-line block ×8, first 2 shown]
	v_cmp_gt_u32_e64 s[24:25], 29, v165
	s_lshl_b64 s[2:3], s[76:77], 8
	s_lshl_b64 s[28:29], s[82:83], 8
	v_writelane_b32 v255, s27, 10
	s_mov_b64 s[30:31], 0x80
	s_mov_b64 s[94:95], s[42:43]
	s_mov_b32 s88, s46
	s_mov_b32 s75, s45
	s_mov_b32 s98, s47
	scratch_store_dword off, v3, off offset:116 ; 4-byte Folded Spill
	s_branch .LBB24_12
.LBB24_10:                              ;   in Loop: Header=BB24_12 Depth=1
	s_or_b64 exec, exec, s[26:27]
	s_barrier
.LBB24_11:                              ;   in Loop: Header=BB24_12 Depth=1
	v_readlane_b32 s37, v254, 1
	s_add_i32 s26, s88, s37
	s_abs_i32 s34, s26
	s_mul_hi_u32 s36, s34, s75
	s_mul_i32 s36, s36, s33
	s_sub_i32 s34, s34, s36
	s_ashr_i32 s27, s26, 31
	s_sub_i32 s36, s34, s33
	s_cmp_ge_u32 s34, s33
	s_cselect_b32 s34, s36, s34
	s_sub_i32 s36, s34, s33
	s_cmp_ge_u32 s34, s33
	s_cselect_b32 s34, s36, s34
	s_xor_b32 s34, s34, s27
	s_sub_i32 s27, s27, s34
	s_add_i32 s88, s26, s27
	v_subrev_u32_e32 v1, s88, v30
	v_cmp_lt_i32_e64 s[26:27], s88, v30
	v_cmp_le_i32_e32 vcc, s37, v1
	v_min_i32_e32 v100, s37, v1
	s_and_b64 s[36:37], vcc, s[26:27]
	s_mov_b32 s44, 0
	s_and_b64 vcc, exec, s[36:37]
	s_cbranch_vccz .LBB24_315
.LBB24_12:                              ; =>This Loop Header: Depth=1
                                        ;     Child Loop BB24_208 Depth 2
                                        ;     Child Loop BB24_54 Depth 2
	s_ashr_i32 s26, s88, 31
	v_readlane_b32 s27, v254, 57
	s_xor_b32 s26, s26, s27
	s_abs_i32 s27, s88
	v_readlane_b32 s34, v254, 59
	s_mul_hi_u32 s34, s27, s34
	v_readlane_b32 s38, v254, 58
	s_mul_i32 s36, s34, s38
	s_sub_i32 s27, s27, s36
	s_add_i32 s36, s34, 1
	s_sub_i32 s37, s27, s38
	s_cmp_ge_u32 s27, s38
	s_cselect_b32 s34, s36, s34
	s_cselect_b32 s27, s37, s27
	s_add_i32 s36, s34, 1
	s_cmp_ge_u32 s27, s38
	s_cselect_b32 s27, s36, s34
	s_xor_b32 s27, s27, s26
	s_sub_i32 s45, s27, s26
	v_readlane_b32 s26, v254, 39
	v_readlane_b32 s27, v254, 40
	s_mov_b32 s74, s54
	s_andn2_b64 vcc, exec, s[26:27]
	s_ashr_i32 s46, s45, 31
	s_cbranch_vccnz .LBB24_14
; %bb.13:                               ;   in Loop: Header=BB24_12 Depth=1
	s_abs_i32 s26, s45
	v_mul_hi_u32 v1, s26, v163
	v_readlane_b32 s27, v254, 48
	v_readlane_b32 s48, v254, 22
	v_readlane_b32 s54, v254, 28
	v_mul_lo_u32 v1, v1, s27
	v_sub_u32_e32 v1, s26, v1
	v_subrev_u32_e32 v3, s27, v1
	v_cmp_le_u32_e32 vcc, s27, v1
	v_readlane_b32 s55, v254, 29
	v_readlane_b32 s49, v254, 23
	v_cndmask_b32_e32 v1, v1, v3, vcc
	v_subrev_u32_e32 v3, s27, v1
	v_cmp_le_u32_e32 vcc, s27, v1
	v_readlane_b32 s26, v254, 13
	v_readlane_b32 s27, v254, 14
	v_cndmask_b32_e32 v1, v1, v3, vcc
	v_xor_b32_e32 v1, s46, v1
	v_subrev_u32_e32 v1, s46, v1
	v_ashrrev_i32_e32 v3, 31, v1
	v_mul_lo_u32 v4, v1, s27
	v_mul_hi_u32 v5, v1, s26
	v_add_u32_e32 v4, v5, v4
	v_mul_lo_u32 v3, v3, s26
	v_add_u32_e32 v5, v4, v3
	v_mul_lo_u32 v4, v1, s26
	v_lshl_add_u64 v[76:77], s[54:55], 0, v[4:5]
	v_readlane_b32 s50, v254, 24
	v_readlane_b32 s51, v254, 25
	;; [unrolled: 1-line block ×12, first 2 shown]
	s_branch .LBB24_15
.LBB24_14:                              ;   in Loop: Header=BB24_12 Depth=1
	v_mov_b64_e32 v[76:77], 0
.LBB24_15:                              ;   in Loop: Header=BB24_12 Depth=1
	v_readlane_b32 s26, v254, 7
	s_mul_i32 s26, s45, s26
	s_sub_i32 s26, s88, s26
	s_ashr_i32 s27, s26, 31
	v_readlane_b32 s34, v254, 60
	s_xor_b32 s27, s27, s34
	s_abs_i32 s34, s26
	v_readlane_b32 s36, v254, 62
	s_mul_hi_u32 s36, s34, s36
	v_readlane_b32 s39, v254, 61
	s_mul_i32 s37, s36, s39
	s_sub_i32 s34, s34, s37
	s_add_i32 s37, s36, 1
	s_sub_i32 s38, s34, s39
	s_cmp_ge_u32 s34, s39
	s_cselect_b32 s36, s37, s36
	s_cselect_b32 s34, s38, s34
	s_add_i32 s37, s36, 1
	s_cmp_ge_u32 s34, s39
	s_cselect_b32 s34, s37, s36
	s_xor_b32 s34, s34, s27
	s_sub_i32 s47, s34, s27
	v_readlane_b32 s27, v254, 6
	s_mul_i32 s27, s47, s27
	s_sub_i32 s26, s26, s27
	s_ashr_i32 s27, s26, 31
	v_readlane_b32 s34, v254, 63
	s_xor_b32 s27, s27, s34
	s_abs_i32 s34, s26
	v_readlane_b32 s36, v255, 0
	s_mul_hi_u32 s36, s34, s36
	s_mul_i32 s37, s36, s65
	s_sub_i32 s34, s34, s37
	s_add_i32 s37, s36, 1
	s_sub_i32 s38, s34, s65
	s_cmp_ge_u32 s34, s65
	s_cselect_b32 s36, s37, s36
	s_cselect_b32 s34, s38, s34
	s_add_i32 s37, s36, 1
	s_cmp_ge_u32 s34, s65
	s_cselect_b32 s34, s37, s36
	s_xor_b32 s34, s34, s27
	s_sub_i32 s27, s34, s27
	v_readlane_b32 s34, v254, 2
	v_readlane_b32 s36, v254, 54
	s_mul_i32 s34, s47, s34
	v_readlane_b32 s37, v254, 55
	s_add_i32 s42, s34, s27
	s_andn2_b64 vcc, exec, s[36:37]
	v_mov_b32_e32 v74, 1.0
	s_cbranch_vccnz .LBB24_17
; %bb.16:                               ;   in Loop: Header=BB24_12 Depth=1
	v_readlane_b32 s37, v254, 10
	s_sub_i32 s36, s42, s37
	s_lshl_b32 s36, s36, 1
	s_add_i32 s34, s42, 1
	s_or_b32 s38, s36, 1
	s_cmp_lt_u32 s42, s37
	v_readlane_b32 s48, v254, 50
	s_cselect_b64 vcc, -1, 0
	v_readlane_b32 s50, v254, 52
	v_readlane_b32 s51, v254, 53
	s_and_b64 s[36:37], vcc, exec
	v_mov_b32_e32 v3, s50
	v_mov_b32_e32 v1, s51
	s_cselect_b32 s34, s34, s38
	v_cndmask_b32_e32 v3, v1, v3, vcc
	v_cvt_f32_i32_e32 v1, s34
	v_cmp_neq_f32_e32 vcc, 1.0, v3
	s_mov_b32 s34, 0x3f2aaaab
	s_mov_b32 s38, 0x7f800000
	v_cndmask_b32_e32 v20, 1.0, v1, vcc
	v_cmp_eq_f32_e32 vcc, 0, v20
	v_cmp_gt_f32_e64 s[40:41], 0, v20
	v_readlane_b32 s49, v254, 51
	v_cndmask_b32_e64 v21, |v3|, 1.0, vcc
	v_frexp_mant_f32_e32 v1, v21
	v_cmp_gt_f32_e64 s[36:37], s34, v1
	s_mov_b32 s34, 0x3f317218
	v_cndmask_b32_e64 v3, v3, 1.0, vcc
	v_cndmask_b32_e64 v4, 1.0, 2.0, s[36:37]
	v_mul_f32_e32 v1, v1, v4
	v_add_f32_e32 v4, 1.0, v1
	v_rcp_f32_e32 v12, v4
	v_add_f32_e32 v5, -1.0, v4
	v_sub_f32_e32 v7, v1, v5
	v_add_f32_e32 v5, -1.0, v1
	v_mul_f32_e32 v1, v5, v12
	v_mul_f32_e32 v6, v4, v1
	v_fma_f32 v8, v1, v4, -v6
	v_fmac_f32_e32 v8, v1, v7
	v_add_f32_e32 v4, v6, v8
	v_sub_f32_e32 v7, v5, v4
	v_pk_add_f32 v[10:11], v[4:5], v[6:7] neg_lo:[0,1] neg_hi:[0,1]
	v_mov_b32_e32 v9, v4
	v_pk_add_f32 v[4:5], v[10:11], v[8:9] neg_lo:[0,1] neg_hi:[0,1]
	s_nop 0
	v_add_f32_e32 v4, v4, v5
	v_add_f32_e32 v4, v7, v4
	v_mul_f32_e32 v5, v12, v4
	v_add_f32_e32 v4, v1, v5
	v_sub_f32_e32 v1, v4, v1
	v_sub_f32_e32 v1, v5, v1
	v_mul_f32_e32 v5, v4, v4
	v_fma_f32 v7, v4, v4, -v5
	v_add_f32_e32 v6, v1, v1
	v_fmac_f32_e32 v7, v4, v6
	v_add_f32_e32 v6, v5, v7
	v_fmamk_f32 v8, v6, 0x3e76c4e1, v244
	v_fmaak_f32 v8, v6, v8, 0x3ecccdef
	v_sub_f32_e32 v5, v6, v5
	v_sub_f32_e32 v14, v7, v5
	v_mul_f32_e32 v5, v6, v8
	v_fma_f32 v7, v6, v8, -v5
	v_fmac_f32_e32 v7, v14, v8
	v_add_f32_e32 v8, v5, v7
	v_add_f32_e32 v9, 0x3f2aaaaa, v8
	v_sub_f32_e32 v5, v8, v5
	v_sub_f32_e32 v5, v7, v5
	v_add_f32_e32 v7, 0xbf2aaaaa, v9
	v_add_f32_e32 v5, 0x31739010, v5
	v_sub_f32_e32 v7, v8, v7
	v_pk_mul_f32 v[10:11], v[4:5], v[6:7]
	v_pk_add_f32 v[12:13], v[4:5], v[6:7]
	v_fma_f32 v8, v6, v4, -v10
	v_fmac_f32_e32 v8, v6, v1
	v_mov_b32_e32 v11, v13
	v_fmac_f32_e32 v8, v14, v4
	v_pk_add_f32 v[6:7], v[10:11], v[8:9]
	v_ldexp_f32 v1, v1, 1
	v_sub_f32_e32 v5, v6, v10
	v_sub_f32_e32 v5, v8, v5
	v_sub_f32_e32 v8, v9, v7
	v_add_f32_e32 v12, v13, v8
	v_mov_b32_e32 v8, v7
	v_pk_mul_f32 v[8:9], v[6:7], v[8:9]
	v_cvt_f64_f32_e32 v[10:11], v21
	v_frexp_exp_i32_f64_e32 v9, v[10:11]
	v_subbrev_co_u32_e64 v9, s[36:37], 0, v9, s[36:37]
	v_cvt_f32_i32_e32 v9, v9
	v_fma_f32 v10, v6, v7, -v8
	v_fmac_f32_e32 v10, v6, v12
	v_fmac_f32_e32 v10, v5, v7
	v_mul_f32_e32 v6, 0x3f317218, v9
	v_fma_f32 v12, v9, s34, -v6
	v_fmac_f32_e32 v12, 0xb102e308, v9
	v_ldexp_f32 v13, v4, 1
	v_add_f32_e32 v7, v8, v10
	v_pk_add_f32 v[4:5], v[6:7], v[12:13]
	v_mov_b32_e32 v14, v7
	v_mov_b32_e32 v15, v5
	;; [unrolled: 1-line block ×3, first 2 shown]
	v_pk_add_f32 v[8:9], v[14:15], v[8:9] neg_lo:[0,1] neg_hi:[0,1]
	v_mov_b32_e32 v11, v7
	v_pk_add_f32 v[8:9], v[10:11], v[8:9] neg_lo:[0,1] neg_hi:[0,1]
	v_mov_b32_e32 v13, v4
	v_add_f32_e32 v1, v1, v8
	v_add_f32_e32 v7, v1, v9
	v_pk_add_f32 v[8:9], v[4:5], v[6:7] neg_lo:[0,1] neg_hi:[0,1]
	v_pk_add_f32 v[10:11], v[4:5], v[6:7]
	v_mov_b32_e32 v14, v8
	v_mov_b32_e32 v15, v11
	v_pk_add_f32 v[14:15], v[12:13], v[14:15]
	v_pk_add_f32 v[8:9], v[12:13], v[8:9] neg_lo:[0,1] neg_hi:[0,1]
	v_mov_b32_e32 v6, v15
	v_pk_add_f32 v[16:17], v[6:7], v[4:5] neg_lo:[0,1] neg_hi:[0,1]
	v_mov_b32_e32 v14, v11
	v_mov_b32_e32 v1, v16
	;; [unrolled: 1-line block ×4, first 2 shown]
	v_pk_add_f32 v[18:19], v[10:11], v[0:1] neg_lo:[0,1] neg_hi:[0,1]
	v_pk_add_f32 v[4:5], v[14:15], v[4:5] neg_lo:[0,1] neg_hi:[0,1]
	v_mov_b32_e32 v12, v7
	v_pk_add_f32 v[4:5], v[12:13], v[4:5] neg_lo:[0,1] neg_hi:[0,1]
	v_mov_b32_e32 v18, v8
	v_pk_add_f32 v[10:11], v[18:19], v[4:5]
	v_mov_b32_e32 v9, v15
	v_mov_b32_e32 v12, v11
	v_pk_add_f32 v[12:13], v[10:11], v[12:13]
	s_movk_i32 s34, 0x204
	v_pk_add_f32 v[6:7], v[6:7], v[12:13]
	v_mov_b32_e32 v5, v12
	v_mov_b32_e32 v11, v6
	v_pk_add_f32 v[14:15], v[10:11], v[8:9] neg_lo:[0,1] neg_hi:[0,1]
	s_nop 0
	v_sub_f32_e32 v1, v10, v14
	v_pk_add_f32 v[4:5], v[4:5], v[14:15] neg_lo:[0,1] neg_hi:[0,1]
	v_sub_f32_e32 v1, v8, v1
	v_add_f32_e32 v1, v4, v1
	v_add_f32_e32 v1, v1, v5
	;; [unrolled: 1-line block ×3, first 2 shown]
	v_sub_f32_e32 v5, v4, v6
	v_sub_f32_e32 v1, v1, v5
	v_mul_f32_e32 v5, v20, v4
	v_fma_f32 v4, v20, v4, -v5
	v_fmac_f32_e32 v4, v20, v1
	v_add_f32_e32 v1, v5, v4
	v_cmp_class_f32_e64 s[36:37], v5, s34
	v_sub_f32_e32 v6, v1, v5
	v_sub_f32_e32 v4, v4, v6
	v_cndmask_b32_e64 v1, v1, v5, s[36:37]
	v_cmp_eq_f32_e64 s[36:37], s81, v1
	s_nop 1
	v_cndmask_b32_e64 v5, 0, v245, s[36:37]
	v_sub_f32_e32 v6, v1, v5
	v_mul_f32_e32 v7, 0x3fb8aa3b, v6
	v_fma_f32 v8, v6, s89, -v7
	v_rndne_f32_e32 v9, v7
	v_fmac_f32_e32 v8, 0x32a5705f, v6
	v_sub_f32_e32 v7, v7, v9
	v_add_f32_e32 v7, v7, v8
	v_exp_f32_e32 v7, v7
	v_cvt_i32_f32_e32 v8, v9
	v_cmp_neq_f32_e64 s[36:37], |v1|, s38
	s_nop 1
	v_cndmask_b32_e64 v1, 0, v4, s[36:37]
	v_ldexp_f32 v4, v7, v8
	v_cmp_ngt_f32_e64 s[36:37], s96, v6
	v_add_f32_e32 v1, v5, v1
	s_nop 0
	v_cndmask_b32_e64 v4, 0, v4, s[36:37]
	v_cmp_nlt_f32_e64 s[36:37], s81, v6
	s_nop 1
	v_cndmask_b32_e64 v4, v246, v4, s[36:37]
	v_fma_f32 v1, v4, v1, v4
	v_cmp_class_f32_e64 s[36:37], v4, s34
	s_brev_b32 s34, -2
	s_nop 0
	v_cndmask_b32_e64 v1, v1, v4, s[36:37]
	v_trunc_f32_e32 v4, v20
	v_cmp_eq_f32_e32 vcc, v4, v20
	v_mul_f32_e32 v4, 0.5, v20
	v_trunc_f32_e32 v5, v4
	v_cmp_neq_f32_e64 s[36:37], v5, v4
	s_and_b64 s[36:37], vcc, s[36:37]
	s_nop 0
	v_cndmask_b32_e64 v4, 1.0, v3, s[36:37]
	v_bfi_b32 v1, s34, v1, v4
	v_cndmask_b32_e32 v4, v247, v1, vcc
	v_cmp_gt_f32_e32 vcc, 0, v3
	v_cndmask_b32_e64 v5, 0, v3, s[36:37]
	s_nop 0
	v_cndmask_b32_e32 v1, v1, v4, vcc
	v_cmp_eq_f32_e32 vcc, s38, v21
	v_cmp_eq_f32_e64 s[38:39], 0, v3
	s_xor_b64 s[40:41], s[40:41], s[38:39]
	v_cndmask_b32_e64 v4, v246, 0, s[40:41]
	v_bfi_b32 v4, s34, v4, v5
	s_or_b64 vcc, vcc, s[38:39]
	v_cndmask_b32_e32 v1, v1, v4, vcc
	v_cmp_o_f32_e32 vcc, v3, v3
	s_nop 1
	v_cndmask_b32_e32 v74, v247, v1, vcc
.LBB24_17:                              ;   in Loop: Header=BB24_12 Depth=1
	v_readlane_b32 s34, v254, 3
	s_mul_i32 s27, s27, s34
	s_sub_i32 s26, s26, s27
	s_ashr_i32 s27, s26, 31
	v_readlane_b32 s34, v254, 21
	s_abs_i32 s26, s26
	s_xor_b32 s27, s27, s34
	s_mul_hi_u32 s34, s26, s75
	s_mul_i32 s36, s34, s33
	s_sub_i32 s26, s26, s36
	s_add_i32 s36, s34, 1
	s_sub_i32 s37, s26, s33
	s_cmp_ge_u32 s26, s33
	s_cselect_b32 s34, s36, s34
	s_cselect_b32 s26, s37, s26
	s_add_i32 s36, s34, 1
	s_cmp_ge_u32 s26, s33
	s_cselect_b32 s26, s36, s34
	v_readlane_b32 s36, v254, 43
	s_xor_b32 s26, s26, s27
	v_readlane_b32 s37, v254, 44
	v_readlane_b32 s48, v254, 22
	s_andn2_b64 vcc, exec, s[36:37]
	s_sub_i32 s73, s26, s27
	v_readlane_b32 s49, v254, 23
	v_readlane_b32 s50, v254, 24
	;; [unrolled: 1-line block ×15, first 2 shown]
	s_cbranch_vccnz .LBB24_19
; %bb.18:                               ;   in Loop: Header=BB24_12 Depth=1
	v_readlane_b32 s26, v254, 0
	s_mul_i32 s26, s45, s26
	s_add_i32 s26, s73, s26
	s_ashr_i32 s27, s26, 31
	s_lshl_b64 s[26:27], s[26:27], 2
	s_add_u32 s26, s58, s26
	s_addc_u32 s27, s59, s27
	global_load_dword v1, v2, s[26:27]
	s_waitcnt vmcnt(0)
	v_ashrrev_i32_e32 v3, 31, v1
	v_lshrrev_b32_e32 v3, 26, v3
	v_add_u32_e32 v1, v1, v3
	v_ashrrev_i32_e32 v1, 6, v1
	v_min_i32_e32 v100, v100, v1
.LBB24_19:                              ;   in Loop: Header=BB24_12 Depth=1
	v_readlane_b32 s26, v254, 49
	s_mul_i32 s26, s26, s45
	s_add_i32 s26, s42, s26
	s_lshl_b32 s34, s26, 6
	s_lshl_b64 s[26:27], s[34:35], 3
	v_readlane_b32 s36, v254, 11
	s_add_u32 s62, s60, s26
	v_readlane_b32 s37, v254, 12
	s_addc_u32 s63, s61, s27
	s_mul_i32 s26, s45, s37
	s_mul_hi_u32 s27, s45, s36
	s_add_i32 s26, s27, s26
	s_mul_i32 s27, s46, s36
	s_mul_i32 s66, s45, s36
	v_readlane_b32 s36, v254, 17
	s_add_i32 s34, s26, s27
	v_readlane_b32 s39, v254, 20
	s_add_u32 s26, s52, s66
	s_mul_i32 s67, s47, s39
	s_addc_u32 s27, s53, s34
	s_ashr_i32 s68, s67, 31
	s_add_u32 s26, s26, s67
	v_readlane_b32 s37, v254, 18
	s_addc_u32 s27, s27, s68
	s_ashr_i32 s43, s42, 31
	v_readlane_b32 s38, v254, 19
	s_mov_b64 s[40:41], s[36:37]
	s_lshl_b64 s[36:37], s[42:43], 2
	s_add_u32 s38, s56, s36
	s_addc_u32 s39, s57, s37
	v_readlane_b32 s36, v254, 41
	v_readlane_b32 s37, v254, 42
	s_and_b64 s[36:37], s[36:37], exec
	s_cselect_b32 s91, 0, s39
	s_cselect_b32 s90, 0, s38
	v_readlane_b32 s38, v254, 8
	v_readlane_b32 s39, v254, 9
	s_mul_i32 s36, s45, s39
	s_ashr_i32 s37, s36, 31
	s_add_u32 s36, s48, s36
	s_mul_i32 s38, s42, s38
	s_addc_u32 s37, s49, s37
	s_ashr_i32 s39, s38, 31
	s_add_u32 s86, s36, s38
	s_addc_u32 s87, s37, s39
	s_mul_i32 s36, s45, s41
	s_mul_hi_u32 s37, s45, s40
	s_add_i32 s36, s37, s36
	s_mul_i32 s46, s46, s40
	v_readlane_b32 s38, v254, 15
	s_add_i32 s69, s36, s46
	s_mul_i32 s70, s45, s40
	v_readlane_b32 s39, v254, 16
	s_add_u32 s36, s50, s70
	s_mul_i32 s71, s47, s39
	s_addc_u32 s37, s51, s69
	s_ashr_i32 s72, s71, 31
	s_add_u32 s84, s36, s71
	s_addc_u32 s85, s37, s72
	s_cmp_lg_u32 s44, 0
	s_mov_b32 s54, s74
	s_cbranch_scc0 .LBB24_64
; %bb.20:                               ;   in Loop: Header=BB24_12 Depth=1
	s_lshl_b32 s74, s73, 5
	v_add_u32_e32 v102, s74, v35
	v_cmp_le_i32_e32 vcc, s80, v102
	s_and_saveexec_b64 s[36:37], vcc
	s_xor_b64 s[36:37], exec, s[36:37]
	s_cbranch_execz .LBB24_22
; %bb.21:                               ;   in Loop: Header=BB24_12 Depth=1
	ds_write_b32 v176, v2
.LBB24_22:                              ;   in Loop: Header=BB24_12 Depth=1
	s_andn2_saveexec_b64 s[36:37], s[36:37]
	s_cbranch_execz .LBB24_24
; %bb.23:                               ;   in Loop: Header=BB24_12 Depth=1
	v_mad_u64_u32 v[4:5], s[38:39], v102, s98, v[32:33]
	v_ashrrev_i32_e32 v5, 31, v4
	v_lshl_add_u64 v[4:5], v[4:5], 3, s[86:87]
	global_load_dwordx2 v[4:5], v[4:5], off
	s_waitcnt vmcnt(0)
	v_cvt_f16_f32_e32 v1, v4
	v_cvt_f16_f32_e32 v3, v5
	v_pack_b32_f16 v1, v1, v3
	v_pk_mul_f16 v1, v31, v1
	ds_write_b32 v176, v1
.LBB24_24:                              ;   in Loop: Header=BB24_12 Depth=1
	s_or_b64 exec, exec, s[36:37]
	v_add_u32_e32 v104, s74, v120
	v_cmp_le_i32_e32 vcc, s80, v104
	s_and_saveexec_b64 s[36:37], vcc
	s_xor_b64 s[36:37], exec, s[36:37]
	s_cbranch_execz .LBB24_26
; %bb.25:                               ;   in Loop: Header=BB24_12 Depth=1
	ds_write_b32 v176, v2 offset:1088
.LBB24_26:                              ;   in Loop: Header=BB24_12 Depth=1
	s_andn2_saveexec_b64 s[36:37], s[36:37]
	s_cbranch_execz .LBB24_28
; %bb.27:                               ;   in Loop: Header=BB24_12 Depth=1
	v_mad_u64_u32 v[4:5], s[38:39], v104, s98, v[32:33]
	v_ashrrev_i32_e32 v5, 31, v4
	v_lshl_add_u64 v[4:5], v[4:5], 3, s[86:87]
	global_load_dwordx2 v[4:5], v[4:5], off
	s_waitcnt vmcnt(0)
	v_cvt_f16_f32_e32 v1, v4
	v_cvt_f16_f32_e32 v3, v5
	v_pack_b32_f16 v1, v1, v3
	v_pk_mul_f16 v1, v31, v1
	ds_write_b32 v176, v1 offset:1088
.LBB24_28:                              ;   in Loop: Header=BB24_12 Depth=1
	s_or_b64 exec, exec, s[36:37]
	v_add_u32_e32 v107, s74, v119
	v_cmp_le_i32_e32 vcc, s80, v107
	s_and_saveexec_b64 s[36:37], vcc
	s_xor_b64 s[36:37], exec, s[36:37]
	s_cbranch_execz .LBB24_30
; %bb.29:                               ;   in Loop: Header=BB24_12 Depth=1
	ds_write_b32 v176, v2 offset:2176
.LBB24_30:                              ;   in Loop: Header=BB24_12 Depth=1
	s_andn2_saveexec_b64 s[36:37], s[36:37]
	s_cbranch_execz .LBB24_32
; %bb.31:                               ;   in Loop: Header=BB24_12 Depth=1
	v_mad_u64_u32 v[4:5], s[38:39], v107, s98, v[32:33]
	v_ashrrev_i32_e32 v5, 31, v4
	v_lshl_add_u64 v[4:5], v[4:5], 3, s[86:87]
	global_load_dwordx2 v[4:5], v[4:5], off
	s_waitcnt vmcnt(0)
	v_cvt_f16_f32_e32 v1, v4
	v_cvt_f16_f32_e32 v3, v5
	v_pack_b32_f16 v1, v1, v3
	v_pk_mul_f16 v1, v31, v1
	ds_write_b32 v176, v1 offset:2176
.LBB24_32:                              ;   in Loop: Header=BB24_12 Depth=1
	;; [unrolled: 23-line block ×7, first 2 shown]
	s_or_b64 exec, exec, s[36:37]
	s_waitcnt lgkmcnt(0)
	s_barrier
	ds_read2_b64 v[18:21], v167 offset1:4
	ds_read2_b64 v[14:17], v167 offset0:8 offset1:12
	ds_read2_b64 v[10:13], v167 offset0:16 offset1:20
	;; [unrolled: 1-line block ×3, first 2 shown]
	v_add_u32_e32 v109, -1, v100
	v_cmp_ge_i32_e32 vcc, s44, v109
	v_mov_b32_e32 v194, 0
	s_waitcnt lgkmcnt(0)
	s_barrier
	s_cbranch_vccnz .LBB24_65
; %bb.53:                               ;   in Loop: Header=BB24_12 Depth=1
	v_mul_hi_u32 v3, s94, v102
	v_add_u32_e32 v3, v102, v3
	v_lshrrev_b32_e32 v3, s95, v3
	v_mul_lo_u32 v3, v3, s80
	v_sub_u32_e32 v3, v102, v3
	v_mad_i64_i32 v[80:81], s[38:39], v3, s54, 0
	v_mul_hi_u32 v3, s94, v104
	v_add_u32_e32 v3, v104, v3
	v_lshrrev_b32_e32 v3, s95, v3
	v_mul_lo_u32 v3, v3, s80
	v_sub_u32_e32 v3, v104, v3
	v_mad_i64_i32 v[82:83], s[38:39], v3, s54, 0
	;; [unrolled: 6-line block ×7, first 2 shown]
	v_mul_hi_u32 v3, s94, v106
	v_add_u32_e32 v3, v106, v3
	v_lshrrev_b32_e32 v3, s95, v3
	v_mul_lo_u32 v3, v3, s80
	v_sub_u32_e32 v3, v106, v3
	v_lshlrev_b32_e32 v4, 1, v32
	v_mov_b32_e32 v5, v2
	v_mad_i64_i32 v[94:95], s[38:39], v3, s54, 0
	v_and_b32_e32 v3, 64, v210
	v_lshl_add_u64 v[78:79], v[76:77], 0, v[4:5]
	v_add_u32_e32 v3, 64, v3
	v_xor_b32_e32 v4, 32, v210
	v_cmp_lt_i32_e32 vcc, v4, v3
	v_cmp_ne_u64_e64 s[36:37], 0, v[76:77]
	v_mov_b32_e32 v198, 0
	v_cndmask_b32_e32 v4, v210, v4, vcc
	v_lshlrev_b32_e32 v110, 2, v4
	v_xor_b32_e32 v4, 16, v210
	v_cmp_lt_i32_e32 vcc, v4, v3
	v_mov_b32_e32 v96, v74
	v_mov_b32_e32 v97, v74
	v_cndmask_b32_e32 v3, v210, v4, vcc
	v_lshlrev_b32_e32 v111, 2, v3
	s_lshl_b32 s40, s44, 6
	v_mov_b32_e32 v199, 0
	v_mov_b32_e32 v203, 0xfeffffff
	;; [unrolled: 1-line block ×17, first 2 shown]
.LBB24_54:                              ;   Parent Loop BB24_12 Depth=1
                                        ; =>  This Inner Loop Header: Depth=2
	v_cndmask_b32_e64 v3, 0, 1, s[36:37]
	v_cmp_ne_u32_e64 s[38:39], 1, v3
	s_andn2_b64 vcc, exec, s[36:37]
	s_ashr_i32 s41, s40, 31
	s_cbranch_vccnz .LBB24_60
; %bb.55:                               ;   in Loop: Header=BB24_54 Depth=2
                                        ; implicit-def: $sgpr45
	s_and_saveexec_b64 s[42:43], s[0:1]
	s_xor_b64 s[42:43], exec, s[42:43]
	s_cbranch_execz .LBB24_57
; %bb.56:                               ;   in Loop: Header=BB24_54 Depth=2
	ds_write_b16 v164, v2 offset:17408
	ds_write_b16 v211, v2 offset:17408
	;; [unrolled: 1-line block ×4, first 2 shown]
	s_mov_b32 s45, 0
.LBB24_57:                              ;   in Loop: Header=BB24_54 Depth=2
	s_or_saveexec_b64 s[42:43], s[42:43]
	v_mov_b32_e32 v3, s45
	v_mov_b32_e32 v4, s45
	;; [unrolled: 1-line block ×4, first 2 shown]
	s_xor_b64 exec, exec, s[42:43]
	s_cbranch_execz .LBB24_59
; %bb.58:                               ;   in Loop: Header=BB24_54 Depth=2
	v_lshl_add_u64 v[22:23], s[40:41], 1, v[78:79]
	v_lshl_add_u64 v[4:5], v[80:81], 1, v[22:23]
	flat_load_ushort v3, v[4:5]
	v_lshl_add_u64 v[4:5], v[82:83], 1, v[22:23]
	flat_load_ushort v24, v[4:5]
	;; [unrolled: 2-line block ×4, first 2 shown]
	s_waitcnt vmcnt(0) lgkmcnt(0)
	ds_write_b16 v164, v3 offset:17408
	ds_write_b16 v211, v24 offset:17408
	;; [unrolled: 1-line block ×4, first 2 shown]
	v_lshl_add_u64 v[4:5], v[88:89], 1, v[22:23]
	flat_load_ushort v3, v[4:5]
	v_lshl_add_u64 v[4:5], v[90:91], 1, v[22:23]
	v_lshl_add_u64 v[24:25], v[92:93], 1, v[22:23]
	;; [unrolled: 1-line block ×3, first 2 shown]
	flat_load_ushort v4, v[4:5]
	s_nop 0
	flat_load_ushort v22, v[22:23]
	s_nop 0
	flat_load_ushort v5, v[24:25]
.LBB24_59:                              ;   in Loop: Header=BB24_54 Depth=2
	s_or_b64 exec, exec, s[42:43]
	s_waitcnt vmcnt(0) lgkmcnt(0)
	ds_write_b16 v214, v3 offset:17408
	ds_write_b16 v215, v4 offset:17408
	;; [unrolled: 1-line block ×4, first 2 shown]
.LBB24_60:                              ;   in Loop: Header=BB24_54 Depth=2
	s_mul_hi_i32 s43, s40, s82
	s_mul_i32 s42, s40, s82
	s_lshl_b64 s[42:43], s[42:43], 2
	s_add_u32 s42, s84, s42
	s_addc_u32 s43, s85, s43
	v_lshl_add_u64 v[22:23], v[38:39], 2, s[42:43]
	v_lshlrev_b32_e32 v98, 2, v34
	v_mov_b32_e32 v99, v2
	v_mov_b32_e32 v3, v2
	;; [unrolled: 1-line block ×4, first 2 shown]
	v_lshl_add_u64 v[22:23], v[22:23], 0, v[98:99]
	v_mov_b32_e32 v26, s93
	v_mov_b32_e32 v27, s92
	scratch_store_dwordx4 off, v[2:5], off
	v_cndmask_b32_e64 v23, v26, v23, s[78:79]
	v_cndmask_b32_e64 v22, v27, v22, s[78:79]
	flat_load_dwordx4 v[22:25], v[22:23]
	v_add_u32_e32 v75, v121, v166
	s_and_b64 vcc, exec, s[38:39]
	s_waitcnt vmcnt(0) lgkmcnt(0)
	ds_write_b128 v123, v[22:25]
	v_lshl_add_u64 v[22:23], v[40:41], 2, s[42:43]
	v_lshl_add_u64 v[22:23], v[22:23], 0, v[98:99]
	v_cndmask_b32_e64 v23, v26, v23, s[4:5]
	v_cndmask_b32_e64 v22, v27, v22, s[4:5]
	flat_load_dwordx4 v[22:25], v[22:23]
	s_waitcnt vmcnt(0) lgkmcnt(0)
	ds_write_b128 v219, v[22:25]
	v_lshl_add_u64 v[22:23], v[42:43], 2, s[42:43]
	v_lshl_add_u64 v[22:23], v[22:23], 0, v[98:99]
	v_cndmask_b32_e64 v23, v26, v23, s[6:7]
	v_cndmask_b32_e64 v22, v27, v22, s[6:7]
	flat_load_dwordx4 v[22:25], v[22:23]
	s_waitcnt vmcnt(0) lgkmcnt(0)
	ds_write_b128 v221, v[22:25]
	v_lshl_add_u64 v[22:23], v[44:45], 2, s[42:43]
	v_lshl_add_u64 v[22:23], v[22:23], 0, v[98:99]
	v_cndmask_b32_e64 v23, v26, v23, s[8:9]
	v_cndmask_b32_e64 v22, v27, v22, s[8:9]
	flat_load_dwordx4 v[22:25], v[22:23]
	s_waitcnt vmcnt(0) lgkmcnt(0)
	ds_write_b128 v223, v[22:25]
	s_waitcnt lgkmcnt(0)
	s_barrier
	ds_read2_b64 v[22:25], v75 offset1:4
	s_waitcnt lgkmcnt(0)
	v_mfma_f32_16x16x16_f16 v[26:29], v[22:23], v[18:19], 0
	v_mfma_f32_16x16x16_f16 v[22:25], v[24:25], v[20:21], v[26:29]
	s_nop 5
	ds_read2_b64 v[26:29], v75 offset0:8 offset1:12
	s_waitcnt lgkmcnt(0)
	v_mfma_f32_16x16x16_f16 v[22:25], v[26:27], v[14:15], v[22:25]
	v_mfma_f32_16x16x16_f16 v[22:25], v[28:29], v[16:17], v[22:25]
	ds_read2_b64 v[26:29], v75 offset0:16 offset1:20
	s_waitcnt lgkmcnt(0)
	v_mfma_f32_16x16x16_f16 v[22:25], v[26:27], v[10:11], v[22:25]
	v_mfma_f32_16x16x16_f16 v[22:25], v[28:29], v[12:13], v[22:25]
	ds_read2_b64 v[26:29], v75 offset0:24 offset1:28
	v_add_u32_e32 v75, 0x2000, v75
	s_waitcnt lgkmcnt(0)
	v_mfma_f32_16x16x16_f16 v[22:25], v[26:27], v[6:7], v[22:25]
	v_mfma_f32_16x16x16_f16 v[22:25], v[28:29], v[8:9], v[22:25]
	ds_read2_b64 v[26:29], v75 offset0:64 offset1:68
	s_waitcnt lgkmcnt(0)
	v_mfma_f32_16x16x16_f16 v[158:161], v[26:27], v[18:19], 0
	v_mfma_f32_16x16x16_f16 v[26:29], v[28:29], v[20:21], v[158:161]
	s_nop 5
	ds_read2_b64 v[158:161], v75 offset0:72 offset1:76
	s_waitcnt lgkmcnt(0)
	v_mfma_f32_16x16x16_f16 v[26:29], v[158:159], v[14:15], v[26:29]
	v_mfma_f32_16x16x16_f16 v[26:29], v[160:161], v[16:17], v[26:29]
	ds_read2_b64 v[158:161], v75 offset0:80 offset1:84
	s_waitcnt lgkmcnt(0)
	v_mfma_f32_16x16x16_f16 v[26:29], v[158:159], v[10:11], v[26:29]
	v_mfma_f32_16x16x16_f16 v[26:29], v[160:161], v[12:13], v[26:29]
	ds_read2_b64 v[158:161], v75 offset0:88 offset1:92
	s_waitcnt lgkmcnt(0)
	s_barrier
	v_mfma_f32_16x16x16_f16 v[26:29], v[158:159], v[6:7], v[26:29]
	v_mfma_f32_16x16x16_f16 v[26:29], v[160:161], v[8:9], v[26:29]
	s_cbranch_vccnz .LBB24_62
; %bb.61:                               ;   in Loop: Header=BB24_54 Depth=2
	v_add_u32_e32 v75, 0x4400, v168
	ds_read2_b32 v[158:159], v75 offset1:1
	ds_read_b32 v108, v170 offset:17408
	v_mov_b32_e32 v75, v74
	s_waitcnt lgkmcnt(1)
	v_cvt_f32_f16_e32 v160, v158
	v_cvt_f32_f16_sdwa v161, v158 dst_sel:DWORD dst_unused:UNUSED_PAD src0_sel:WORD_1
	v_cvt_f32_f16_e32 v158, v159
	v_cvt_f32_f16_sdwa v159, v159 dst_sel:DWORD dst_unused:UNUSED_PAD src0_sel:WORD_1
	v_pk_fma_f32 v[22:23], v[96:97], v[160:161], v[22:23]
	v_pk_fma_f32 v[24:25], v[74:75], v[158:159], v[24:25]
	s_waitcnt lgkmcnt(0)
	v_cvt_f32_f16_sdwa v159, v108 dst_sel:DWORD dst_unused:UNUSED_PAD src0_sel:WORD_1
	v_cvt_f32_f16_e32 v158, v108
	ds_read_b32 v108, v172 offset:17408
	v_pk_fma_f32 v[26:27], v[96:97], v[158:159], v[26:27]
	s_waitcnt lgkmcnt(0)
	v_cvt_f32_f16_sdwa v161, v108 dst_sel:DWORD dst_unused:UNUSED_PAD src0_sel:WORD_1
	v_cvt_f32_f16_e32 v160, v108
	v_pk_fma_f32 v[28:29], v[74:75], v[160:161], v[28:29]
.LBB24_62:                              ;   in Loop: Header=BB24_54 Depth=2
	v_add_f32_e32 v75, 0x40051340, v22
	v_max_f32_e32 v108, v203, v203
	v_max_f32_e32 v75, v108, v75
	v_cndmask_b32_e64 v75, v203, v75, s[10:11]
	v_add_f32_e32 v108, 0x40051340, v23
	v_max_f32_e32 v158, v75, v75
	v_max_f32_e32 v108, v158, v108
	v_cndmask_b32_e64 v75, v75, v108, s[12:13]
	;; [unrolled: 4-line block ×8, first 2 shown]
	ds_bpermute_b32 v108, v110, v75
	v_max_f32_e32 v75, v75, v75
	v_cndmask_b32_e64 v24, v24, v24, s[12:13]
	v_cndmask_b32_e64 v25, v25, v25, s[12:13]
	;; [unrolled: 1-line block ×3, first 2 shown]
	s_waitcnt lgkmcnt(0)
	v_max_f32_e32 v108, v108, v108
	v_max_f32_e32 v75, v75, v108
	ds_bpermute_b32 v108, v111, v75
	v_cndmask_b32_e64 v28, v28, v28, s[18:19]
	v_cndmask_b32_e64 v29, v29, v29, s[18:19]
	s_mul_hi_i32 s39, s40, s76
	s_mul_i32 s38, s40, s76
	s_waitcnt lgkmcnt(0)
	v_max_f32_e32 v108, v108, v108
	v_max_f32_e32 v75, v75, v108
	v_sub_f32_e32 v22, v22, v75
	v_mul_f32_e32 v108, 0x3fb8aa3b, v22
	v_fma_f32 v158, v22, s89, -v108
	v_rndne_f32_e32 v159, v108
	v_fmac_f32_e32 v158, 0x32a5705f, v22
	v_sub_f32_e32 v108, v108, v159
	v_add_f32_e32 v108, v108, v158
	v_exp_f32_e32 v108, v108
	v_cvt_i32_f32_e32 v158, v159
	v_cmp_ngt_f32_e32 vcc, s96, v22
	v_sub_f32_e32 v23, v23, v75
	v_sub_f32_e32 v24, v24, v75
	v_ldexp_f32 v108, v108, v158
	v_cndmask_b32_e32 v108, 0, v108, vcc
	v_cmp_nlt_f32_e32 vcc, s81, v22
	s_lshl_b64 s[38:39], s[38:39], 2
	s_add_u32 s38, s26, s38
	v_cndmask_b32_e32 v22, v246, v108, vcc
	v_mul_f32_e32 v108, 0x3fb8aa3b, v23
	v_fma_f32 v158, v23, s89, -v108
	v_rndne_f32_e32 v159, v108
	v_fmac_f32_e32 v158, 0x32a5705f, v23
	v_sub_f32_e32 v108, v108, v159
	v_add_f32_e32 v108, v108, v158
	v_exp_f32_e32 v108, v108
	v_cvt_i32_f32_e32 v158, v159
	v_cmp_ngt_f32_e32 vcc, s96, v23
	v_cndmask_b32_e64 v22, 0, v22, s[10:11]
	s_addc_u32 s39, s27, s39
	v_ldexp_f32 v108, v108, v158
	v_cndmask_b32_e32 v108, 0, v108, vcc
	v_cmp_nlt_f32_e32 vcc, s81, v23
	v_mov_b32_e32 v23, s35
	scratch_store_dwordx4 off, v[2:5], off
	v_cndmask_b32_e32 v108, v246, v108, vcc
	v_add_f32_e32 v158, v108, v22
	v_cndmask_b32_e64 v159, v23, v108, s[12:13]
	v_mul_f32_e32 v108, 0x3fb8aa3b, v24
	v_cndmask_b32_e64 v23, v22, v158, s[12:13]
	v_fma_f32 v158, v24, s89, -v108
	v_rndne_f32_e32 v160, v108
	v_fmac_f32_e32 v158, 0x32a5705f, v24
	v_sub_f32_e32 v108, v108, v160
	v_add_f32_e32 v108, v108, v158
	v_exp_f32_e32 v108, v108
	v_cvt_i32_f32_e32 v158, v160
	v_cmp_ngt_f32_e32 vcc, s96, v24
	v_cvt_f16_f32_e32 v22, v22
	s_add_i32 s44, s44, 1
	v_ldexp_f32 v108, v108, v158
	v_cndmask_b32_e32 v108, 0, v108, vcc
	v_cmp_nlt_f32_e32 vcc, s81, v24
	v_mov_b32_e32 v24, s35
	s_add_i32 s40, s40, 64
	v_cndmask_b32_e32 v108, v246, v108, vcc
	v_add_f32_e32 v158, v23, v108
	v_cndmask_b32_e64 v160, v24, v108, s[14:15]
	v_cndmask_b32_e64 v24, v23, v158, s[14:15]
	v_sub_f32_e32 v23, v25, v75
	v_mul_f32_e32 v25, 0x3fb8aa3b, v23
	v_fma_f32 v108, v23, s89, -v25
	v_rndne_f32_e32 v158, v25
	v_fmac_f32_e32 v108, 0x32a5705f, v23
	v_sub_f32_e32 v25, v25, v158
	v_add_f32_e32 v25, v25, v108
	v_exp_f32_e32 v25, v25
	v_cvt_i32_f32_e32 v108, v158
	v_cmp_ngt_f32_e32 vcc, s96, v23
	v_ldexp_f32 v25, v25, v108
	s_nop 0
	v_cndmask_b32_e32 v25, 0, v25, vcc
	v_cmp_nlt_f32_e32 vcc, s81, v23
	v_mov_b32_e32 v23, s35
	s_nop 0
	v_cndmask_b32_e32 v25, v246, v25, vcc
	v_add_f32_e32 v108, v24, v25
	v_cndmask_b32_e64 v25, v23, v25, s[16:17]
	v_cndmask_b32_e64 v23, v24, v108, s[16:17]
	v_sub_f32_e32 v24, v26, v75
	v_mul_f32_e32 v26, 0x3fb8aa3b, v24
	v_fma_f32 v108, v24, s89, -v26
	v_rndne_f32_e32 v158, v26
	v_fmac_f32_e32 v108, 0x32a5705f, v24
	v_sub_f32_e32 v26, v26, v158
	v_add_f32_e32 v26, v26, v108
	v_exp_f32_e32 v26, v26
	v_cvt_i32_f32_e32 v108, v158
	v_cmp_ngt_f32_e32 vcc, s96, v24
	v_cvt_f16_f32_e32 v25, v25
	v_ldexp_f32 v26, v26, v108
	v_cndmask_b32_e32 v26, 0, v26, vcc
	v_cmp_nlt_f32_e32 vcc, s81, v24
	v_mov_b32_e32 v24, s35
	s_nop 0
	v_cndmask_b32_e32 v26, v246, v26, vcc
	v_add_f32_e32 v108, v26, v23
	v_cndmask_b32_e64 v26, v24, v26, s[18:19]
	v_cndmask_b32_e64 v24, v23, v108, s[18:19]
	v_sub_f32_e32 v23, v27, v75
	v_mul_f32_e32 v27, 0x3fb8aa3b, v23
	v_fma_f32 v108, v23, s89, -v27
	v_rndne_f32_e32 v158, v27
	v_fmac_f32_e32 v108, 0x32a5705f, v23
	v_sub_f32_e32 v27, v27, v158
	v_add_f32_e32 v27, v27, v108
	v_exp_f32_e32 v27, v27
	v_cvt_i32_f32_e32 v108, v158
	v_cmp_ngt_f32_e32 vcc, s96, v23
	v_ldexp_f32 v27, v27, v108
	s_nop 0
	v_cndmask_b32_e32 v27, 0, v27, vcc
	v_cmp_nlt_f32_e32 vcc, s81, v23
	v_mov_b32_e32 v23, s35
	s_nop 0
	v_cndmask_b32_e32 v27, v246, v27, vcc
	v_add_f32_e32 v108, v27, v24
	v_cndmask_b32_e64 v27, v23, v27, s[20:21]
	v_cndmask_b32_e64 v23, v24, v108, s[20:21]
	v_sub_f32_e32 v24, v28, v75
	v_mul_f32_e32 v28, 0x3fb8aa3b, v24
	v_fma_f32 v108, v24, s89, -v28
	v_rndne_f32_e32 v158, v28
	v_fmac_f32_e32 v108, 0x32a5705f, v24
	v_sub_f32_e32 v28, v28, v158
	v_add_f32_e32 v28, v28, v108
	v_exp_f32_e32 v28, v28
	v_cvt_i32_f32_e32 v108, v158
	v_cmp_ngt_f32_e32 vcc, s96, v24
	v_ldexp_f32 v28, v28, v108
	s_nop 0
	;; [unrolled: 20-line block ×3, first 2 shown]
	v_cndmask_b32_e32 v29, 0, v29, vcc
	v_cmp_nlt_f32_e32 vcc, s81, v23
	v_mov_b32_e32 v23, s35
	s_nop 0
	v_cndmask_b32_e32 v29, v246, v29, vcc
	v_add_f32_e32 v108, v29, v24
	v_cndmask_b32_e64 v108, v24, v108, s[24:25]
	v_sub_f32_e32 v24, v203, v75
	v_cndmask_b32_e64 v23, v23, v29, s[24:25]
	v_mul_f32_e32 v29, 0x3fb8aa3b, v24
	v_fma_f32 v158, v24, s89, -v29
	v_rndne_f32_e32 v161, v29
	v_fmac_f32_e32 v158, 0x32a5705f, v24
	v_sub_f32_e32 v29, v29, v161
	v_add_f32_e32 v29, v29, v158
	v_exp_f32_e32 v29, v29
	v_cvt_i32_f32_e32 v158, v161
	v_cmp_ngt_f32_e32 vcc, s96, v24
	v_cvt_f16_f32_e32 v23, v23
	v_mov_b32_e32 v161, s92
	v_ldexp_f32 v29, v29, v158
	v_cndmask_b32_e32 v29, 0, v29, vcc
	v_cmp_nlt_f32_e32 vcc, s81, v24
	s_nop 1
	v_cndmask_b32_e32 v29, v246, v29, vcc
	v_cmp_le_f32_e32 vcc, s97, v24
	s_nop 1
	v_cndmask_b32_e32 v24, 0, v29, vcc
	v_fmac_f32_e32 v108, v199, v24
	v_cvt_f16_f32_e32 v24, v24
	v_cmp_lt_i32_e32 vcc, s44, v109
	s_and_b64 vcc, exec, vcc
	v_pk_mul_f16 v195, v24, v195 op_sel_hi:[0,1]
	v_pk_mul_f16 v194, v24, v194 op_sel_hi:[0,1]
	;; [unrolled: 1-line block ×16, first 2 shown]
	v_cvt_f16_f32_e32 v24, v159
	v_pack_b32_f16 v24, v22, v24
	v_cvt_f16_f32_e32 v22, v160
	v_mov_b32_e32 v160, s93
	v_pack_b32_f16 v25, v22, v25
	v_cvt_f16_f32_e32 v22, v26
	v_cvt_f16_f32_e32 v26, v27
	v_pack_b32_f16 v22, v22, v26
	v_cvt_f16_f32_e32 v26, v28
	v_pack_b32_f16 v23, v26, v23
	v_lshl_add_u64 v[26:27], v[46:47], 2, s[38:39]
	v_lshl_add_u64 v[26:27], v[26:27], 0, v[98:99]
	v_cndmask_b32_e64 v159, v160, v27, s[78:79]
	v_cndmask_b32_e64 v158, v161, v26, s[78:79]
	v_lshl_add_u64 v[26:27], v[48:49], 2, s[38:39]
	v_lshl_add_u64 v[26:27], v[26:27], 0, v[98:99]
	v_cndmask_b32_e64 v185, v160, v27, s[4:5]
	v_cndmask_b32_e64 v184, v161, v26, s[4:5]
	;; [unrolled: 4-line block ×4, first 2 shown]
	flat_load_dwordx4 v[158:161], v[158:159]
	s_waitcnt vmcnt(0) lgkmcnt(0)
	ds_write_b128 v123, v[158:161]
	flat_load_dwordx4 v[158:161], v[184:185]
	s_waitcnt vmcnt(0) lgkmcnt(0)
	ds_write_b128 v219, v[158:161]
	;; [unrolled: 3-line block ×4, first 2 shown]
	s_waitcnt lgkmcnt(0)
	s_barrier
	ds_read_u16 v3, v125 offset:272
	ds_read_u16 v4, v125 offset:544
	ds_read_u16 v5, v126
	ds_read_u16 v98, v126 offset:32
	v_cvt_f32_f16_e32 v26, v195
	v_cvt_f32_f16_sdwa v27, v195 dst_sel:DWORD dst_unused:UNUSED_PAD src0_sel:WORD_1
	v_cvt_f32_f16_e32 v28, v194
	s_waitcnt lgkmcnt(1)
	v_perm_b32 v5, v5, v4, s64
	ds_read_u16 v4, v124
	ds_read_u16 v99, v124 offset:32
	v_cvt_f32_f16_sdwa v29, v194 dst_sel:DWORD dst_unused:UNUSED_PAD src0_sel:WORD_1
	ds_read_u16 v158, v124 offset:8704
	ds_read_u16 v159, v224 offset:272
	ds_read_u16 v160, v224 offset:544
	ds_read_u16 v161, v126 offset:8704
	s_waitcnt lgkmcnt(5)
	v_perm_b32 v4, v3, v4, s64
	s_nop 1
	v_mfma_f32_16x16x16_f16 v[26:29], v[4:5], v[24:25], v[26:29]
	s_nop 6
	v_cvt_f16_f32_e32 v4, v27
	v_cvt_f16_f32_e32 v5, v28
	;; [unrolled: 1-line block ×4, first 2 shown]
	v_cvt_f32_f16_e32 v27, v4
	v_cvt_f32_f16_e32 v28, v5
	s_waitcnt lgkmcnt(0)
	v_perm_b32 v5, v161, v160, s64
	v_perm_b32 v4, v159, v158, s64
	v_cvt_f32_f16_e32 v26, v3
	v_cvt_f32_f16_e32 v29, v29
	s_nop 1
	v_mfma_f32_16x16x16_f16 v[26:29], v[4:5], v[22:23], v[26:29]
	s_nop 6
	v_cvt_f16_f32_e32 v3, v26
	v_cvt_f16_f32_e32 v4, v27
	;; [unrolled: 1-line block ×4, first 2 shown]
	v_cvt_f32_f16_sdwa v27, v193 dst_sel:DWORD dst_unused:UNUSED_PAD src0_sel:WORD_1
	v_pack_b32_f16 v195, v3, v4
	ds_read_u16 v3, v225 offset:272
	ds_read_u16 v4, v225 offset:544
	v_pack_b32_f16 v194, v5, v26
	v_cvt_f32_f16_e32 v26, v193
	v_cvt_f32_f16_e32 v28, v192
	v_cvt_f32_f16_sdwa v29, v192 dst_sel:DWORD dst_unused:UNUSED_PAD src0_sel:WORD_1
	s_waitcnt lgkmcnt(0)
	v_perm_b32 v5, v98, v4, s64
	v_perm_b32 v4, v3, v99, s64
	ds_read_u16 v98, v127 offset:8704
	ds_read_u16 v99, v128 offset:272
	ds_read_u16 v158, v226 offset:544
	ds_read_u16 v159, v129 offset:8704
	v_mfma_f32_16x16x16_f16 v[26:29], v[4:5], v[24:25], v[26:29]
	s_nop 6
	v_cvt_f16_f32_e32 v4, v27
	v_cvt_f16_f32_e32 v5, v28
	v_cvt_f16_f32_e32 v3, v26
	v_cvt_f16_f32_e32 v29, v29
	v_cvt_f32_f16_e32 v27, v4
	v_cvt_f32_f16_e32 v28, v5
	s_waitcnt lgkmcnt(0)
	v_perm_b32 v5, v159, v158, s64
	v_perm_b32 v4, v99, v98, s64
	v_cvt_f32_f16_e32 v26, v3
	v_cvt_f32_f16_e32 v29, v29
	s_nop 1
	v_mfma_f32_16x16x16_f16 v[26:29], v[4:5], v[22:23], v[26:29]
	s_nop 6
	v_cvt_f16_f32_e32 v3, v26
	v_cvt_f16_f32_e32 v4, v27
	v_cvt_f16_f32_e32 v5, v28
	v_cvt_f16_f32_e32 v26, v29
	v_cvt_f32_f16_sdwa v27, v191 dst_sel:DWORD dst_unused:UNUSED_PAD src0_sel:WORD_1
	v_pack_b32_f16 v193, v3, v4
	v_cvt_f32_f16_e32 v28, v190
	v_pack_b32_f16 v192, v5, v26
	ds_read_u16 v3, v124 offset:64
	ds_read_u16 v4, v227 offset:272
	ds_read_u16 v5, v227 offset:544
	ds_read_u16 v98, v126 offset:64
	v_cvt_f32_f16_e32 v26, v191
	v_cvt_f32_f16_sdwa v29, v190 dst_sel:DWORD dst_unused:UNUSED_PAD src0_sel:WORD_1
	s_waitcnt lgkmcnt(2)
	v_perm_b32 v4, v4, v3, s64
	s_waitcnt lgkmcnt(0)
	v_perm_b32 v5, v98, v5, s64
	ds_read_u16 v98, v130 offset:8704
	ds_read_u16 v99, v131 offset:272
	ds_read_u16 v158, v228 offset:544
	ds_read_u16 v159, v132 offset:8704
	v_mfma_f32_16x16x16_f16 v[26:29], v[4:5], v[24:25], v[26:29]
	s_nop 6
	v_cvt_f16_f32_e32 v4, v27
	v_cvt_f16_f32_e32 v5, v28
	v_cvt_f16_f32_e32 v3, v26
	v_cvt_f16_f32_e32 v29, v29
	v_cvt_f32_f16_e32 v27, v4
	v_cvt_f32_f16_e32 v28, v5
	s_waitcnt lgkmcnt(0)
	v_perm_b32 v5, v159, v158, s64
	v_perm_b32 v4, v99, v98, s64
	v_cvt_f32_f16_e32 v26, v3
	v_cvt_f32_f16_e32 v29, v29
	s_nop 1
	v_mfma_f32_16x16x16_f16 v[26:29], v[4:5], v[22:23], v[26:29]
	s_nop 6
	v_cvt_f16_f32_e32 v3, v26
	v_cvt_f16_f32_e32 v4, v27
	v_cvt_f16_f32_e32 v5, v28
	v_cvt_f16_f32_e32 v26, v29
	v_cvt_f32_f16_sdwa v27, v197 dst_sel:DWORD dst_unused:UNUSED_PAD src0_sel:WORD_1
	v_pack_b32_f16 v191, v3, v4
	v_cvt_f32_f16_e32 v28, v196
	v_pack_b32_f16 v190, v5, v26
	ds_read_u16 v3, v124 offset:96
	ds_read_u16 v4, v229 offset:272
	ds_read_u16 v5, v229 offset:544
	ds_read_u16 v98, v126 offset:96
	v_cvt_f32_f16_e32 v26, v197
	v_cvt_f32_f16_sdwa v29, v196 dst_sel:DWORD dst_unused:UNUSED_PAD src0_sel:WORD_1
	s_waitcnt lgkmcnt(2)
	v_perm_b32 v4, v4, v3, s64
	s_waitcnt lgkmcnt(0)
	;; [unrolled: 38-line block ×6, first 2 shown]
	v_perm_b32 v5, v98, v5, s64
	s_nop 1
	v_mfma_f32_16x16x16_f16 v[24:27], v[4:5], v[24:25], v[26:29]
	s_nop 2
	ds_read_u16 v28, v145 offset:8704
	ds_read_u16 v29, v146 offset:272
	;; [unrolled: 1-line block ×4, first 2 shown]
	s_waitcnt lgkmcnt(0)
	s_barrier
	v_cvt_f16_f32_e32 v4, v25
	v_cvt_f16_f32_e32 v5, v26
	;; [unrolled: 1-line block ×4, first 2 shown]
	v_cvt_f32_f16_e32 v25, v4
	v_cvt_f32_f16_e32 v26, v5
	v_perm_b32 v5, v99, v98, s64
	v_perm_b32 v4, v29, v28, s64
	v_cvt_f32_f16_e32 v24, v3
	v_cvt_f32_f16_e32 v27, v27
	s_nop 1
	v_mfma_f32_16x16x16_f16 v[22:25], v[4:5], v[22:23], v[24:27]
	s_nop 6
	v_cvt_f16_f32_e32 v3, v22
	v_cvt_f16_f32_e32 v4, v23
	;; [unrolled: 1-line block ×4, first 2 shown]
	v_pack_b32_f16 v198, v3, v4
	v_pack_b32_f16 v204, v5, v22
	s_cbranch_vccz .LBB24_66
; %bb.63:                               ;   in Loop: Header=BB24_54 Depth=2
	v_mov_b32_e32 v199, v108
	v_mov_b32_e32 v203, v75
	s_branch .LBB24_54
.LBB24_64:                              ;   in Loop: Header=BB24_12 Depth=1
	s_cbranch_execz .LBB24_11
	s_branch .LBB24_169
.LBB24_65:                              ;   in Loop: Header=BB24_12 Depth=1
	v_mov_b32_e32 v108, 0
	v_mov_b32_e32 v75, 0xfeffffff
	;; [unrolled: 1-line block ×17, first 2 shown]
.LBB24_66:                              ;   in Loop: Header=BB24_12 Depth=1
	s_mov_b32 s55, s98
	s_lshl_b32 s98, s44, 6
	v_readlane_b32 s36, v254, 4
	v_cmp_eq_u64_e32 vcc, 0, v[76:77]
	s_mov_b32 s46, s75
	s_sub_i32 s60, s36, s98
	v_cmp_ne_u64_e64 s[44:45], 0, v[76:77]
	s_ashr_i32 s99, s98, 31
	v_readlane_b32 s37, v254, 5
	s_cbranch_vccnz .LBB24_76
; %bb.67:                               ;   in Loop: Header=BB24_12 Depth=1
	v_cmp_le_i32_e32 vcc, s60, v32
                                        ; implicit-def: $sgpr38
	s_and_saveexec_b64 s[36:37], vcc
	s_xor_b64 s[36:37], exec, s[36:37]
	s_cbranch_execz .LBB24_69
; %bb.68:                               ;   in Loop: Header=BB24_12 Depth=1
	ds_write_b16 v164, v2 offset:17408
	ds_write_b16 v211, v2 offset:17408
	s_mov_b32 s38, 0
                                        ; implicit-def: $vgpr102
                                        ; implicit-def: $vgpr104
                                        ; implicit-def: $vgpr107
                                        ; implicit-def: $vgpr105
.LBB24_69:                              ;   in Loop: Header=BB24_12 Depth=1
	s_or_saveexec_b64 s[36:37], s[36:37]
	s_lshl_b64 s[40:41], s[98:99], 1
	v_lshl_add_u64 v[4:5], v[76:77], 0, s[40:41]
	v_lshlrev_b32_e32 v22, 1, v32
	v_mov_b32_e32 v23, v2
	v_lshl_add_u64 v[4:5], v[4:5], 0, v[22:23]
	v_mov_b32_e32 v3, s38
	v_mov_b32_e32 v22, s38
	s_xor_b64 exec, exec, s[36:37]
	s_cbranch_execz .LBB24_71
; %bb.70:                               ;   in Loop: Header=BB24_12 Depth=1
	v_mul_hi_u32 v3, s94, v102
	v_add_u32_e32 v3, v102, v3
	v_lshrrev_b32_e32 v3, s95, v3
	v_mul_lo_u32 v3, v3, s80
	v_sub_u32_e32 v3, v102, v3
	v_mad_i64_i32 v[22:23], s[38:39], v3, s54, 0
	v_lshl_add_u64 v[22:23], v[22:23], 1, v[4:5]
	flat_load_ushort v3, v[22:23]
	v_mul_hi_u32 v22, s94, v104
	v_add_u32_e32 v22, v104, v22
	v_lshrrev_b32_e32 v22, s95, v22
	v_mul_lo_u32 v22, v22, s80
	v_sub_u32_e32 v22, v104, v22
	v_mad_i64_i32 v[22:23], s[38:39], v22, s54, 0
	v_lshl_add_u64 v[22:23], v[22:23], 1, v[4:5]
	flat_load_ushort v22, v[22:23]
	s_waitcnt vmcnt(0) lgkmcnt(0)
	ds_write_b16 v164, v3 offset:17408
	ds_write_b16 v211, v22 offset:17408
	v_mul_hi_u32 v3, s94, v107
	v_add_u32_e32 v3, v107, v3
	v_lshrrev_b32_e32 v3, s95, v3
	v_mul_lo_u32 v3, v3, s80
	v_sub_u32_e32 v3, v107, v3
	v_mad_i64_i32 v[22:23], s[38:39], v3, s54, 0
	v_lshl_add_u64 v[22:23], v[22:23], 1, v[4:5]
	flat_load_ushort v3, v[22:23]
	v_mul_hi_u32 v22, s94, v105
	v_add_u32_e32 v22, v105, v22
	v_lshrrev_b32_e32 v22, s95, v22
	v_mul_lo_u32 v22, v22, s80
	v_sub_u32_e32 v22, v105, v22
	v_mad_i64_i32 v[22:23], s[38:39], v22, s54, 0
	v_lshl_add_u64 v[22:23], v[22:23], 1, v[4:5]
	flat_load_ushort v22, v[22:23]
.LBB24_71:                              ;   in Loop: Header=BB24_12 Depth=1
	s_or_b64 exec, exec, s[36:37]
	s_waitcnt vmcnt(0) lgkmcnt(0)
	ds_write_b16 v212, v3 offset:17408
	ds_write_b16 v213, v22 offset:17408
                                        ; implicit-def: $sgpr38
	s_and_saveexec_b64 s[36:37], vcc
	s_xor_b64 s[36:37], exec, s[36:37]
	s_cbranch_execz .LBB24_73
; %bb.72:                               ;   in Loop: Header=BB24_12 Depth=1
	ds_write_b16 v214, v2 offset:17408
	ds_write_b16 v215, v2 offset:17408
	s_mov_b32 s38, 0
                                        ; implicit-def: $vgpr1
                                        ; implicit-def: $vgpr4_vgpr5
                                        ; implicit-def: $vgpr101
                                        ; implicit-def: $vgpr103
                                        ; implicit-def: $vgpr106
.LBB24_73:                              ;   in Loop: Header=BB24_12 Depth=1
	s_or_saveexec_b64 s[36:37], s[36:37]
	v_mov_b32_e32 v3, s38
	v_mov_b32_e32 v22, s38
	s_xor_b64 exec, exec, s[36:37]
	s_cbranch_execz .LBB24_75
; %bb.74:                               ;   in Loop: Header=BB24_12 Depth=1
	v_mul_hi_u32 v3, s94, v1
	v_add_u32_e32 v3, v1, v3
	v_lshrrev_b32_e32 v3, s95, v3
	v_mul_lo_u32 v3, v3, s80
	v_sub_u32_e32 v1, v1, v3
	v_mul_hi_u32 v3, s94, v101
	v_add_u32_e32 v3, v101, v3
	v_lshrrev_b32_e32 v3, s95, v3
	v_mad_i64_i32 v[22:23], s[38:39], v1, s54, 0
	v_mul_lo_u32 v3, v3, s80
	v_lshl_add_u64 v[22:23], v[22:23], 1, v[4:5]
	v_sub_u32_e32 v3, v101, v3
	flat_load_ushort v1, v[22:23]
	v_mad_i64_i32 v[22:23], s[38:39], v3, s54, 0
	v_lshl_add_u64 v[22:23], v[22:23], 1, v[4:5]
	flat_load_ushort v3, v[22:23]
	s_waitcnt vmcnt(0) lgkmcnt(0)
	ds_write_b16 v214, v1 offset:17408
	ds_write_b16 v215, v3 offset:17408
	v_mul_hi_u32 v1, s94, v103
	v_add_u32_e32 v1, v103, v1
	v_lshrrev_b32_e32 v1, s95, v1
	v_mul_lo_u32 v1, v1, s80
	v_sub_u32_e32 v1, v103, v1
	v_mad_i64_i32 v[22:23], s[38:39], v1, s54, 0
	v_mul_hi_u32 v1, s94, v106
	v_add_u32_e32 v1, v106, v1
	v_lshrrev_b32_e32 v1, s95, v1
	v_mul_lo_u32 v1, v1, s80
	v_lshl_add_u64 v[22:23], v[22:23], 1, v[4:5]
	v_sub_u32_e32 v1, v106, v1
	flat_load_ushort v3, v[22:23]
	v_mad_i64_i32 v[22:23], s[38:39], v1, s54, 0
	v_lshl_add_u64 v[4:5], v[22:23], 1, v[4:5]
	flat_load_ushort v22, v[4:5]
.LBB24_75:                              ;   in Loop: Header=BB24_12 Depth=1
	s_or_b64 exec, exec, s[36:37]
	s_waitcnt vmcnt(0) lgkmcnt(0)
	ds_write_b16 v216, v3 offset:17408
	ds_write_b16 v217, v22 offset:17408
.LBB24_76:                              ;   in Loop: Header=BB24_12 Depth=1
	s_mul_hi_i32 s37, s98, s82
	s_mul_i32 s36, s98, s82
	s_lshl_b64 s[36:37], s[36:37], 2
	s_add_u32 s42, s84, s36
	s_addc_u32 s43, s85, s37
	v_lshl_add_u64 v[24:25], v[38:39], 2, s[42:43]
	v_lshlrev_b32_e32 v22, 2, v34
	v_mov_b32_e32 v23, v2
	v_mov_b32_e32 v3, v2
	;; [unrolled: 1-line block ×4, first 2 shown]
	v_lshl_add_u64 v[24:25], v[24:25], 0, v[22:23]
	v_mov_b32_e32 v1, s93
	v_cmp_gt_i32_e64 s[36:37], s60, v122
	v_mov_b32_e32 v78, s92
	scratch_store_dwordx4 off, v[2:5], off
	v_cndmask_b32_e64 v25, v1, v25, s[36:37]
	v_cndmask_b32_e64 v24, v78, v24, s[36:37]
	flat_load_dwordx4 v[24:27], v[24:25]
	v_lshl_add_u64 v[28:29], v[40:41], 2, s[42:43]
	v_lshl_add_u64 v[28:29], v[28:29], 0, v[22:23]
	v_cmp_gt_i32_e64 s[38:39], s60, v218
	v_cmp_gt_i32_e64 s[40:41], s60, v220
	s_andn2_b64 vcc, exec, s[44:45]
	v_cndmask_b32_e64 v29, v1, v29, s[38:39]
	v_cndmask_b32_e64 v28, v78, v28, s[38:39]
	s_waitcnt vmcnt(0) lgkmcnt(0)
	ds_write_b128 v123, v[24:27]
	flat_load_dwordx4 v[24:27], v[28:29]
	v_lshl_add_u64 v[28:29], v[42:43], 2, s[42:43]
	v_lshl_add_u64 v[28:29], v[28:29], 0, v[22:23]
	v_cndmask_b32_e64 v29, v1, v29, s[40:41]
	v_cndmask_b32_e64 v28, v78, v28, s[40:41]
	s_waitcnt vmcnt(0) lgkmcnt(0)
	ds_write_b128 v219, v[24:27]
	flat_load_dwordx4 v[24:27], v[28:29]
	v_lshl_add_u64 v[28:29], v[44:45], 2, s[42:43]
	v_lshl_add_u64 v[28:29], v[28:29], 0, v[22:23]
	v_cmp_gt_i32_e64 s[42:43], s60, v222
	s_waitcnt vmcnt(0) lgkmcnt(0)
	ds_write_b128 v221, v[24:27]
	v_cndmask_b32_e64 v29, v1, v29, s[42:43]
	v_cndmask_b32_e64 v28, v78, v28, s[42:43]
	flat_load_dwordx4 v[24:27], v[28:29]
	v_add_u32_e32 v1, v121, v166
	v_add_u32_e32 v28, 0x2000, v1
	s_waitcnt vmcnt(0) lgkmcnt(0)
	ds_write_b128 v223, v[24:27]
	s_waitcnt lgkmcnt(0)
	s_barrier
	ds_read2_b64 v[24:27], v1 offset1:4
	ds_read2_b64 v[82:85], v28 offset0:64 offset1:68
	s_waitcnt lgkmcnt(1)
	v_mfma_f32_16x16x16_f16 v[78:81], v[24:25], v[18:19], 0
	s_waitcnt lgkmcnt(0)
	v_mfma_f32_16x16x16_f16 v[86:89], v[82:83], v[18:19], 0
	v_mfma_f32_16x16x16_f16 v[24:27], v[26:27], v[20:21], v[78:81]
	;; [unrolled: 1-line block ×3, first 2 shown]
	s_nop 2
	ds_read2_b64 v[78:81], v1 offset0:8 offset1:12
	ds_read2_b64 v[82:85], v28 offset0:72 offset1:76
	s_waitcnt lgkmcnt(1)
	v_mfma_f32_16x16x16_f16 v[24:27], v[78:79], v[14:15], v[24:27]
	s_waitcnt lgkmcnt(0)
	v_mfma_f32_16x16x16_f16 v[18:21], v[82:83], v[14:15], v[18:21]
	v_mfma_f32_16x16x16_f16 v[24:27], v[80:81], v[16:17], v[24:27]
	ds_read2_b64 v[78:81], v28 offset0:80 offset1:84
	v_mfma_f32_16x16x16_f16 v[14:17], v[84:85], v[16:17], v[18:21]
	s_nop 3
	ds_read2_b64 v[18:21], v1 offset0:16 offset1:20
	s_waitcnt lgkmcnt(0)
	v_mfma_f32_16x16x16_f16 v[24:27], v[18:19], v[10:11], v[24:27]
	v_mfma_f32_16x16x16_f16 v[14:17], v[78:79], v[10:11], v[14:17]
	;; [unrolled: 1-line block ×4, first 2 shown]
	s_nop 3
	ds_read2_b64 v[24:27], v28 offset0:88 offset1:92
	ds_read2_b64 v[14:17], v1 offset0:24 offset1:28
	s_waitcnt lgkmcnt(0)
	v_mfma_f32_16x16x16_f16 v[18:21], v[14:15], v[6:7], v[18:21]
	s_barrier
	v_mfma_f32_16x16x16_f16 v[78:81], v[24:25], v[6:7], v[10:13]
	v_mfma_f32_16x16x16_f16 v[10:13], v[16:17], v[8:9], v[18:21]
	;; [unrolled: 1-line block ×3, first 2 shown]
	s_cbranch_vccnz .LBB24_78
; %bb.77:                               ;   in Loop: Header=BB24_12 Depth=1
	v_add_u32_e32 v1, 0x4400, v168
	ds_read2_b32 v[14:15], v1 offset1:1
	ds_read_b32 v1, v170 offset:17408
	s_waitcnt lgkmcnt(1)
	v_cvt_f32_f16_e32 v16, v14
	v_cvt_f32_f16_sdwa v17, v14 dst_sel:DWORD dst_unused:UNUSED_PAD src0_sel:WORD_1
	v_cvt_f32_f16_e32 v14, v15
	v_cvt_f32_f16_sdwa v15, v15 dst_sel:DWORD dst_unused:UNUSED_PAD src0_sel:WORD_1
	v_pk_fma_f32 v[10:11], v[74:75], v[16:17], v[10:11] op_sel_hi:[0,1,1]
	v_pk_fma_f32 v[12:13], v[74:75], v[14:15], v[12:13] op_sel_hi:[0,1,1]
	s_waitcnt lgkmcnt(0)
	v_cvt_f32_f16_sdwa v15, v1 dst_sel:DWORD dst_unused:UNUSED_PAD src0_sel:WORD_1
	v_cvt_f32_f16_e32 v14, v1
	ds_read_b32 v1, v172 offset:17408
	v_pk_fma_f32 v[6:7], v[74:75], v[14:15], v[6:7] op_sel_hi:[0,1,1]
	s_waitcnt lgkmcnt(0)
	v_cvt_f32_f16_sdwa v17, v1 dst_sel:DWORD dst_unused:UNUSED_PAD src0_sel:WORD_1
	v_cvt_f32_f16_e32 v16, v1
	v_pk_fma_f32 v[8:9], v[74:75], v[16:17], v[8:9] op_sel_hi:[0,1,1]
.LBB24_78:                              ;   in Loop: Header=BB24_12 Depth=1
	s_nop 4
	v_add_f32_e32 v1, 0x40051340, v10
	v_max_f32_e32 v14, v75, v75
	v_cmp_gt_u32_e64 s[52:53], s60, v165
	v_max_f32_e32 v1, v14, v1
	v_add_f32_e32 v14, 0x40051340, v11
	v_cndmask_b32_e64 v1, v75, v1, s[52:53]
	v_max_f32_e32 v15, v1, v1
	v_cmp_gt_u32_e64 s[56:57], s60, v239
	v_max_f32_e32 v14, v15, v14
	v_cmp_gt_u32_e64 s[58:59], s60, v240
	v_cndmask_b32_e64 v1, v1, v14, s[56:57]
	v_add_f32_e32 v14, 0x40051340, v12
	v_max_f32_e32 v15, v1, v1
	v_max_f32_e32 v14, v15, v14
	v_cndmask_b32_e64 v1, v1, v14, s[58:59]
	v_add_f32_e32 v14, 0x40051340, v13
	v_max_f32_e32 v15, v1, v1
	v_cmp_gt_u32_e64 s[50:51], s60, v241
	v_max_f32_e32 v14, v15, v14
	v_cmp_gt_u32_e64 s[48:49], s60, v169
	v_cndmask_b32_e64 v1, v1, v14, s[50:51]
	v_add_f32_e32 v14, 0x40051340, v6
	v_max_f32_e32 v15, v1, v1
	v_max_f32_e32 v14, v15, v14
	v_cndmask_b32_e64 v1, v1, v14, s[48:49]
	v_add_f32_e32 v14, 0x40051340, v7
	v_max_f32_e32 v15, v1, v1
	s_mov_b32 s75, s46
	v_cmp_gt_u32_e64 s[46:47], s60, v242
	v_max_f32_e32 v14, v15, v14
	v_cmp_gt_u32_e64 s[44:45], s60, v171
	v_cndmask_b32_e64 v1, v1, v14, s[46:47]
	v_add_f32_e32 v14, 0x40051340, v8
	v_max_f32_e32 v15, v1, v1
	v_max_f32_e32 v14, v15, v14
	v_cndmask_b32_e64 v1, v1, v14, s[44:45]
	v_add_f32_e32 v14, 0x40051340, v9
	v_max_f32_e32 v15, v1, v1
	v_cmp_gt_u32_e32 vcc, s60, v243
	v_max_f32_e32 v14, v15, v14
	v_xor_b32_e32 v15, 32, v210
	v_cndmask_b32_e32 v1, v1, v14, vcc
	v_and_b32_e32 v14, 64, v210
	v_add_u32_e32 v14, 64, v14
	v_cmp_lt_i32_e64 s[60:61], v15, v14
	v_cndmask_b32_e64 v12, v12, v12, s[56:57]
	v_cndmask_b32_e64 v13, v13, v13, s[56:57]
	;; [unrolled: 1-line block ×3, first 2 shown]
	v_lshlrev_b32_e32 v15, 2, v15
	ds_bpermute_b32 v16, v15, v1
	v_max_f32_e32 v1, v1, v1
	v_cndmask_b32_e64 v7, v7, v7, s[48:49]
	v_cndmask_b32_e64 v9, v9, v9, s[48:49]
	;; [unrolled: 1-line block ×3, first 2 shown]
	s_waitcnt lgkmcnt(0)
	v_max_f32_e32 v16, v16, v16
	v_max_f32_e32 v1, v1, v16
	v_xor_b32_e32 v16, 16, v210
	v_cmp_lt_i32_e64 s[60:61], v16, v14
	v_mov_b32_e32 v85, s92
	scratch_store_dwordx4 off, v[2:5], off
	v_cndmask_b32_e64 v14, v210, v16, s[60:61]
	v_lshlrev_b32_e32 v21, 2, v14
	ds_bpermute_b32 v14, v21, v1
	s_waitcnt lgkmcnt(0)
	v_max_f32_e32 v14, v14, v14
	v_max_f32_e32 v14, v1, v14
	v_sub_f32_e32 v1, v10, v14
	v_mul_f32_e32 v10, 0x3fb8aa3b, v1
	v_fma_f32 v16, v1, s89, -v10
	v_rndne_f32_e32 v17, v10
	v_fmac_f32_e32 v16, 0x32a5705f, v1
	v_sub_f32_e32 v10, v10, v17
	v_add_f32_e32 v10, v10, v16
	v_exp_f32_e32 v10, v10
	v_cvt_i32_f32_e32 v16, v17
	v_cmp_ngt_f32_e64 s[60:61], s96, v1
	v_sub_f32_e32 v6, v6, v14
	v_ldexp_f32 v10, v10, v16
	v_cndmask_b32_e64 v10, 0, v10, s[60:61]
	v_cmp_nlt_f32_e64 s[60:61], s81, v1
	s_nop 1
	v_cndmask_b32_e64 v1, v246, v10, s[60:61]
	v_cndmask_b32_e64 v10, 0, v1, s[52:53]
	v_sub_f32_e32 v1, v11, v14
	v_mul_f32_e32 v11, 0x3fb8aa3b, v1
	v_fma_f32 v16, v1, s89, -v11
	v_rndne_f32_e32 v17, v11
	v_fmac_f32_e32 v16, 0x32a5705f, v1
	v_sub_f32_e32 v11, v11, v17
	v_add_f32_e32 v11, v11, v16
	v_exp_f32_e32 v11, v11
	v_cvt_i32_f32_e32 v16, v17
	v_cmp_ngt_f32_e64 s[52:53], s96, v1
	v_ldexp_f32 v11, v11, v16
	s_nop 0
	v_cndmask_b32_e64 v11, 0, v11, s[52:53]
	v_cmp_nlt_f32_e64 s[52:53], s81, v1
	v_mov_b32_e32 v1, s35
	s_nop 0
	v_cndmask_b32_e64 v11, v246, v11, s[52:53]
	v_add_f32_e32 v16, v11, v10
	v_cndmask_b32_e64 v82, v1, v11, s[56:57]
	v_sub_f32_e32 v11, v12, v14
	v_mul_f32_e32 v12, 0x3fb8aa3b, v11
	v_cndmask_b32_e64 v1, v10, v16, s[56:57]
	v_fma_f32 v16, v11, s89, -v12
	v_rndne_f32_e32 v17, v12
	v_fmac_f32_e32 v16, 0x32a5705f, v11
	v_sub_f32_e32 v12, v12, v17
	v_add_f32_e32 v12, v12, v16
	v_exp_f32_e32 v12, v12
	v_cvt_i32_f32_e32 v16, v17
	v_cmp_ngt_f32_e64 s[52:53], s96, v11
	v_ldexp_f32 v12, v12, v16
	s_nop 0
	v_cndmask_b32_e64 v12, 0, v12, s[52:53]
	v_cmp_nlt_f32_e64 s[52:53], s81, v11
	s_nop 1
	v_cndmask_b32_e64 v11, v246, v12, s[52:53]
	v_mov_b32_e32 v12, s35
	v_add_f32_e32 v16, v1, v11
	v_cndmask_b32_e64 v12, v12, v11, s[58:59]
	v_sub_f32_e32 v11, v13, v14
	v_mul_f32_e32 v13, 0x3fb8aa3b, v11
	v_cndmask_b32_e64 v1, v1, v16, s[58:59]
	v_fma_f32 v16, v11, s89, -v13
	v_rndne_f32_e32 v17, v13
	v_fmac_f32_e32 v16, 0x32a5705f, v11
	v_sub_f32_e32 v13, v13, v17
	v_add_f32_e32 v13, v13, v16
	v_exp_f32_e32 v13, v13
	v_cvt_i32_f32_e32 v16, v17
	v_cmp_ngt_f32_e64 s[52:53], s96, v11
	v_ldexp_f32 v13, v13, v16
	s_nop 0
	v_cndmask_b32_e64 v13, 0, v13, s[52:53]
	v_cmp_nlt_f32_e64 s[52:53], s81, v11
	v_mov_b32_e32 v11, s35
	s_nop 0
	v_cndmask_b32_e64 v13, v246, v13, s[52:53]
	v_add_f32_e32 v16, v1, v13
	v_cndmask_b32_e64 v11, v11, v13, s[50:51]
	v_mul_f32_e32 v13, 0x3fb8aa3b, v6
	v_cndmask_b32_e64 v1, v1, v16, s[50:51]
	v_fma_f32 v16, v6, s89, -v13
	v_rndne_f32_e32 v17, v13
	v_fmac_f32_e32 v16, 0x32a5705f, v6
	v_sub_f32_e32 v13, v13, v17
	v_add_f32_e32 v13, v13, v16
	v_exp_f32_e32 v13, v13
	v_cvt_i32_f32_e32 v16, v17
	v_cmp_ngt_f32_e64 s[50:51], s96, v6
	v_ldexp_f32 v13, v13, v16
	s_nop 0
	v_cndmask_b32_e64 v13, 0, v13, s[50:51]
	v_cmp_nlt_f32_e64 s[50:51], s81, v6
	v_mov_b32_e32 v6, s35
	s_nop 0
	v_cndmask_b32_e64 v13, v246, v13, s[50:51]
	v_add_f32_e32 v16, v13, v1
	v_cndmask_b32_e64 v13, v6, v13, s[48:49]
	v_cndmask_b32_e64 v6, v1, v16, s[48:49]
	v_sub_f32_e32 v1, v7, v14
	v_mul_f32_e32 v7, 0x3fb8aa3b, v1
	v_fma_f32 v16, v1, s89, -v7
	v_rndne_f32_e32 v17, v7
	v_fmac_f32_e32 v16, 0x32a5705f, v1
	v_sub_f32_e32 v7, v7, v17
	v_add_f32_e32 v7, v7, v16
	v_exp_f32_e32 v7, v7
	v_cvt_i32_f32_e32 v16, v17
	v_cmp_ngt_f32_e64 s[48:49], s96, v1
	v_ldexp_f32 v7, v7, v16
	s_nop 0
	v_cndmask_b32_e64 v7, 0, v7, s[48:49]
	v_cmp_nlt_f32_e64 s[48:49], s81, v1
	v_mov_b32_e32 v1, s35
	s_nop 0
	v_cndmask_b32_e64 v7, v246, v7, s[48:49]
	v_add_f32_e32 v16, v7, v6
	v_cndmask_b32_e64 v83, v1, v7, s[46:47]
	v_cndmask_b32_e64 v1, v6, v16, s[46:47]
	v_sub_f32_e32 v6, v8, v14
	v_mul_f32_e32 v7, 0x3fb8aa3b, v6
	v_fma_f32 v8, v6, s89, -v7
	v_rndne_f32_e32 v16, v7
	v_fmac_f32_e32 v8, 0x32a5705f, v6
	v_sub_f32_e32 v7, v7, v16
	v_add_f32_e32 v7, v7, v8
	v_exp_f32_e32 v7, v7
	v_cvt_i32_f32_e32 v8, v16
	v_cmp_ngt_f32_e64 s[46:47], s96, v6
	v_ldexp_f32 v7, v7, v8
	s_nop 0
	v_cndmask_b32_e64 v7, 0, v7, s[46:47]
	v_cmp_nlt_f32_e64 s[46:47], s81, v6
	v_mov_b32_e32 v6, s35
	s_nop 0
	v_cndmask_b32_e64 v7, v246, v7, s[46:47]
	v_cndmask_b32_e64 v84, v6, v7, s[44:45]
	v_sub_f32_e32 v6, v9, v14
	v_add_f32_e32 v8, v7, v1
	v_mul_f32_e32 v7, 0x3fb8aa3b, v6
	v_cndmask_b32_e64 v1, v1, v8, s[44:45]
	v_fma_f32 v8, v6, s89, -v7
	v_rndne_f32_e32 v9, v7
	v_fmac_f32_e32 v8, 0x32a5705f, v6
	v_sub_f32_e32 v7, v7, v9
	v_add_f32_e32 v7, v7, v8
	v_exp_f32_e32 v7, v7
	v_cvt_i32_f32_e32 v8, v9
	v_cmp_ngt_f32_e64 s[44:45], s96, v6
	v_ldexp_f32 v7, v7, v8
	s_nop 0
	v_cndmask_b32_e64 v7, 0, v7, s[44:45]
	v_cmp_nlt_f32_e64 s[44:45], s81, v6
	s_nop 1
	v_cndmask_b32_e64 v6, v246, v7, s[44:45]
	v_add_f32_e32 v8, v6, v1
	v_mov_b32_e32 v7, s35
	v_cndmask_b32_e32 v24, v1, v8, vcc
	v_sub_f32_e32 v1, v75, v14
	v_cndmask_b32_e32 v7, v7, v6, vcc
	v_mul_f32_e32 v6, 0x3fb8aa3b, v1
	v_fma_f32 v8, v1, s89, -v6
	v_rndne_f32_e32 v9, v6
	v_fmac_f32_e32 v8, 0x32a5705f, v1
	v_sub_f32_e32 v6, v6, v9
	v_add_f32_e32 v6, v6, v8
	v_exp_f32_e32 v6, v6
	v_cvt_i32_f32_e32 v8, v9
	v_cmp_ngt_f32_e32 vcc, s96, v1
	v_cvt_f16_f32_e32 v9, v11
	v_cvt_f16_f32_e32 v7, v7
	v_ldexp_f32 v6, v6, v8
	v_cndmask_b32_e32 v6, 0, v6, vcc
	v_cmp_nlt_f32_e32 vcc, s81, v1
	v_cvt_f16_f32_e32 v8, v82
	s_mul_hi_i32 s45, s98, s76
	v_cndmask_b32_e32 v6, v246, v6, vcc
	v_cmp_le_f32_e32 vcc, s97, v1
	s_mul_i32 s44, s98, s76
	s_lshl_b64 s[44:45], s[44:45], 2
	v_cndmask_b32_e32 v1, 0, v6, vcc
	v_cvt_f16_f32_e32 v6, v1
	v_fmac_f32_e32 v24, v108, v1
	s_add_u32 s44, s26, s44
	s_addc_u32 s45, s27, s45
	v_pk_mul_f16 v81, v6, v195 op_sel_hi:[0,1]
	v_pk_mul_f16 v1, v6, v194 op_sel_hi:[0,1]
	;; [unrolled: 1-line block ×16, first 2 shown]
	v_cvt_f16_f32_e32 v6, v10
	v_cvt_f16_f32_e32 v10, v83
	s_cmp_eq_u64 s[90:91], 0
	v_pack_b32_f16 v8, v6, v8
	v_cvt_f16_f32_e32 v6, v12
	v_pack_b32_f16 v9, v6, v9
	v_cvt_f16_f32_e32 v6, v13
	;; [unrolled: 2-line block ×3, first 2 shown]
	v_mov_b32_e32 v84, s93
	v_pack_b32_f16 v7, v10, v7
	v_lshl_add_u64 v[10:11], v[46:47], 2, s[44:45]
	v_lshl_add_u64 v[10:11], v[10:11], 0, v[22:23]
	v_cndmask_b32_e64 v83, v84, v11, s[36:37]
	v_cndmask_b32_e64 v82, v85, v10, s[36:37]
	v_lshl_add_u64 v[10:11], v[48:49], 2, s[44:45]
	v_lshl_add_u64 v[10:11], v[10:11], 0, v[22:23]
	v_cndmask_b32_e64 v87, v84, v11, s[38:39]
	v_cndmask_b32_e64 v86, v85, v10, s[38:39]
	;; [unrolled: 4-line block ×4, first 2 shown]
	flat_load_dwordx4 v[82:85], v[82:83]
	v_readlane_b32 s38, v255, 1
	v_readlane_b32 s39, v255, 2
	s_cselect_b64 s[36:37], -1, 0
	s_xor_b64 s[38:39], s[38:39], -1
	s_or_b64 s[36:37], s[38:39], s[36:37]
	s_waitcnt vmcnt(0) lgkmcnt(0)
	ds_write_b128 v123, v[82:85]
	flat_load_dwordx4 v[82:85], v[86:87]
	s_waitcnt vmcnt(0) lgkmcnt(0)
	ds_write_b128 v219, v[82:85]
	flat_load_dwordx4 v[82:85], v[12:13]
	;; [unrolled: 3-line block ×3, first 2 shown]
	s_waitcnt vmcnt(0) lgkmcnt(0)
	ds_write_b128 v223, v[10:13]
	s_waitcnt lgkmcnt(0)
	s_barrier
	ds_read_u16 v3, v125 offset:272
	ds_read_u16 v4, v125 offset:544
	v_cvt_f32_f16_e32 v12, v1
	v_cvt_f32_f16_sdwa v13, v1 dst_sel:DWORD dst_unused:UNUSED_PAD src0_sel:WORD_1
	ds_read_u16 v1, v126
	ds_read_u16 v22, v126 offset:32
	v_cvt_f32_f16_e32 v10, v81
	v_cvt_f32_f16_sdwa v11, v81 dst_sel:DWORD dst_unused:UNUSED_PAD src0_sel:WORD_1
	s_waitcnt lgkmcnt(1)
	v_perm_b32 v5, v1, v4, s64
	ds_read_u16 v1, v124
	ds_read_u16 v81, v124 offset:32
	ds_read_u16 v23, v124 offset:8704
	;; [unrolled: 1-line block ×5, first 2 shown]
	s_waitcnt lgkmcnt(5)
	v_perm_b32 v4, v3, v1, s64
	s_nop 1
	v_mfma_f32_16x16x16_f16 v[10:13], v[4:5], v[8:9], v[10:13]
	s_nop 6
	v_cvt_f16_f32_e32 v4, v12
	v_cvt_f16_f32_e32 v5, v13
	;; [unrolled: 1-line block ×4, first 2 shown]
	v_cvt_f32_f16_e32 v12, v4
	v_cvt_f32_f16_e32 v13, v5
	s_waitcnt lgkmcnt(0)
	v_perm_b32 v5, v84, v83, s64
	v_perm_b32 v4, v82, v23, s64
	v_cvt_f32_f16_e32 v10, v1
	v_cvt_f32_f16_e32 v11, v3
	v_cvt_f32_f16_e32 v82, v75
	v_cvt_f32_f16_sdwa v83, v75 dst_sel:DWORD dst_unused:UNUSED_PAD src0_sel:WORD_1
	v_mfma_f32_16x16x16_f16 v[10:13], v[4:5], v[6:7], v[10:13]
	s_nop 6
	v_cvt_f16_f32_e32 v1, v10
	v_cvt_f16_f32_e32 v3, v11
	;; [unrolled: 1-line block ×4, first 2 shown]
	v_cvt_f32_f16_sdwa v11, v80 dst_sel:DWORD dst_unused:UNUSED_PAD src0_sel:WORD_1
	v_pack_b32_f16 v4, v1, v3
	v_cvt_f32_f16_e32 v12, v79
	v_pack_b32_f16 v1, v5, v10
	ds_read_u16 v3, v225 offset:272
	ds_read_u16 v5, v225 offset:544
	v_cvt_f32_f16_e32 v10, v80
	v_cvt_f32_f16_sdwa v13, v79 dst_sel:DWORD dst_unused:UNUSED_PAD src0_sel:WORD_1
	s_waitcnt lgkmcnt(0)
	v_perm_b32 v23, v22, v5, s64
	v_perm_b32 v22, v3, v81, s64
	v_cvt_f32_f16_sdwa v81, v78 dst_sel:DWORD dst_unused:UNUSED_PAD src0_sel:WORD_1
	s_nop 0
	v_mfma_f32_16x16x16_f16 v[10:13], v[22:23], v[8:9], v[10:13]
	ds_read_u16 v22, v127 offset:8704
	ds_read_u16 v79, v128 offset:272
	;; [unrolled: 1-line block ×4, first 2 shown]
	s_nop 2
	v_cvt_f16_f32_e32 v3, v10
	v_cvt_f16_f32_e32 v5, v11
	;; [unrolled: 1-line block ×4, first 2 shown]
	s_waitcnt lgkmcnt(0)
	v_perm_b32 v23, v80, v23, s64
	v_perm_b32 v22, v79, v22, s64
	v_cvt_f32_f16_e32 v10, v3
	v_cvt_f32_f16_e32 v11, v5
	;; [unrolled: 1-line block ×5, first 2 shown]
	s_nop 0
	v_mfma_f32_16x16x16_f16 v[10:13], v[22:23], v[6:7], v[10:13]
	s_nop 6
	v_cvt_f16_f32_e32 v3, v10
	v_cvt_f16_f32_e32 v5, v11
	;; [unrolled: 1-line block ×4, first 2 shown]
	v_pack_b32_f16 v10, v3, v5
	v_pack_b32_f16 v3, v11, v12
	ds_read_u16 v5, v124 offset:64
	ds_read_u16 v11, v227 offset:272
	ds_read_u16 v12, v227 offset:544
	ds_read_u16 v13, v126 offset:64
	s_waitcnt lgkmcnt(0)
	v_perm_b32 v13, v13, v12, s64
	v_perm_b32 v12, v11, v5, s64
	s_nop 1
	v_mfma_f32_16x16x16_f16 v[78:81], v[12:13], v[8:9], v[80:83]
	ds_read_u16 v22, v130 offset:8704
	ds_read_u16 v23, v131 offset:272
	;; [unrolled: 1-line block ×4, first 2 shown]
	s_nop 2
	v_cvt_f16_f32_e32 v12, v80
	v_cvt_f16_f32_e32 v13, v81
	;; [unrolled: 1-line block ×4, first 2 shown]
	v_cvt_f32_f16_e32 v80, v12
	v_cvt_f32_f16_e32 v81, v13
	s_waitcnt lgkmcnt(0)
	v_perm_b32 v13, v82, v75, s64
	v_perm_b32 v12, v23, v22, s64
	v_cvt_f32_f16_e32 v78, v5
	v_cvt_f32_f16_e32 v79, v11
	s_nop 1
	v_mfma_f32_16x16x16_f16 v[78:81], v[12:13], v[6:7], v[78:81]
	s_nop 6
	v_cvt_f16_f32_e32 v5, v78
	v_cvt_f16_f32_e32 v11, v79
	;; [unrolled: 1-line block ×4, first 2 shown]
	v_cvt_f32_f16_e32 v78, v29
	v_pack_b32_f16 v12, v5, v11
	v_cvt_f32_f16_sdwa v79, v29 dst_sel:DWORD dst_unused:UNUSED_PAD src0_sel:WORD_1
	v_pack_b32_f16 v5, v13, v22
	ds_read_u16 v11, v124 offset:96
	ds_read_u16 v13, v229 offset:272
	;; [unrolled: 1-line block ×4, first 2 shown]
	v_cvt_f32_f16_e32 v80, v16
	v_cvt_f32_f16_sdwa v81, v16 dst_sel:DWORD dst_unused:UNUSED_PAD src0_sel:WORD_1
	s_waitcnt lgkmcnt(0)
	v_perm_b32 v23, v23, v22, s64
	v_perm_b32 v22, v13, v11, s64
	s_nop 1
	v_mfma_f32_16x16x16_f16 v[78:81], v[22:23], v[8:9], v[78:81]
	ds_read_u16 v29, v133 offset:8704
	ds_read_u16 v75, v134 offset:272
	;; [unrolled: 1-line block ×4, first 2 shown]
	s_nop 2
	v_cvt_f16_f32_e32 v22, v81
	v_cvt_f16_f32_e32 v11, v78
	;; [unrolled: 1-line block ×4, first 2 shown]
	v_cvt_f32_f16_e32 v81, v22
	s_waitcnt lgkmcnt(0)
	v_perm_b32 v23, v82, v23, s64
	v_perm_b32 v22, v75, v29, s64
	v_cvt_f32_f16_e32 v78, v11
	v_cvt_f32_f16_e32 v79, v13
	;; [unrolled: 1-line block ×3, first 2 shown]
	s_nop 1
	v_mfma_f32_16x16x16_f16 v[78:81], v[22:23], v[6:7], v[78:81]
	s_nop 6
	v_cvt_f16_f32_e32 v11, v78
	v_cvt_f16_f32_e32 v13, v79
	v_cvt_f16_f32_e32 v22, v80
	v_cvt_f16_f32_e32 v23, v81
	v_cvt_f32_f16_e32 v78, v28
	v_pack_b32_f16 v16, v11, v13
	v_cvt_f32_f16_sdwa v79, v28 dst_sel:DWORD dst_unused:UNUSED_PAD src0_sel:WORD_1
	v_pack_b32_f16 v11, v22, v23
	ds_read_u16 v13, v124 offset:128
	ds_read_u16 v22, v231 offset:272
	ds_read_u16 v23, v231 offset:544
	ds_read_u16 v29, v126 offset:128
	v_cvt_f32_f16_e32 v80, v18
	v_cvt_f32_f16_sdwa v81, v18 dst_sel:DWORD dst_unused:UNUSED_PAD src0_sel:WORD_1
	s_waitcnt lgkmcnt(2)
	v_perm_b32 v22, v22, v13, s64
	s_waitcnt lgkmcnt(0)
	v_perm_b32 v23, v29, v23, s64
	ds_read_u16 v28, v136 offset:8704
	ds_read_u16 v29, v137 offset:272
	ds_read_u16 v75, v232 offset:544
	ds_read_u16 v82, v138 offset:8704
	v_mfma_f32_16x16x16_f16 v[78:81], v[22:23], v[8:9], v[78:81]
	s_nop 6
	v_cvt_f16_f32_e32 v22, v80
	v_cvt_f16_f32_e32 v23, v81
	v_cvt_f16_f32_e32 v13, v78
	v_cvt_f16_f32_e32 v18, v79
	v_cvt_f32_f16_e32 v80, v22
	v_cvt_f32_f16_e32 v81, v23
	s_waitcnt lgkmcnt(0)
	v_perm_b32 v23, v82, v75, s64
	v_perm_b32 v22, v29, v28, s64
	v_cvt_f32_f16_e32 v78, v13
	v_cvt_f32_f16_e32 v79, v18
	s_nop 1
	v_mfma_f32_16x16x16_f16 v[78:81], v[22:23], v[6:7], v[78:81]
	s_nop 6
	v_cvt_f16_f32_e32 v13, v78
	v_cvt_f16_f32_e32 v18, v79
	v_cvt_f16_f32_e32 v22, v80
	v_cvt_f16_f32_e32 v23, v81
	v_cvt_f32_f16_e32 v78, v20
	v_pack_b32_f16 v18, v13, v18
	v_cvt_f32_f16_sdwa v79, v20 dst_sel:DWORD dst_unused:UNUSED_PAD src0_sel:WORD_1
	v_pack_b32_f16 v13, v22, v23
	ds_read_u16 v22, v124 offset:160
	ds_read_u16 v28, v233 offset:272
	ds_read_u16 v23, v233 offset:544
	ds_read_u16 v29, v126 offset:160
	v_cvt_f32_f16_e32 v80, v17
	v_cvt_f32_f16_sdwa v81, v17 dst_sel:DWORD dst_unused:UNUSED_PAD src0_sel:WORD_1
	s_waitcnt lgkmcnt(2)
	v_perm_b32 v22, v28, v22, s64
	s_waitcnt lgkmcnt(0)
	v_perm_b32 v23, v29, v23, s64
	ds_read_u16 v28, v139 offset:8704
	ds_read_u16 v29, v140 offset:272
	ds_read_u16 v75, v234 offset:544
	ds_read_u16 v82, v141 offset:8704
	v_mfma_f32_16x16x16_f16 v[78:81], v[22:23], v[8:9], v[78:81]
	s_nop 6
	v_cvt_f16_f32_e32 v22, v80
	v_cvt_f16_f32_e32 v23, v81
	v_cvt_f16_f32_e32 v17, v78
	v_cvt_f16_f32_e32 v20, v79
	v_cvt_f32_f16_e32 v80, v22
	v_cvt_f32_f16_e32 v81, v23
	s_waitcnt lgkmcnt(0)
	v_perm_b32 v23, v82, v75, s64
	v_perm_b32 v22, v29, v28, s64
	v_cvt_f32_f16_e32 v78, v17
	v_cvt_f32_f16_e32 v79, v20
	;; [unrolled: 38-line block ×3, first 2 shown]
	s_nop 1
	v_mfma_f32_16x16x16_f16 v[78:81], v[22:23], v[6:7], v[78:81]
	s_nop 6
	v_cvt_f16_f32_e32 v19, v78
	v_cvt_f16_f32_e32 v22, v79
	;; [unrolled: 1-line block ×4, first 2 shown]
	v_cvt_f32_f16_e32 v78, v26
	v_pack_b32_f16 v22, v19, v22
	v_cvt_f32_f16_sdwa v79, v26 dst_sel:DWORD dst_unused:UNUSED_PAD src0_sel:WORD_1
	v_pack_b32_f16 v19, v23, v27
	ds_read_u16 v23, v124 offset:224
	ds_read_u16 v28, v237 offset:272
	;; [unrolled: 1-line block ×4, first 2 shown]
	v_cvt_f32_f16_e32 v80, v25
	v_cvt_f32_f16_sdwa v81, v25 dst_sel:DWORD dst_unused:UNUSED_PAD src0_sel:WORD_1
	s_waitcnt lgkmcnt(2)
	v_perm_b32 v26, v28, v23, s64
	s_waitcnt lgkmcnt(0)
	v_perm_b32 v27, v29, v27, s64
	s_nop 1
	v_mfma_f32_16x16x16_f16 v[26:29], v[26:27], v[8:9], v[78:81]
	ds_read_u16 v75, v145 offset:8704
	s_nop 1
	ds_read_u16 v78, v146 offset:272
	ds_read_u16 v79, v238 offset:544
	;; [unrolled: 1-line block ×3, first 2 shown]
	s_waitcnt lgkmcnt(0)
	s_barrier
	v_cvt_f16_f32_e32 v8, v26
	v_cvt_f16_f32_e32 v9, v27
	;; [unrolled: 1-line block ×4, first 2 shown]
	v_cvt_f32_f16_e32 v26, v8
	v_cvt_f32_f16_e32 v27, v9
	v_perm_b32 v9, v80, v79, s64
	v_perm_b32 v8, v78, v75, s64
	v_cvt_f32_f16_e32 v28, v23
	v_cvt_f32_f16_e32 v29, v25
	s_nop 1
	v_mfma_f32_16x16x16_f16 v[6:9], v[8:9], v[6:7], v[26:29]
	s_nop 6
	v_cvt_f16_f32_e32 v6, v6
	v_cvt_f16_f32_e32 v7, v7
	;; [unrolled: 1-line block ×4, first 2 shown]
	v_pack_b32_f16 v6, v6, v7
	v_pack_b32_f16 v7, v8, v9
	ds_bpermute_b32 v8, v15, v24
	s_waitcnt lgkmcnt(0)
	v_add_f32_e32 v8, v24, v8
	ds_bpermute_b32 v9, v21, v8
	s_waitcnt lgkmcnt(0)
	v_add_f32_e32 v15, v8, v9
	s_and_saveexec_b64 s[38:39], s[36:37]
	s_xor_b64 s[36:37], exec, s[38:39]
	s_or_saveexec_b64 s[36:37], s[36:37]
	s_mov_b32 s98, s55
	s_xor_b64 exec, exec, s[36:37]
	s_cbranch_execz .LBB24_80
; %bb.79:                               ;   in Loop: Header=BB24_12 Depth=1
	global_load_dword v9, v2, s[90:91]
	v_max_f32_e32 v23, v14, v14
	s_waitcnt vmcnt(0)
	v_max_f32_e32 v8, v9, v9
	v_max_f32_e32 v8, v23, v8
	v_sub_f32_e32 v14, v14, v8
	v_mul_f32_e32 v23, 0x3fb8aa3b, v14
	v_fma_f32 v24, v14, s89, -v23
	v_rndne_f32_e32 v25, v23
	v_fmac_f32_e32 v24, 0x32a5705f, v14
	v_sub_f32_e32 v23, v23, v25
	v_add_f32_e32 v23, v23, v24
	v_exp_f32_e32 v23, v23
	v_cvt_i32_f32_e32 v24, v25
	v_cmp_ngt_f32_e32 vcc, s96, v14
	v_sub_f32_e32 v9, v9, v8
	v_ldexp_f32 v23, v23, v24
	v_cndmask_b32_e32 v23, 0, v23, vcc
	v_cmp_nlt_f32_e32 vcc, s81, v14
	s_nop 1
	v_cndmask_b32_e32 v23, v246, v23, vcc
	v_cmp_le_f32_e32 vcc, s97, v14
	s_nop 1
	v_cndmask_b32_e32 v14, 0, v23, vcc
	v_cvt_f16_f32_e32 v23, v14
	v_cmp_ngt_f32_e32 vcc, s96, v9
	v_pk_mul_f16 v4, v23, v4 op_sel_hi:[0,1]
	v_pk_mul_f16 v1, v23, v1 op_sel_hi:[0,1]
	;; [unrolled: 1-line block ×16, first 2 shown]
	v_mul_f32_e32 v23, 0x3fb8aa3b, v9
	v_fma_f32 v24, v9, s89, -v23
	v_rndne_f32_e32 v25, v23
	v_fmac_f32_e32 v24, 0x32a5705f, v9
	v_sub_f32_e32 v23, v23, v25
	v_add_f32_e32 v23, v23, v24
	v_exp_f32_e32 v23, v23
	v_cvt_i32_f32_e32 v24, v25
	v_ldexp_f32 v23, v23, v24
	v_cndmask_b32_e32 v23, 0, v23, vcc
	v_cmp_nlt_f32_e32 vcc, s81, v9
	s_nop 1
	v_cndmask_b32_e32 v9, v246, v23, vcc
	v_fmac_f32_e32 v9, v15, v14
	v_mov_b64_e32 v[14:15], v[8:9]
.LBB24_80:                              ;   in Loop: Header=BB24_12 Depth=1
	s_or_b64 exec, exec, s[36:37]
	s_mov_b64 s[36:37], exec
	v_readlane_b32 s38, v255, 5
	v_readlane_b32 s39, v255, 6
	s_and_b64 s[38:39], s[36:37], s[38:39]
	s_mov_b64 exec, s[38:39]
	s_cbranch_execz .LBB24_82
; %bb.81:                               ;   in Loop: Header=BB24_12 Depth=1
	v_add_u32_e32 v8, 0, v173
	ds_write2_b32 v8, v14, v15 offset0:64 offset1:65
.LBB24_82:                              ;   in Loop: Header=BB24_12 Depth=1
	s_or_b64 exec, exec, s[36:37]
	s_waitcnt lgkmcnt(0)
	s_barrier
	s_mov_b64 s[36:37], exec
	v_readlane_b32 s38, v255, 3
	v_readlane_b32 s39, v255, 4
	s_and_b64 s[38:39], s[36:37], s[38:39]
	s_xor_b64 s[36:37], s[38:39], s[36:37]
	s_mov_b64 exec, s[38:39]
	s_cbranch_execz .LBB24_84
; %bb.83:                               ;   in Loop: Header=BB24_12 Depth=1
	s_barrier
	s_waitcnt lgkmcnt(0)
                                        ; implicit-def: $vgpr21
.LBB24_84:                              ;   in Loop: Header=BB24_12 Depth=1
	s_andn2_saveexec_b64 s[36:37], s[36:37]
	s_cbranch_execz .LBB24_90
; %bb.85:                               ;   in Loop: Header=BB24_12 Depth=1
	v_add_u32_e32 v9, 0, v174
	ds_read_b64 v[24:25], v9 offset:256
	s_waitcnt lgkmcnt(0)
	s_barrier
	ds_bpermute_b32 v8, v21, v24
	v_max_f32_e32 v14, v24, v24
	s_waitcnt lgkmcnt(0)
	v_max_f32_e32 v8, v8, v8
	v_max_f32_e32 v8, v14, v8
	v_sub_f32_e32 v14, v24, v8
	v_mul_f32_e32 v15, 0x3fb8aa3b, v14
	v_fma_f32 v23, v14, s89, -v15
	v_rndne_f32_e32 v24, v15
	v_fmac_f32_e32 v23, 0x32a5705f, v14
	v_sub_f32_e32 v15, v15, v24
	v_add_f32_e32 v15, v15, v23
	v_cvt_i32_f32_e32 v24, v24
	v_exp_f32_e32 v15, v15
	v_cmp_ngt_f32_e32 vcc, s96, v14
	v_ldexp_f32 v15, v15, v24
	s_nop 0
	v_cndmask_b32_e32 v15, 0, v15, vcc
	v_cmp_nlt_f32_e32 vcc, s81, v14
	s_nop 1
	v_cndmask_b32_e32 v14, v246, v15, vcc
	v_mul_f32_e32 v15, v25, v14
	ds_bpermute_b32 v15, v21, v15
	s_waitcnt lgkmcnt(0)
	v_fmac_f32_e32 v15, v25, v14
	s_mov_b64 s[38:39], exec
	v_readlane_b32 s40, v255, 7
	v_readlane_b32 s41, v255, 8
	s_and_b64 s[40:41], s[38:39], s[40:41]
	s_mov_b64 exec, s[40:41]
	s_cbranch_execz .LBB24_87
; %bb.86:                               ;   in Loop: Header=BB24_12 Depth=1
	ds_write_b64 v9, v[14:15] offset:256
.LBB24_87:                              ;   in Loop: Header=BB24_12 Depth=1
	s_or_b64 exec, exec, s[38:39]
	s_mov_b64 s[38:39], exec
	v_readlane_b32 s40, v255, 5
	v_readlane_b32 s41, v255, 6
	s_and_b64 s[40:41], s[38:39], s[40:41]
	s_mov_b64 exec, s[40:41]
	s_cbranch_execz .LBB24_89
; %bb.88:                               ;   in Loop: Header=BB24_12 Depth=1
	v_mov_b32_e32 v9, v15
	global_store_dwordx2 v[54:55], v[8:9], off
.LBB24_89:                              ;   in Loop: Header=BB24_12 Depth=1
	s_or_b64 exec, exec, s[38:39]
.LBB24_90:                              ;   in Loop: Header=BB24_12 Depth=1
	s_or_b64 exec, exec, s[36:37]
	ds_write2_b32 v175, v4, v1 offset1:1
	ds_write2_b32 v175, v10, v3 offset0:8 offset1:9
	ds_write2_b32 v175, v12, v5 offset0:16 offset1:17
	;; [unrolled: 1-line block ×7, first 2 shown]
	s_waitcnt lgkmcnt(0)
	s_barrier
	s_mov_b64 s[36:37], exec
	v_readlane_b32 s38, v255, 1
	v_readlane_b32 s39, v255, 2
	s_and_b64 s[38:39], s[36:37], s[38:39]
	s_mov_b64 exec, s[38:39]
	s_cbranch_execz .LBB24_168
; %bb.91:                               ;   in Loop: Header=BB24_12 Depth=1
	v_add_u32_e32 v1, s74, v148
	v_cmp_gt_i32_e32 vcc, s80, v1
	v_mov_b32_e32 v3, 0x47
	s_and_saveexec_b64 s[38:39], vcc
	s_cbranch_execz .LBB24_93
; %bb.92:                               ;   in Loop: Header=BB24_12 Depth=1
	v_add_u32_e32 v3, 0, v178
	ds_read2st64_b32 v[4:5], v3 offset0:1 offset1:18
	ds_read2st64_b32 v[6:7], v179 offset1:17
	v_readlane_b32 s40, v254, 56
	v_mov_b32_e32 v3, 0
	s_waitcnt lgkmcnt(0)
	v_cvt_f32_f16_sdwa v11, v6 dst_sel:DWORD dst_unused:UNUSED_PAD src0_sel:WORD_1
	v_cvt_f32_f16_e32 v10, v6
	v_cvt_f32_f16_sdwa v13, v7 dst_sel:DWORD dst_unused:UNUSED_PAD src0_sel:WORD_1
	v_cvt_f32_f16_e32 v12, v7
	v_mad_u64_u32 v[8:9], s[40:41], s40, v1, v[32:33]
	v_ashrrev_i32_e32 v9, 31, v8
	v_pk_fma_f32 v[10:11], v[4:5], v[10:11], 0 op_sel_hi:[0,1,0]
	v_mov_b32_e32 v4, v5
	v_lshl_add_u64 v[8:9], v[8:9], 3, s[62:63]
	v_pk_fma_f32 v[4:5], v[4:5], v[12:13], v[10:11] op_sel_hi:[0,1,1]
	global_store_dwordx2 v[8:9], v[4:5], off
.LBB24_93:                              ;   in Loop: Header=BB24_12 Depth=1
	s_or_b64 exec, exec, s[38:39]
	s_movk_i32 s38, 0x47
	v_cmp_gt_i32_e32 vcc, s38, v3
	s_mov_b64 s[38:39], -1
	s_and_saveexec_b64 s[40:41], vcc
; %bb.94:                               ;   in Loop: Header=BB24_12 Depth=1
	v_cmp_eq_u32_e32 vcc, 0, v3
	s_orn2_b64 s[38:39], vcc, exec
; %bb.95:                               ;   in Loop: Header=BB24_12 Depth=1
	s_or_b64 exec, exec, s[40:41]
	s_and_b64 exec, exec, s[38:39]
	s_cbranch_execz .LBB24_168
; %bb.96:                               ;   in Loop: Header=BB24_12 Depth=1
	v_add_u32_e32 v1, s74, v149
	v_cmp_gt_i32_e32 vcc, s80, v1
	v_mov_b32_e32 v3, 0x47
	s_and_saveexec_b64 s[38:39], vcc
	s_cbranch_execz .LBB24_98
; %bb.97:                               ;   in Loop: Header=BB24_12 Depth=1
	v_add_u32_e32 v3, 0, v180
	ds_read2st64_b32 v[4:5], v3 offset0:1 offset1:18
	ds_read2st64_b32 v[6:7], v181 offset1:17
	v_readlane_b32 s40, v254, 56
	v_mov_b32_e32 v3, 0
	s_waitcnt lgkmcnt(0)
	v_cvt_f32_f16_sdwa v11, v6 dst_sel:DWORD dst_unused:UNUSED_PAD src0_sel:WORD_1
	v_cvt_f32_f16_e32 v10, v6
	v_cvt_f32_f16_sdwa v13, v7 dst_sel:DWORD dst_unused:UNUSED_PAD src0_sel:WORD_1
	v_cvt_f32_f16_e32 v12, v7
	v_mad_u64_u32 v[8:9], s[40:41], s40, v1, v[32:33]
	v_ashrrev_i32_e32 v9, 31, v8
	v_pk_fma_f32 v[10:11], v[4:5], v[10:11], 0 op_sel_hi:[0,1,0]
	v_mov_b32_e32 v4, v5
	v_lshl_add_u64 v[8:9], v[8:9], 3, s[62:63]
	v_pk_fma_f32 v[4:5], v[4:5], v[12:13], v[10:11] op_sel_hi:[0,1,1]
	global_store_dwordx2 v[8:9], v[4:5], off
.LBB24_98:                              ;   in Loop: Header=BB24_12 Depth=1
	s_or_b64 exec, exec, s[38:39]
	s_movk_i32 s38, 0x47
	v_cmp_gt_i32_e32 vcc, s38, v3
	s_mov_b64 s[38:39], -1
	s_and_saveexec_b64 s[40:41], vcc
; %bb.99:                               ;   in Loop: Header=BB24_12 Depth=1
	v_cmp_eq_u32_e32 vcc, 0, v3
	s_orn2_b64 s[38:39], vcc, exec
; %bb.100:                              ;   in Loop: Header=BB24_12 Depth=1
	s_or_b64 exec, exec, s[40:41]
	s_and_b64 exec, exec, s[38:39]
	s_cbranch_execz .LBB24_168
; %bb.101:                              ;   in Loop: Header=BB24_12 Depth=1
	v_add_u32_e32 v1, s74, v150
	v_cmp_gt_i32_e32 vcc, s80, v1
	v_mov_b32_e32 v3, 0x47
	s_and_saveexec_b64 s[38:39], vcc
	s_cbranch_execz .LBB24_103
; %bb.102:                              ;   in Loop: Header=BB24_12 Depth=1
	v_add_u32_e32 v3, 0, v182
	ds_read2st64_b32 v[4:5], v3 offset0:1 offset1:18
	ds_read2st64_b32 v[6:7], v183 offset1:17
	v_readlane_b32 s40, v254, 56
	v_mov_b32_e32 v3, 0
	s_waitcnt lgkmcnt(0)
	v_cvt_f32_f16_sdwa v11, v6 dst_sel:DWORD dst_unused:UNUSED_PAD src0_sel:WORD_1
	v_cvt_f32_f16_e32 v10, v6
	v_cvt_f32_f16_sdwa v13, v7 dst_sel:DWORD dst_unused:UNUSED_PAD src0_sel:WORD_1
	v_cvt_f32_f16_e32 v12, v7
	v_mad_u64_u32 v[8:9], s[40:41], s40, v1, v[32:33]
	v_ashrrev_i32_e32 v9, 31, v8
	v_pk_fma_f32 v[10:11], v[4:5], v[10:11], 0 op_sel_hi:[0,1,0]
	v_mov_b32_e32 v4, v5
	v_lshl_add_u64 v[8:9], v[8:9], 3, s[62:63]
	v_pk_fma_f32 v[4:5], v[4:5], v[12:13], v[10:11] op_sel_hi:[0,1,1]
	global_store_dwordx2 v[8:9], v[4:5], off
.LBB24_103:                             ;   in Loop: Header=BB24_12 Depth=1
	s_or_b64 exec, exec, s[38:39]
	s_movk_i32 s38, 0x47
	v_cmp_gt_i32_e32 vcc, s38, v3
	s_mov_b64 s[38:39], -1
	s_and_saveexec_b64 s[40:41], vcc
; %bb.104:                              ;   in Loop: Header=BB24_12 Depth=1
	v_cmp_eq_u32_e32 vcc, 0, v3
	s_orn2_b64 s[38:39], vcc, exec
; %bb.105:                              ;   in Loop: Header=BB24_12 Depth=1
	s_or_b64 exec, exec, s[40:41]
	s_and_b64 exec, exec, s[38:39]
	s_cbranch_execz .LBB24_168
; %bb.106:                              ;   in Loop: Header=BB24_12 Depth=1
	v_add_u32_e32 v1, s74, v151
	v_cmp_gt_i32_e32 vcc, s80, v1
	v_mov_b32_e32 v3, 0x47
	s_and_saveexec_b64 s[38:39], vcc
	s_cbranch_execz .LBB24_108
; %bb.107:                              ;   in Loop: Header=BB24_12 Depth=1
	scratch_load_dword v3, off, off offset:16 ; 4-byte Folded Reload
	v_readlane_b32 s40, v254, 56
	s_waitcnt vmcnt(0)
	v_add_u32_e32 v3, 0, v3
	ds_read2st64_b32 v[4:5], v3 offset0:1 offset1:18
	scratch_load_dword v3, off, off offset:20 ; 4-byte Folded Reload
	v_mad_u64_u32 v[8:9], s[40:41], s40, v1, v[32:33]
	v_ashrrev_i32_e32 v9, 31, v8
	v_lshl_add_u64 v[8:9], v[8:9], 3, s[62:63]
	s_waitcnt vmcnt(0)
	ds_read2st64_b32 v[6:7], v3 offset1:17
	v_mov_b32_e32 v3, 0
	s_waitcnt lgkmcnt(0)
	v_cvt_f32_f16_sdwa v11, v6 dst_sel:DWORD dst_unused:UNUSED_PAD src0_sel:WORD_1
	v_cvt_f32_f16_e32 v10, v6
	v_cvt_f32_f16_sdwa v13, v7 dst_sel:DWORD dst_unused:UNUSED_PAD src0_sel:WORD_1
	v_cvt_f32_f16_e32 v12, v7
	v_pk_fma_f32 v[10:11], v[4:5], v[10:11], 0 op_sel_hi:[0,1,0]
	v_mov_b32_e32 v4, v5
	v_pk_fma_f32 v[4:5], v[4:5], v[12:13], v[10:11] op_sel_hi:[0,1,1]
	global_store_dwordx2 v[8:9], v[4:5], off
.LBB24_108:                             ;   in Loop: Header=BB24_12 Depth=1
	s_or_b64 exec, exec, s[38:39]
	s_movk_i32 s38, 0x47
	v_cmp_gt_i32_e32 vcc, s38, v3
	s_mov_b64 s[38:39], -1
	s_and_saveexec_b64 s[40:41], vcc
; %bb.109:                              ;   in Loop: Header=BB24_12 Depth=1
	v_cmp_eq_u32_e32 vcc, 0, v3
	s_orn2_b64 s[38:39], vcc, exec
; %bb.110:                              ;   in Loop: Header=BB24_12 Depth=1
	s_or_b64 exec, exec, s[40:41]
	s_and_b64 exec, exec, s[38:39]
	s_cbranch_execz .LBB24_168
; %bb.111:                              ;   in Loop: Header=BB24_12 Depth=1
	v_add_u32_e32 v1, s74, v152
	v_cmp_gt_i32_e32 vcc, s80, v1
	v_mov_b32_e32 v3, 0x47
	s_and_saveexec_b64 s[38:39], vcc
	s_cbranch_execz .LBB24_113
; %bb.112:                              ;   in Loop: Header=BB24_12 Depth=1
	scratch_load_dword v3, off, off offset:24 ; 4-byte Folded Reload
	v_readlane_b32 s40, v254, 56
	s_waitcnt vmcnt(0)
	v_add_u32_e32 v3, 0, v3
	ds_read2st64_b32 v[4:5], v3 offset0:1 offset1:18
	scratch_load_dword v3, off, off offset:28 ; 4-byte Folded Reload
	v_mad_u64_u32 v[8:9], s[40:41], s40, v1, v[32:33]
	v_ashrrev_i32_e32 v9, 31, v8
	v_lshl_add_u64 v[8:9], v[8:9], 3, s[62:63]
	s_waitcnt vmcnt(0)
	ds_read2st64_b32 v[6:7], v3 offset1:17
	v_mov_b32_e32 v3, 0
	s_waitcnt lgkmcnt(0)
	v_cvt_f32_f16_sdwa v11, v6 dst_sel:DWORD dst_unused:UNUSED_PAD src0_sel:WORD_1
	v_cvt_f32_f16_e32 v10, v6
	v_cvt_f32_f16_sdwa v13, v7 dst_sel:DWORD dst_unused:UNUSED_PAD src0_sel:WORD_1
	v_cvt_f32_f16_e32 v12, v7
	v_pk_fma_f32 v[10:11], v[4:5], v[10:11], 0 op_sel_hi:[0,1,0]
	v_mov_b32_e32 v4, v5
	v_pk_fma_f32 v[4:5], v[4:5], v[12:13], v[10:11] op_sel_hi:[0,1,1]
	global_store_dwordx2 v[8:9], v[4:5], off
.LBB24_113:                             ;   in Loop: Header=BB24_12 Depth=1
	;; [unrolled: 41-line block ×5, first 2 shown]
	s_or_b64 exec, exec, s[38:39]
	s_movk_i32 s38, 0x47
	v_cmp_gt_i32_e32 vcc, s38, v3
	s_mov_b64 s[38:39], -1
	s_and_saveexec_b64 s[40:41], vcc
; %bb.129:                              ;   in Loop: Header=BB24_12 Depth=1
	v_cmp_eq_u32_e32 vcc, 0, v3
	s_orn2_b64 s[38:39], vcc, exec
; %bb.130:                              ;   in Loop: Header=BB24_12 Depth=1
	s_or_b64 exec, exec, s[40:41]
	s_and_b64 exec, exec, s[38:39]
	s_cbranch_execz .LBB24_168
; %bb.131:                              ;   in Loop: Header=BB24_12 Depth=1
	v_add_u32_e32 v1, 16, v148
	v_add_u32_e32 v1, s74, v1
	v_cmp_gt_i32_e32 vcc, s80, v1
	v_mov_b32_e32 v3, 0x47
	s_and_saveexec_b64 s[38:39], vcc
	s_cbranch_execz .LBB24_133
; %bb.132:                              ;   in Loop: Header=BB24_12 Depth=1
	scratch_load_dword v3, off, off offset:56 ; 4-byte Folded Reload
	v_readlane_b32 s40, v254, 56
	s_waitcnt vmcnt(0)
	v_add_u32_e32 v3, 0, v3
	ds_read2st64_b32 v[4:5], v3 offset0:1 offset1:18
	scratch_load_dword v3, off, off offset:60 ; 4-byte Folded Reload
	v_mad_u64_u32 v[8:9], s[40:41], s40, v1, v[32:33]
	v_ashrrev_i32_e32 v9, 31, v8
	v_lshl_add_u64 v[8:9], v[8:9], 3, s[62:63]
	s_waitcnt vmcnt(0)
	ds_read2st64_b32 v[6:7], v3 offset1:17
	v_mov_b32_e32 v3, 0
	s_waitcnt lgkmcnt(0)
	v_cvt_f32_f16_sdwa v11, v6 dst_sel:DWORD dst_unused:UNUSED_PAD src0_sel:WORD_1
	v_cvt_f32_f16_e32 v10, v6
	v_cvt_f32_f16_sdwa v13, v7 dst_sel:DWORD dst_unused:UNUSED_PAD src0_sel:WORD_1
	v_cvt_f32_f16_e32 v12, v7
	v_pk_fma_f32 v[10:11], v[4:5], v[10:11], 0 op_sel_hi:[0,1,0]
	v_mov_b32_e32 v4, v5
	v_pk_fma_f32 v[4:5], v[4:5], v[12:13], v[10:11] op_sel_hi:[0,1,1]
	global_store_dwordx2 v[8:9], v[4:5], off
.LBB24_133:                             ;   in Loop: Header=BB24_12 Depth=1
	s_or_b64 exec, exec, s[38:39]
	s_movk_i32 s38, 0x47
	v_cmp_gt_i32_e32 vcc, s38, v3
	s_mov_b64 s[38:39], -1
	s_and_saveexec_b64 s[40:41], vcc
; %bb.134:                              ;   in Loop: Header=BB24_12 Depth=1
	v_cmp_eq_u32_e32 vcc, 0, v3
	s_orn2_b64 s[38:39], vcc, exec
; %bb.135:                              ;   in Loop: Header=BB24_12 Depth=1
	s_or_b64 exec, exec, s[40:41]
	s_and_b64 exec, exec, s[38:39]
	s_cbranch_execz .LBB24_168
; %bb.136:                              ;   in Loop: Header=BB24_12 Depth=1
	v_add_u32_e32 v1, s74, v156
	v_cmp_gt_i32_e32 vcc, s80, v1
	v_mov_b32_e32 v3, 0x47
	s_and_saveexec_b64 s[38:39], vcc
	s_cbranch_execz .LBB24_138
; %bb.137:                              ;   in Loop: Header=BB24_12 Depth=1
	scratch_load_dword v3, off, off offset:64 ; 4-byte Folded Reload
	v_readlane_b32 s40, v254, 56
	s_waitcnt vmcnt(0)
	v_add_u32_e32 v3, 0, v3
	ds_read2st64_b32 v[4:5], v3 offset0:1 offset1:18
	scratch_load_dword v3, off, off offset:68 ; 4-byte Folded Reload
	v_mad_u64_u32 v[8:9], s[40:41], s40, v1, v[32:33]
	v_ashrrev_i32_e32 v9, 31, v8
	v_lshl_add_u64 v[8:9], v[8:9], 3, s[62:63]
	s_waitcnt vmcnt(0)
	ds_read2st64_b32 v[6:7], v3 offset1:17
	v_mov_b32_e32 v3, 0
	s_waitcnt lgkmcnt(0)
	v_cvt_f32_f16_sdwa v11, v6 dst_sel:DWORD dst_unused:UNUSED_PAD src0_sel:WORD_1
	v_cvt_f32_f16_e32 v10, v6
	v_cvt_f32_f16_sdwa v13, v7 dst_sel:DWORD dst_unused:UNUSED_PAD src0_sel:WORD_1
	v_cvt_f32_f16_e32 v12, v7
	v_pk_fma_f32 v[10:11], v[4:5], v[10:11], 0 op_sel_hi:[0,1,0]
	v_mov_b32_e32 v4, v5
	v_pk_fma_f32 v[4:5], v[4:5], v[12:13], v[10:11] op_sel_hi:[0,1,1]
	global_store_dwordx2 v[8:9], v[4:5], off
.LBB24_138:                             ;   in Loop: Header=BB24_12 Depth=1
	s_or_b64 exec, exec, s[38:39]
	s_movk_i32 s38, 0x47
	v_cmp_gt_i32_e32 vcc, s38, v3
	s_mov_b64 s[38:39], -1
	s_and_saveexec_b64 s[40:41], vcc
; %bb.139:                              ;   in Loop: Header=BB24_12 Depth=1
	v_cmp_eq_u32_e32 vcc, 0, v3
	s_orn2_b64 s[38:39], vcc, exec
; %bb.140:                              ;   in Loop: Header=BB24_12 Depth=1
	s_or_b64 exec, exec, s[40:41]
	s_and_b64 exec, exec, s[38:39]
	s_cbranch_execz .LBB24_168
; %bb.141:                              ;   in Loop: Header=BB24_12 Depth=1
	;; [unrolled: 41-line block ×4, first 2 shown]
	v_add_u32_e32 v1, 24, v148
	v_add_u32_e32 v1, s74, v1
	v_cmp_gt_i32_e32 vcc, s80, v1
	v_mov_b32_e32 v3, 0x47
	s_and_saveexec_b64 s[38:39], vcc
	s_cbranch_execz .LBB24_153
; %bb.152:                              ;   in Loop: Header=BB24_12 Depth=1
	scratch_load_dword v3, off, off offset:88 ; 4-byte Folded Reload
	v_readlane_b32 s40, v254, 56
	s_waitcnt vmcnt(0)
	v_add_u32_e32 v3, 0, v3
	ds_read2st64_b32 v[4:5], v3 offset0:1 offset1:18
	scratch_load_dword v3, off, off offset:92 ; 4-byte Folded Reload
	v_mad_u64_u32 v[8:9], s[40:41], s40, v1, v[32:33]
	v_ashrrev_i32_e32 v9, 31, v8
	v_lshl_add_u64 v[8:9], v[8:9], 3, s[62:63]
	s_waitcnt vmcnt(0)
	ds_read2st64_b32 v[6:7], v3 offset1:17
	v_mov_b32_e32 v3, 0
	s_waitcnt lgkmcnt(0)
	v_cvt_f32_f16_sdwa v11, v6 dst_sel:DWORD dst_unused:UNUSED_PAD src0_sel:WORD_1
	v_cvt_f32_f16_e32 v10, v6
	v_cvt_f32_f16_sdwa v13, v7 dst_sel:DWORD dst_unused:UNUSED_PAD src0_sel:WORD_1
	v_cvt_f32_f16_e32 v12, v7
	v_pk_fma_f32 v[10:11], v[4:5], v[10:11], 0 op_sel_hi:[0,1,0]
	v_mov_b32_e32 v4, v5
	v_pk_fma_f32 v[4:5], v[4:5], v[12:13], v[10:11] op_sel_hi:[0,1,1]
	global_store_dwordx2 v[8:9], v[4:5], off
.LBB24_153:                             ;   in Loop: Header=BB24_12 Depth=1
	s_or_b64 exec, exec, s[38:39]
	s_movk_i32 s38, 0x47
	v_cmp_gt_i32_e32 vcc, s38, v3
	s_mov_b64 s[38:39], -1
	s_and_saveexec_b64 s[40:41], vcc
; %bb.154:                              ;   in Loop: Header=BB24_12 Depth=1
	v_cmp_eq_u32_e32 vcc, 0, v3
	s_orn2_b64 s[38:39], vcc, exec
; %bb.155:                              ;   in Loop: Header=BB24_12 Depth=1
	s_or_b64 exec, exec, s[40:41]
	s_and_b64 exec, exec, s[38:39]
	s_cbranch_execz .LBB24_168
; %bb.156:                              ;   in Loop: Header=BB24_12 Depth=1
	v_add_u32_e32 v1, 26, v148
	v_add_u32_e32 v1, s74, v1
	v_cmp_gt_i32_e32 vcc, s80, v1
	v_mov_b32_e32 v3, 0x47
	s_and_saveexec_b64 s[38:39], vcc
	s_cbranch_execz .LBB24_158
; %bb.157:                              ;   in Loop: Header=BB24_12 Depth=1
	scratch_load_dword v3, off, off offset:96 ; 4-byte Folded Reload
	v_readlane_b32 s40, v254, 56
	s_waitcnt vmcnt(0)
	v_add_u32_e32 v3, 0, v3
	ds_read2st64_b32 v[4:5], v3 offset0:1 offset1:18
	scratch_load_dword v3, off, off offset:100 ; 4-byte Folded Reload
	v_mad_u64_u32 v[8:9], s[40:41], s40, v1, v[32:33]
	v_ashrrev_i32_e32 v9, 31, v8
	v_lshl_add_u64 v[8:9], v[8:9], 3, s[62:63]
	s_waitcnt vmcnt(0)
	ds_read2st64_b32 v[6:7], v3 offset1:17
	v_mov_b32_e32 v3, 0
	s_waitcnt lgkmcnt(0)
	v_cvt_f32_f16_sdwa v11, v6 dst_sel:DWORD dst_unused:UNUSED_PAD src0_sel:WORD_1
	v_cvt_f32_f16_e32 v10, v6
	v_cvt_f32_f16_sdwa v13, v7 dst_sel:DWORD dst_unused:UNUSED_PAD src0_sel:WORD_1
	v_cvt_f32_f16_e32 v12, v7
	v_pk_fma_f32 v[10:11], v[4:5], v[10:11], 0 op_sel_hi:[0,1,0]
	v_mov_b32_e32 v4, v5
	v_pk_fma_f32 v[4:5], v[4:5], v[12:13], v[10:11] op_sel_hi:[0,1,1]
	global_store_dwordx2 v[8:9], v[4:5], off
.LBB24_158:                             ;   in Loop: Header=BB24_12 Depth=1
	s_or_b64 exec, exec, s[38:39]
	s_movk_i32 s38, 0x47
	v_cmp_gt_i32_e32 vcc, s38, v3
	s_mov_b64 s[38:39], -1
	s_and_saveexec_b64 s[40:41], vcc
; %bb.159:                              ;   in Loop: Header=BB24_12 Depth=1
	v_cmp_eq_u32_e32 vcc, 0, v3
	s_orn2_b64 s[38:39], vcc, exec
; %bb.160:                              ;   in Loop: Header=BB24_12 Depth=1
	s_or_b64 exec, exec, s[40:41]
	s_and_b64 exec, exec, s[38:39]
	s_cbranch_execz .LBB24_168
; %bb.161:                              ;   in Loop: Header=BB24_12 Depth=1
	;; [unrolled: 42-line block ×3, first 2 shown]
	v_add_u32_e32 v1, s74, v162
	v_cmp_gt_i32_e32 vcc, s80, v1
	s_and_b64 exec, exec, vcc
	s_cbranch_execz .LBB24_168
; %bb.167:                              ;   in Loop: Header=BB24_12 Depth=1
	scratch_load_dword v3, off, off offset:112 ; 4-byte Folded Reload
	v_readlane_b32 s38, v254, 56
	s_waitcnt vmcnt(0)
	v_add_u32_e32 v3, 0, v3
	ds_read2st64_b32 v[4:5], v3 offset0:1 offset1:18
	scratch_load_dword v3, off, off offset:116 ; 4-byte Folded Reload
	v_mad_u64_u32 v[8:9], s[38:39], s38, v1, v[32:33]
	v_ashrrev_i32_e32 v9, 31, v8
	v_lshl_add_u64 v[8:9], v[8:9], 3, s[62:63]
	s_waitcnt vmcnt(0)
	ds_read2st64_b32 v[6:7], v3 offset1:17
	s_waitcnt lgkmcnt(0)
	v_cvt_f32_f16_sdwa v11, v6 dst_sel:DWORD dst_unused:UNUSED_PAD src0_sel:WORD_1
	v_cvt_f32_f16_e32 v10, v6
	v_cvt_f32_f16_sdwa v13, v7 dst_sel:DWORD dst_unused:UNUSED_PAD src0_sel:WORD_1
	v_cvt_f32_f16_e32 v12, v7
	v_pk_fma_f32 v[10:11], v[4:5], v[10:11], 0 op_sel_hi:[0,1,0]
	v_mov_b32_e32 v4, v5
	v_pk_fma_f32 v[4:5], v[4:5], v[12:13], v[10:11] op_sel_hi:[0,1,1]
	global_store_dwordx2 v[8:9], v[4:5], off
.LBB24_168:                             ;   in Loop: Header=BB24_12 Depth=1
	s_or_b64 exec, exec, s[36:37]
	s_barrier
	s_branch .LBB24_11
.LBB24_169:                             ;   in Loop: Header=BB24_12 Depth=1
	s_lshl_b32 s56, s73, 5
	v_add_u32_e32 v250, s56, v35
	v_cmp_le_i32_e32 vcc, s80, v250
	s_and_saveexec_b64 s[36:37], vcc
	s_xor_b64 s[36:37], exec, s[36:37]
	s_cbranch_execz .LBB24_171
; %bb.170:                              ;   in Loop: Header=BB24_12 Depth=1
	ds_write_b32 v176, v2
.LBB24_171:                             ;   in Loop: Header=BB24_12 Depth=1
	s_andn2_saveexec_b64 s[36:37], s[36:37]
	s_cbranch_execz .LBB24_173
; %bb.172:                              ;   in Loop: Header=BB24_12 Depth=1
	v_mad_u64_u32 v[4:5], s[38:39], v250, s98, v[32:33]
	v_ashrrev_i32_e32 v5, 31, v4
	v_lshl_add_u64 v[4:5], v[4:5], 3, s[86:87]
	global_load_dwordx2 v[4:5], v[4:5], off
	s_waitcnt vmcnt(0)
	v_cvt_f16_f32_e32 v1, v4
	v_cvt_f16_f32_e32 v3, v5
	v_pack_b32_f16 v1, v1, v3
	v_pk_mul_f16 v1, v31, v1
	ds_write_b32 v176, v1
.LBB24_173:                             ;   in Loop: Header=BB24_12 Depth=1
	s_or_b64 exec, exec, s[36:37]
	v_add_u32_e32 v252, s56, v120
	v_cmp_le_i32_e32 vcc, s80, v252
	s_and_saveexec_b64 s[36:37], vcc
	s_xor_b64 s[36:37], exec, s[36:37]
	s_cbranch_execz .LBB24_175
; %bb.174:                              ;   in Loop: Header=BB24_12 Depth=1
	ds_write_b32 v176, v2 offset:1088
.LBB24_175:                             ;   in Loop: Header=BB24_12 Depth=1
	s_andn2_saveexec_b64 s[36:37], s[36:37]
	s_cbranch_execz .LBB24_177
; %bb.176:                              ;   in Loop: Header=BB24_12 Depth=1
	v_mad_u64_u32 v[4:5], s[38:39], v252, s98, v[32:33]
	v_ashrrev_i32_e32 v5, 31, v4
	v_lshl_add_u64 v[4:5], v[4:5], 3, s[86:87]
	global_load_dwordx2 v[4:5], v[4:5], off
	s_waitcnt vmcnt(0)
	v_cvt_f16_f32_e32 v1, v4
	v_cvt_f16_f32_e32 v3, v5
	v_pack_b32_f16 v1, v1, v3
	v_pk_mul_f16 v1, v31, v1
	ds_write_b32 v176, v1 offset:1088
.LBB24_177:                             ;   in Loop: Header=BB24_12 Depth=1
	s_or_b64 exec, exec, s[36:37]
	v_add_u32_e32 v209, s56, v119
	v_cmp_le_i32_e32 vcc, s80, v209
	s_and_saveexec_b64 s[36:37], vcc
	s_xor_b64 s[36:37], exec, s[36:37]
	s_cbranch_execz .LBB24_179
; %bb.178:                              ;   in Loop: Header=BB24_12 Depth=1
	ds_write_b32 v176, v2 offset:2176
.LBB24_179:                             ;   in Loop: Header=BB24_12 Depth=1
	s_andn2_saveexec_b64 s[36:37], s[36:37]
	s_cbranch_execz .LBB24_181
; %bb.180:                              ;   in Loop: Header=BB24_12 Depth=1
	v_mad_u64_u32 v[4:5], s[38:39], v209, s98, v[32:33]
	v_ashrrev_i32_e32 v5, 31, v4
	v_lshl_add_u64 v[4:5], v[4:5], 3, s[86:87]
	global_load_dwordx2 v[4:5], v[4:5], off
	s_waitcnt vmcnt(0)
	v_cvt_f16_f32_e32 v1, v4
	v_cvt_f16_f32_e32 v3, v5
	v_pack_b32_f16 v1, v1, v3
	v_pk_mul_f16 v1, v31, v1
	ds_write_b32 v176, v1 offset:2176
.LBB24_181:                             ;   in Loop: Header=BB24_12 Depth=1
	;; [unrolled: 23-line block ×7, first 2 shown]
	s_or_b64 exec, exec, s[36:37]
	s_waitcnt lgkmcnt(0)
	s_barrier
	ds_read2_b64 v[18:21], v167 offset1:4
	ds_read2_b64 v[14:17], v167 offset0:8 offset1:12
	ds_read2_b64 v[10:13], v167 offset0:16 offset1:20
	ds_read2_b64 v[6:9], v167 offset0:24 offset1:28
	v_cmp_gt_i32_e32 vcc, 2, v100
	s_and_b64 vcc, exec, vcc
	v_mov_b32_e32 v202, 0
	v_cmp_ne_u64_e64 s[36:37], 0, v[76:77]
	s_waitcnt lgkmcnt(0)
	s_barrier
	s_cbranch_vccnz .LBB24_212
; %bb.202:                              ;   in Loop: Header=BB24_12 Depth=1
	v_and_b32_e32 v27, 64, v210
	v_add_u32_e32 v27, 64, v27
	v_xor_b32_e32 v28, 32, v210
	s_add_u32 s38, s66, s67
	v_mul_hi_u32 v3, s94, v250
	v_mul_hi_u32 v4, s94, v252
	;; [unrolled: 1-line block ×8, first 2 shown]
	v_cmp_lt_i32_e32 vcc, v28, v27
	s_addc_u32 s39, s34, s68
	v_add_u32_e32 v3, v250, v3
	v_add_u32_e32 v4, v252, v4
	;; [unrolled: 1-line block ×8, first 2 shown]
	v_cndmask_b32_e32 v28, v210, v28, vcc
	v_lshl_add_u64 v[80:81], v[58:59], 0, s[38:39]
	v_lshl_add_u64 v[82:83], v[60:61], 0, s[38:39]
	;; [unrolled: 1-line block ×4, first 2 shown]
	s_add_u32 s38, s70, s71
	v_lshrrev_b32_e32 v3, s95, v3
	v_lshrrev_b32_e32 v4, s95, v4
	;; [unrolled: 1-line block ×8, first 2 shown]
	v_lshlrev_b32_e32 v207, 2, v28
	v_xor_b32_e32 v28, 16, v210
	s_addc_u32 s39, s69, s72
	v_mul_lo_u32 v3, v3, s80
	v_mul_lo_u32 v4, v4, s80
	;; [unrolled: 1-line block ×8, first 2 shown]
	v_cmp_lt_i32_e32 vcc, v28, v27
	v_lshl_add_u64 v[88:89], v[66:67], 0, s[38:39]
	v_lshl_add_u64 v[90:91], v[68:69], 0, s[38:39]
	;; [unrolled: 1-line block ×4, first 2 shown]
	v_readlane_b32 s38, v255, 9
	v_add_u32_e32 v205, -1, v100
	v_sub_u32_e32 v3, v250, v3
	v_sub_u32_e32 v4, v252, v4
	;; [unrolled: 1-line block ×8, first 2 shown]
	v_cndmask_b32_e32 v27, v210, v28, vcc
	v_readlane_b32 s39, v255, 10
	s_mov_b32 s34, s38
	v_mov_b32_e32 v188, 0
	v_lshlrev_b32_e32 v204, 2, v27
	v_mov_b32_e32 v78, v74
	v_mov_b32_e32 v79, v74
	v_mad_i64_i32 v[96:97], s[38:39], s34, v22, v[76:77]
	v_mad_i64_i32 v[98:99], s[38:39], s34, v5, v[76:77]
	;; [unrolled: 1-line block ×8, first 2 shown]
	v_mov_b32_e32 v189, 0
	v_mov_b32_e32 v248, 0xfeffffff
	;; [unrolled: 1-line block ×18, first 2 shown]
	v_cndmask_b32_e64 v3, 0, 1, s[36:37]
	v_cmp_ne_u32_e64 s[38:39], 1, v3
	s_andn2_b64 vcc, exec, s[36:37]
	s_cbranch_vccnz .LBB24_208
.LBB24_203:                             ;   in Loop: Header=BB24_12 Depth=1
                                        ; implicit-def: $sgpr34
	s_and_saveexec_b64 s[40:41], s[0:1]
	s_xor_b64 s[40:41], exec, s[40:41]
	s_cbranch_execz .LBB24_205
; %bb.204:                              ;   in Loop: Header=BB24_12 Depth=1
	ds_write_b16 v164, v2 offset:17408
	ds_write_b16 v211, v2 offset:17408
	;; [unrolled: 1-line block ×4, first 2 shown]
	s_mov_b32 s34, 0
.LBB24_205:                             ;   in Loop: Header=BB24_12 Depth=1
	s_or_saveexec_b64 s[40:41], s[40:41]
	v_mov_b32_e32 v3, s34
	v_mov_b32_e32 v4, s34
	;; [unrolled: 1-line block ×4, first 2 shown]
	s_xor_b64 exec, exec, s[40:41]
	s_cbranch_execz .LBB24_207
; %bb.206:                              ;   in Loop: Header=BB24_12 Depth=1
	v_lshl_add_u64 v[4:5], v[102:103], 0, v[36:37]
	flat_load_ushort v3, v[4:5]
	v_lshl_add_u64 v[4:5], v[100:101], 0, v[36:37]
	flat_load_ushort v22, v[4:5]
	;; [unrolled: 2-line block ×4, first 2 shown]
	s_waitcnt vmcnt(0) lgkmcnt(0)
	ds_write_b16 v164, v3 offset:17408
	ds_write_b16 v211, v22 offset:17408
	;; [unrolled: 1-line block ×4, first 2 shown]
	v_lshl_add_u64 v[4:5], v[110:111], 0, v[36:37]
	flat_load_ushort v3, v[4:5]
	v_lshl_add_u64 v[4:5], v[108:109], 0, v[36:37]
	v_lshl_add_u64 v[22:23], v[106:107], 0, v[36:37]
	flat_load_ushort v4, v[4:5]
	s_nop 0
	flat_load_ushort v5, v[22:23]
	v_lshl_add_u64 v[22:23], v[104:105], 0, v[36:37]
	flat_load_ushort v22, v[22:23]
.LBB24_207:                             ;   in Loop: Header=BB24_12 Depth=1
	s_or_b64 exec, exec, s[40:41]
	s_waitcnt vmcnt(0) lgkmcnt(0)
	ds_write_b16 v214, v3 offset:17408
	ds_write_b16 v215, v4 offset:17408
	;; [unrolled: 1-line block ×4, first 2 shown]
.LBB24_208:                             ;   Parent Loop BB24_12 Depth=1
                                        ; =>  This Inner Loop Header: Depth=2
	v_mov_b32_e32 v3, v2
	v_mov_b32_e32 v4, v2
	;; [unrolled: 1-line block ×3, first 2 shown]
	v_lshl_add_u64 v[22:23], v[88:89], 0, v[56:57]
	v_mov_b32_e32 v26, s93
	v_mov_b32_e32 v27, s92
	scratch_store_dwordx4 off, v[2:5], off
	v_cndmask_b32_e64 v23, v26, v23, s[78:79]
	v_cndmask_b32_e64 v22, v27, v22, s[78:79]
	flat_load_dwordx4 v[22:25], v[22:23]
	v_add_u32_e32 v75, v121, v166
	s_and_b64 vcc, exec, s[38:39]
	s_waitcnt vmcnt(0) lgkmcnt(0)
	ds_write_b128 v123, v[22:25]
	v_lshl_add_u64 v[22:23], v[90:91], 0, v[56:57]
	v_cndmask_b32_e64 v23, v26, v23, s[4:5]
	v_cndmask_b32_e64 v22, v27, v22, s[4:5]
	flat_load_dwordx4 v[22:25], v[22:23]
	s_waitcnt vmcnt(0) lgkmcnt(0)
	ds_write_b128 v219, v[22:25]
	v_lshl_add_u64 v[22:23], v[92:93], 0, v[56:57]
	v_cndmask_b32_e64 v23, v26, v23, s[6:7]
	v_cndmask_b32_e64 v22, v27, v22, s[6:7]
	flat_load_dwordx4 v[22:25], v[22:23]
	s_waitcnt vmcnt(0) lgkmcnt(0)
	ds_write_b128 v221, v[22:25]
	v_lshl_add_u64 v[22:23], v[94:95], 0, v[56:57]
	v_cndmask_b32_e64 v23, v26, v23, s[8:9]
	v_cndmask_b32_e64 v22, v27, v22, s[8:9]
	flat_load_dwordx4 v[22:25], v[22:23]
	s_waitcnt vmcnt(0) lgkmcnt(0)
	ds_write_b128 v223, v[22:25]
	s_waitcnt lgkmcnt(0)
	s_barrier
	ds_read2_b64 v[22:25], v75 offset1:4
	s_waitcnt lgkmcnt(0)
	v_mfma_f32_16x16x16_f16 v[26:29], v[22:23], v[18:19], 0
	v_mfma_f32_16x16x16_f16 v[22:25], v[24:25], v[20:21], v[26:29]
	s_nop 5
	ds_read2_b64 v[26:29], v75 offset0:8 offset1:12
	s_waitcnt lgkmcnt(0)
	v_mfma_f32_16x16x16_f16 v[22:25], v[26:27], v[14:15], v[22:25]
	v_mfma_f32_16x16x16_f16 v[22:25], v[28:29], v[16:17], v[22:25]
	ds_read2_b64 v[26:29], v75 offset0:16 offset1:20
	s_waitcnt lgkmcnt(0)
	v_mfma_f32_16x16x16_f16 v[22:25], v[26:27], v[10:11], v[22:25]
	v_mfma_f32_16x16x16_f16 v[22:25], v[28:29], v[12:13], v[22:25]
	ds_read2_b64 v[26:29], v75 offset0:24 offset1:28
	v_add_u32_e32 v75, 0x2000, v75
	s_waitcnt lgkmcnt(0)
	v_mfma_f32_16x16x16_f16 v[22:25], v[26:27], v[6:7], v[22:25]
	v_mfma_f32_16x16x16_f16 v[22:25], v[28:29], v[8:9], v[22:25]
	ds_read2_b64 v[26:29], v75 offset0:64 offset1:68
	s_waitcnt lgkmcnt(0)
	v_mfma_f32_16x16x16_f16 v[158:161], v[26:27], v[18:19], 0
	v_mfma_f32_16x16x16_f16 v[26:29], v[28:29], v[20:21], v[158:161]
	s_nop 5
	ds_read2_b64 v[158:161], v75 offset0:72 offset1:76
	s_waitcnt lgkmcnt(0)
	v_mfma_f32_16x16x16_f16 v[26:29], v[158:159], v[14:15], v[26:29]
	v_mfma_f32_16x16x16_f16 v[26:29], v[160:161], v[16:17], v[26:29]
	ds_read2_b64 v[158:161], v75 offset0:80 offset1:84
	s_waitcnt lgkmcnt(0)
	v_mfma_f32_16x16x16_f16 v[26:29], v[158:159], v[10:11], v[26:29]
	v_mfma_f32_16x16x16_f16 v[26:29], v[160:161], v[12:13], v[26:29]
	ds_read2_b64 v[158:161], v75 offset0:88 offset1:92
	s_waitcnt lgkmcnt(0)
	s_barrier
	v_mfma_f32_16x16x16_f16 v[26:29], v[158:159], v[6:7], v[26:29]
	v_mfma_f32_16x16x16_f16 v[26:29], v[160:161], v[8:9], v[26:29]
	s_cbranch_vccnz .LBB24_210
; %bb.209:                              ;   in Loop: Header=BB24_208 Depth=2
	v_add_u32_e32 v75, 0x4400, v168
	ds_read2_b32 v[158:159], v75 offset1:1
	v_mov_b32_e32 v75, v74
	s_waitcnt lgkmcnt(0)
	v_cvt_f32_f16_e32 v160, v158
	v_cvt_f32_f16_sdwa v161, v158 dst_sel:DWORD dst_unused:UNUSED_PAD src0_sel:WORD_1
	v_cvt_f32_f16_e32 v158, v159
	v_cvt_f32_f16_sdwa v159, v159 dst_sel:DWORD dst_unused:UNUSED_PAD src0_sel:WORD_1
	v_pk_fma_f32 v[22:23], v[78:79], v[160:161], v[22:23]
	ds_read_b32 v160, v172 offset:17408
	v_pk_fma_f32 v[24:25], v[74:75], v[158:159], v[24:25]
	ds_read_b32 v158, v170 offset:17408
	s_waitcnt lgkmcnt(1)
	v_cvt_f32_f16_sdwa v161, v160 dst_sel:DWORD dst_unused:UNUSED_PAD src0_sel:WORD_1
	v_cvt_f32_f16_e32 v160, v160
	s_waitcnt lgkmcnt(0)
	v_cvt_f32_f16_sdwa v159, v158 dst_sel:DWORD dst_unused:UNUSED_PAD src0_sel:WORD_1
	v_cvt_f32_f16_e32 v158, v158
	v_pk_fma_f32 v[28:29], v[74:75], v[160:161], v[28:29]
	v_pk_fma_f32 v[26:27], v[78:79], v[158:159], v[26:27]
.LBB24_210:                             ;   in Loop: Header=BB24_208 Depth=2
	v_add_f32_e32 v75, 0x40051340, v22
	v_max_f32_e32 v158, v248, v248
	v_max_f32_e32 v75, v158, v75
	v_cndmask_b32_e64 v75, v248, v75, s[10:11]
	v_add_f32_e32 v158, 0x40051340, v23
	v_max_f32_e32 v159, v75, v75
	v_max_f32_e32 v158, v159, v158
	v_cndmask_b32_e64 v75, v75, v158, s[12:13]
	;; [unrolled: 4-line block ×8, first 2 shown]
	ds_bpermute_b32 v158, v207, v75
	v_max_f32_e32 v75, v75, v75
	v_cndmask_b32_e64 v24, v24, v24, s[12:13]
	v_cndmask_b32_e64 v25, v25, v25, s[12:13]
	v_cndmask_b32_e64 v27, v27, v27, s[18:19]
	s_waitcnt lgkmcnt(0)
	v_max_f32_e32 v158, v158, v158
	v_max_f32_e32 v75, v75, v158
	ds_bpermute_b32 v158, v204, v75
	v_cndmask_b32_e64 v28, v28, v28, s[18:19]
	v_cndmask_b32_e64 v29, v29, v29, s[18:19]
	scratch_store_dwordx4 off, v[2:5], off
	v_add_u32_e32 v206, -1, v206
	s_waitcnt lgkmcnt(0)
	v_max_f32_e32 v158, v158, v158
	v_max_f32_e32 v187, v75, v158
	v_sub_f32_e32 v22, v22, v187
	v_mul_f32_e32 v75, 0x3fb8aa3b, v22
	v_fma_f32 v158, v22, s89, -v75
	v_rndne_f32_e32 v159, v75
	v_fmac_f32_e32 v158, 0x32a5705f, v22
	v_sub_f32_e32 v75, v75, v159
	v_add_f32_e32 v75, v75, v158
	v_exp_f32_e32 v75, v75
	v_cvt_i32_f32_e32 v158, v159
	v_cmp_ngt_f32_e32 vcc, s96, v22
	v_sub_f32_e32 v23, v23, v187
	v_sub_f32_e32 v24, v24, v187
	v_ldexp_f32 v75, v75, v158
	v_cndmask_b32_e32 v75, 0, v75, vcc
	v_cmp_nlt_f32_e32 vcc, s81, v22
	v_lshl_add_u64 v[88:89], v[88:89], 0, s[28:29]
	v_lshl_add_u64 v[90:91], v[90:91], 0, s[28:29]
	v_cndmask_b32_e32 v22, v246, v75, vcc
	v_mul_f32_e32 v75, 0x3fb8aa3b, v23
	v_fma_f32 v158, v23, s89, -v75
	v_rndne_f32_e32 v159, v75
	v_fmac_f32_e32 v158, 0x32a5705f, v23
	v_sub_f32_e32 v75, v75, v159
	v_add_f32_e32 v75, v75, v158
	v_exp_f32_e32 v75, v75
	v_cvt_i32_f32_e32 v158, v159
	v_cmp_ngt_f32_e32 vcc, s96, v23
	v_cndmask_b32_e64 v22, 0, v22, s[10:11]
	v_lshl_add_u64 v[92:93], v[92:93], 0, s[28:29]
	v_ldexp_f32 v75, v75, v158
	v_cndmask_b32_e32 v75, 0, v75, vcc
	v_cmp_nlt_f32_e32 vcc, s81, v23
	v_mov_b32_e32 v23, s35
	v_lshl_add_u64 v[94:95], v[94:95], 0, s[28:29]
	v_cndmask_b32_e32 v75, v246, v75, vcc
	v_add_f32_e32 v158, v75, v22
	v_cndmask_b32_e64 v159, v23, v75, s[12:13]
	v_mul_f32_e32 v75, 0x3fb8aa3b, v24
	v_cndmask_b32_e64 v23, v22, v158, s[12:13]
	v_fma_f32 v158, v24, s89, -v75
	v_rndne_f32_e32 v160, v75
	v_fmac_f32_e32 v158, 0x32a5705f, v24
	v_sub_f32_e32 v75, v75, v160
	v_add_f32_e32 v75, v75, v158
	v_exp_f32_e32 v75, v75
	v_cvt_i32_f32_e32 v158, v160
	v_cmp_ngt_f32_e32 vcc, s96, v24
	v_cvt_f16_f32_e32 v22, v22
	v_lshl_add_u64 v[96:97], v[96:97], 0, s[30:31]
	v_ldexp_f32 v75, v75, v158
	v_cndmask_b32_e32 v75, 0, v75, vcc
	v_cmp_nlt_f32_e32 vcc, s81, v24
	v_mov_b32_e32 v24, s35
	v_lshl_add_u64 v[98:99], v[98:99], 0, s[30:31]
	v_cndmask_b32_e32 v75, v246, v75, vcc
	v_add_f32_e32 v158, v23, v75
	v_cndmask_b32_e64 v160, v24, v75, s[14:15]
	v_cndmask_b32_e64 v24, v23, v158, s[14:15]
	v_sub_f32_e32 v23, v25, v187
	v_mul_f32_e32 v25, 0x3fb8aa3b, v23
	v_fma_f32 v75, v23, s89, -v25
	v_rndne_f32_e32 v158, v25
	v_fmac_f32_e32 v75, 0x32a5705f, v23
	v_sub_f32_e32 v25, v25, v158
	v_add_f32_e32 v25, v25, v75
	v_exp_f32_e32 v25, v25
	v_cvt_i32_f32_e32 v75, v158
	v_cmp_ngt_f32_e32 vcc, s96, v23
	v_lshl_add_u64 v[100:101], v[100:101], 0, s[30:31]
	v_lshl_add_u64 v[102:103], v[102:103], 0, s[30:31]
	v_ldexp_f32 v25, v25, v75
	v_cndmask_b32_e32 v25, 0, v25, vcc
	v_cmp_nlt_f32_e32 vcc, s81, v23
	v_mov_b32_e32 v23, s35
	v_lshl_add_u64 v[104:105], v[104:105], 0, s[30:31]
	v_cndmask_b32_e32 v25, v246, v25, vcc
	v_add_f32_e32 v75, v24, v25
	v_cndmask_b32_e64 v25, v23, v25, s[16:17]
	v_cndmask_b32_e64 v23, v24, v75, s[16:17]
	v_sub_f32_e32 v24, v26, v187
	v_mul_f32_e32 v26, 0x3fb8aa3b, v24
	v_fma_f32 v75, v24, s89, -v26
	v_rndne_f32_e32 v158, v26
	v_fmac_f32_e32 v75, 0x32a5705f, v24
	v_sub_f32_e32 v26, v26, v158
	v_add_f32_e32 v26, v26, v75
	v_exp_f32_e32 v26, v26
	v_cvt_i32_f32_e32 v75, v158
	v_cmp_ngt_f32_e32 vcc, s96, v24
	v_cvt_f16_f32_e32 v25, v25
	v_lshl_add_u64 v[106:107], v[106:107], 0, s[30:31]
	v_ldexp_f32 v26, v26, v75
	v_cndmask_b32_e32 v26, 0, v26, vcc
	v_cmp_nlt_f32_e32 vcc, s81, v24
	v_mov_b32_e32 v24, s35
	v_lshl_add_u64 v[108:109], v[108:109], 0, s[30:31]
	v_cndmask_b32_e32 v26, v246, v26, vcc
	v_add_f32_e32 v75, v26, v23
	v_cndmask_b32_e64 v26, v24, v26, s[18:19]
	v_cndmask_b32_e64 v24, v23, v75, s[18:19]
	v_sub_f32_e32 v23, v27, v187
	v_mul_f32_e32 v27, 0x3fb8aa3b, v23
	v_fma_f32 v75, v23, s89, -v27
	v_rndne_f32_e32 v158, v27
	v_fmac_f32_e32 v75, 0x32a5705f, v23
	v_sub_f32_e32 v27, v27, v158
	v_add_f32_e32 v27, v27, v75
	v_exp_f32_e32 v27, v27
	v_cvt_i32_f32_e32 v75, v158
	v_cmp_ngt_f32_e32 vcc, s96, v23
	v_lshl_add_u64 v[110:111], v[110:111], 0, s[30:31]
	v_ldexp_f32 v27, v27, v75
	v_cndmask_b32_e32 v27, 0, v27, vcc
	v_cmp_nlt_f32_e32 vcc, s81, v23
	v_mov_b32_e32 v23, s35
	s_nop 0
	v_cndmask_b32_e32 v27, v246, v27, vcc
	v_add_f32_e32 v75, v27, v24
	v_cndmask_b32_e64 v27, v23, v27, s[20:21]
	v_cndmask_b32_e64 v23, v24, v75, s[20:21]
	v_sub_f32_e32 v24, v28, v187
	v_mul_f32_e32 v28, 0x3fb8aa3b, v24
	v_fma_f32 v75, v24, s89, -v28
	v_rndne_f32_e32 v158, v28
	v_fmac_f32_e32 v75, 0x32a5705f, v24
	v_sub_f32_e32 v28, v28, v158
	v_add_f32_e32 v28, v28, v75
	v_exp_f32_e32 v28, v28
	v_cvt_i32_f32_e32 v75, v158
	v_cmp_ngt_f32_e32 vcc, s96, v24
	v_ldexp_f32 v28, v28, v75
	s_nop 0
	v_cndmask_b32_e32 v28, 0, v28, vcc
	v_cmp_nlt_f32_e32 vcc, s81, v24
	v_mov_b32_e32 v24, s35
	s_nop 0
	v_cndmask_b32_e32 v28, v246, v28, vcc
	v_add_f32_e32 v75, v28, v23
	v_cndmask_b32_e64 v28, v24, v28, s[22:23]
	v_cndmask_b32_e64 v24, v23, v75, s[22:23]
	v_sub_f32_e32 v23, v29, v187
	v_mul_f32_e32 v29, 0x3fb8aa3b, v23
	v_fma_f32 v75, v23, s89, -v29
	v_rndne_f32_e32 v158, v29
	v_fmac_f32_e32 v75, 0x32a5705f, v23
	v_sub_f32_e32 v29, v29, v158
	v_add_f32_e32 v29, v29, v75
	v_exp_f32_e32 v29, v29
	v_cvt_i32_f32_e32 v75, v158
	v_cmp_ngt_f32_e32 vcc, s96, v23
	v_ldexp_f32 v29, v29, v75
	s_nop 0
	v_cndmask_b32_e32 v29, 0, v29, vcc
	v_cmp_nlt_f32_e32 vcc, s81, v23
	v_mov_b32_e32 v23, s35
	s_nop 0
	v_cndmask_b32_e32 v29, v246, v29, vcc
	v_add_f32_e32 v75, v29, v24
	v_cndmask_b32_e64 v75, v24, v75, s[24:25]
	v_sub_f32_e32 v24, v248, v187
	v_cndmask_b32_e64 v23, v23, v29, s[24:25]
	v_mul_f32_e32 v29, 0x3fb8aa3b, v24
	v_fma_f32 v158, v24, s89, -v29
	v_rndne_f32_e32 v161, v29
	v_fmac_f32_e32 v158, 0x32a5705f, v24
	v_sub_f32_e32 v29, v29, v161
	v_add_f32_e32 v29, v29, v158
	v_exp_f32_e32 v29, v29
	v_cvt_i32_f32_e32 v158, v161
	v_cmp_ngt_f32_e32 vcc, s96, v24
	v_cvt_f16_f32_e32 v23, v23
	v_mov_b32_e32 v161, s92
	v_ldexp_f32 v29, v29, v158
	v_cndmask_b32_e32 v29, 0, v29, vcc
	v_cmp_nlt_f32_e32 vcc, s81, v24
	s_nop 1
	v_cndmask_b32_e32 v29, v246, v29, vcc
	v_cmp_le_f32_e32 vcc, s97, v24
	s_nop 1
	v_cndmask_b32_e32 v24, 0, v29, vcc
	v_fmac_f32_e32 v75, v189, v24
	v_cvt_f16_f32_e32 v24, v24
	v_cmp_ne_u32_e32 vcc, 0, v206
	s_and_b64 vcc, exec, vcc
	v_pk_mul_f16 v203, v24, v203 op_sel_hi:[0,1]
	v_pk_mul_f16 v202, v24, v202 op_sel_hi:[0,1]
	;; [unrolled: 1-line block ×16, first 2 shown]
	v_cvt_f16_f32_e32 v24, v159
	v_pack_b32_f16 v24, v22, v24
	v_cvt_f16_f32_e32 v22, v160
	v_mov_b32_e32 v160, s93
	v_pack_b32_f16 v25, v22, v25
	v_cvt_f16_f32_e32 v22, v26
	v_cvt_f16_f32_e32 v26, v27
	v_pack_b32_f16 v22, v22, v26
	v_cvt_f16_f32_e32 v26, v28
	v_pack_b32_f16 v23, v26, v23
	v_lshl_add_u64 v[26:27], v[80:81], 0, v[56:57]
	v_cndmask_b32_e64 v159, v160, v27, s[78:79]
	v_cndmask_b32_e64 v158, v161, v26, s[78:79]
	v_lshl_add_u64 v[26:27], v[82:83], 0, v[56:57]
	v_cndmask_b32_e64 v185, v160, v27, s[4:5]
	v_cndmask_b32_e64 v184, v161, v26, s[4:5]
	;; [unrolled: 3-line block ×4, first 2 shown]
	flat_load_dwordx4 v[158:161], v[158:159]
	v_lshl_add_u64 v[80:81], v[80:81], 0, s[2:3]
	v_lshl_add_u64 v[82:83], v[82:83], 0, s[2:3]
	;; [unrolled: 1-line block ×4, first 2 shown]
	s_waitcnt vmcnt(0) lgkmcnt(0)
	ds_write_b128 v123, v[158:161]
	flat_load_dwordx4 v[158:161], v[184:185]
	s_waitcnt vmcnt(0) lgkmcnt(0)
	ds_write_b128 v219, v[158:161]
	flat_load_dwordx4 v[158:161], v[28:29]
	;; [unrolled: 3-line block ×3, first 2 shown]
	s_waitcnt vmcnt(0) lgkmcnt(0)
	ds_write_b128 v223, v[26:29]
	s_waitcnt lgkmcnt(0)
	s_barrier
	ds_read_u16 v3, v125 offset:272
	ds_read_u16 v4, v125 offset:544
	ds_read_u16 v5, v126
	ds_read_u16 v158, v126 offset:32
	v_cvt_f32_f16_e32 v26, v203
	v_cvt_f32_f16_sdwa v27, v203 dst_sel:DWORD dst_unused:UNUSED_PAD src0_sel:WORD_1
	v_cvt_f32_f16_e32 v28, v202
	s_waitcnt lgkmcnt(1)
	v_perm_b32 v5, v5, v4, s64
	ds_read_u16 v4, v124
	ds_read_u16 v159, v124 offset:32
	v_cvt_f32_f16_sdwa v29, v202 dst_sel:DWORD dst_unused:UNUSED_PAD src0_sel:WORD_1
	ds_read_u16 v160, v124 offset:8704
	ds_read_u16 v161, v224 offset:272
	;; [unrolled: 1-line block ×4, first 2 shown]
	s_waitcnt lgkmcnt(5)
	v_perm_b32 v4, v3, v4, s64
	s_nop 1
	v_mfma_f32_16x16x16_f16 v[26:29], v[4:5], v[24:25], v[26:29]
	s_nop 6
	v_cvt_f16_f32_e32 v4, v27
	v_cvt_f16_f32_e32 v5, v28
	;; [unrolled: 1-line block ×4, first 2 shown]
	v_cvt_f32_f16_e32 v27, v4
	v_cvt_f32_f16_e32 v28, v5
	s_waitcnt lgkmcnt(0)
	v_perm_b32 v5, v185, v184, s64
	v_perm_b32 v4, v161, v160, s64
	v_cvt_f32_f16_e32 v26, v3
	v_cvt_f32_f16_e32 v29, v29
	s_nop 1
	v_mfma_f32_16x16x16_f16 v[26:29], v[4:5], v[22:23], v[26:29]
	s_nop 6
	v_cvt_f16_f32_e32 v3, v26
	v_cvt_f16_f32_e32 v4, v27
	;; [unrolled: 1-line block ×4, first 2 shown]
	v_cvt_f32_f16_sdwa v27, v201 dst_sel:DWORD dst_unused:UNUSED_PAD src0_sel:WORD_1
	v_pack_b32_f16 v203, v3, v4
	ds_read_u16 v3, v225 offset:272
	ds_read_u16 v4, v225 offset:544
	v_pack_b32_f16 v202, v5, v26
	v_cvt_f32_f16_e32 v26, v201
	v_cvt_f32_f16_e32 v28, v200
	v_cvt_f32_f16_sdwa v29, v200 dst_sel:DWORD dst_unused:UNUSED_PAD src0_sel:WORD_1
	s_waitcnt lgkmcnt(0)
	v_perm_b32 v5, v158, v4, s64
	v_perm_b32 v4, v3, v159, s64
	ds_read_u16 v158, v127 offset:8704
	ds_read_u16 v159, v128 offset:272
	ds_read_u16 v160, v226 offset:544
	ds_read_u16 v161, v129 offset:8704
	v_mfma_f32_16x16x16_f16 v[26:29], v[4:5], v[24:25], v[26:29]
	s_nop 6
	v_cvt_f16_f32_e32 v4, v27
	v_cvt_f16_f32_e32 v5, v28
	v_cvt_f16_f32_e32 v3, v26
	v_cvt_f16_f32_e32 v29, v29
	v_cvt_f32_f16_e32 v27, v4
	v_cvt_f32_f16_e32 v28, v5
	s_waitcnt lgkmcnt(0)
	v_perm_b32 v5, v161, v160, s64
	v_perm_b32 v4, v159, v158, s64
	v_cvt_f32_f16_e32 v26, v3
	v_cvt_f32_f16_e32 v29, v29
	s_nop 1
	v_mfma_f32_16x16x16_f16 v[26:29], v[4:5], v[22:23], v[26:29]
	s_nop 6
	v_cvt_f16_f32_e32 v3, v26
	v_cvt_f16_f32_e32 v4, v27
	v_cvt_f16_f32_e32 v5, v28
	v_cvt_f16_f32_e32 v26, v29
	v_cvt_f32_f16_sdwa v27, v199 dst_sel:DWORD dst_unused:UNUSED_PAD src0_sel:WORD_1
	v_pack_b32_f16 v201, v3, v4
	v_cvt_f32_f16_e32 v28, v198
	v_pack_b32_f16 v200, v5, v26
	ds_read_u16 v3, v124 offset:64
	ds_read_u16 v4, v227 offset:272
	ds_read_u16 v5, v227 offset:544
	ds_read_u16 v158, v126 offset:64
	v_cvt_f32_f16_e32 v26, v199
	v_cvt_f32_f16_sdwa v29, v198 dst_sel:DWORD dst_unused:UNUSED_PAD src0_sel:WORD_1
	s_waitcnt lgkmcnt(2)
	v_perm_b32 v4, v4, v3, s64
	s_waitcnt lgkmcnt(0)
	v_perm_b32 v5, v158, v5, s64
	ds_read_u16 v158, v130 offset:8704
	ds_read_u16 v159, v131 offset:272
	ds_read_u16 v160, v228 offset:544
	ds_read_u16 v161, v132 offset:8704
	v_mfma_f32_16x16x16_f16 v[26:29], v[4:5], v[24:25], v[26:29]
	s_nop 6
	v_cvt_f16_f32_e32 v4, v27
	v_cvt_f16_f32_e32 v5, v28
	v_cvt_f16_f32_e32 v3, v26
	v_cvt_f16_f32_e32 v29, v29
	v_cvt_f32_f16_e32 v27, v4
	v_cvt_f32_f16_e32 v28, v5
	s_waitcnt lgkmcnt(0)
	v_perm_b32 v5, v161, v160, s64
	v_perm_b32 v4, v159, v158, s64
	v_cvt_f32_f16_e32 v26, v3
	v_cvt_f32_f16_e32 v29, v29
	s_nop 1
	v_mfma_f32_16x16x16_f16 v[26:29], v[4:5], v[22:23], v[26:29]
	s_nop 6
	v_cvt_f16_f32_e32 v3, v26
	v_cvt_f16_f32_e32 v4, v27
	v_cvt_f16_f32_e32 v5, v28
	v_cvt_f16_f32_e32 v26, v29
	v_cvt_f32_f16_sdwa v27, v197 dst_sel:DWORD dst_unused:UNUSED_PAD src0_sel:WORD_1
	v_pack_b32_f16 v199, v3, v4
	v_cvt_f32_f16_e32 v28, v196
	v_pack_b32_f16 v198, v5, v26
	ds_read_u16 v3, v124 offset:96
	ds_read_u16 v4, v229 offset:272
	ds_read_u16 v5, v229 offset:544
	ds_read_u16 v158, v126 offset:96
	v_cvt_f32_f16_e32 v26, v197
	v_cvt_f32_f16_sdwa v29, v196 dst_sel:DWORD dst_unused:UNUSED_PAD src0_sel:WORD_1
	s_waitcnt lgkmcnt(2)
	v_perm_b32 v4, v4, v3, s64
	s_waitcnt lgkmcnt(0)
	;; [unrolled: 38-line block ×6, first 2 shown]
	v_perm_b32 v5, v158, v5, s64
	s_nop 1
	v_mfma_f32_16x16x16_f16 v[24:27], v[4:5], v[24:25], v[26:29]
	s_nop 2
	ds_read_u16 v28, v145 offset:8704
	ds_read_u16 v29, v146 offset:272
	;; [unrolled: 1-line block ×4, first 2 shown]
	s_waitcnt lgkmcnt(0)
	s_barrier
	v_cvt_f16_f32_e32 v4, v25
	v_cvt_f16_f32_e32 v5, v26
	;; [unrolled: 1-line block ×4, first 2 shown]
	v_cvt_f32_f16_e32 v25, v4
	v_cvt_f32_f16_e32 v26, v5
	v_perm_b32 v5, v159, v158, s64
	v_perm_b32 v4, v29, v28, s64
	v_cvt_f32_f16_e32 v24, v3
	v_cvt_f32_f16_e32 v27, v27
	s_nop 1
	v_mfma_f32_16x16x16_f16 v[22:25], v[4:5], v[22:23], v[24:27]
	s_nop 6
	v_cvt_f16_f32_e32 v3, v22
	v_cvt_f16_f32_e32 v4, v23
	;; [unrolled: 1-line block ×4, first 2 shown]
	v_pack_b32_f16 v188, v3, v4
	v_pack_b32_f16 v186, v5, v22
	s_cbranch_vccz .LBB24_213
; %bb.211:                              ;   in Loop: Header=BB24_208 Depth=2
	v_mov_b32_e32 v189, v75
	v_mov_b32_e32 v248, v187
	v_cndmask_b32_e64 v3, 0, 1, s[36:37]
	v_cmp_ne_u32_e64 s[38:39], 1, v3
	s_andn2_b64 vcc, exec, s[36:37]
	s_cbranch_vccz .LBB24_203
	s_branch .LBB24_208
.LBB24_212:                             ;   in Loop: Header=BB24_12 Depth=1
	v_mov_b32_e32 v75, 0
	v_mov_b32_e32 v187, 0xfeffffff
	;; [unrolled: 1-line block ×18, first 2 shown]
.LBB24_213:                             ;   in Loop: Header=BB24_12 Depth=1
	v_lshlrev_b32_e32 v26, 6, v205
	v_readlane_b32 s36, v254, 4
	v_cmp_eq_u64_e32 vcc, 0, v[76:77]
	v_cmp_ne_u64_e64 s[44:45], 0, v[76:77]
	v_sub_u32_e32 v78, s36, v26
	v_readlane_b32 s37, v254, 5
	s_cbranch_vccnz .LBB24_223
; %bb.214:                              ;   in Loop: Header=BB24_12 Depth=1
	v_mov_b32_e32 v27, v2
	v_cmp_ge_i32_e32 vcc, v32, v78
                                        ; implicit-def: $sgpr34
	s_and_saveexec_b64 s[36:37], vcc
	s_xor_b64 s[36:37], exec, s[36:37]
	s_cbranch_execz .LBB24_216
; %bb.215:                              ;   in Loop: Header=BB24_12 Depth=1
	ds_write_b16 v164, v2 offset:17408
	ds_write_b16 v211, v2 offset:17408
	s_mov_b32 s34, 0
                                        ; implicit-def: $vgpr250
                                        ; implicit-def: $vgpr252
                                        ; implicit-def: $vgpr209
                                        ; implicit-def: $vgpr253
.LBB24_216:                             ;   in Loop: Header=BB24_12 Depth=1
	s_or_saveexec_b64 s[36:37], s[36:37]
	v_lshlrev_b64 v[4:5], 1, v[26:27]
	v_lshl_add_u64 v[4:5], v[76:77], 0, v[4:5]
	v_lshlrev_b32_e32 v22, 1, v32
	v_mov_b32_e32 v23, v2
	v_lshl_add_u64 v[4:5], v[4:5], 0, v[22:23]
	v_mov_b32_e32 v3, s34
	v_mov_b32_e32 v22, s34
	s_xor_b64 exec, exec, s[36:37]
	s_cbranch_execz .LBB24_218
; %bb.217:                              ;   in Loop: Header=BB24_12 Depth=1
	v_mul_hi_u32 v3, s94, v250
	v_add_u32_e32 v3, v250, v3
	v_lshrrev_b32_e32 v3, s95, v3
	v_mul_lo_u32 v3, v3, s80
	v_sub_u32_e32 v3, v250, v3
	v_mad_i64_i32 v[22:23], s[38:39], v3, s54, 0
	v_lshl_add_u64 v[22:23], v[22:23], 1, v[4:5]
	flat_load_ushort v3, v[22:23]
	v_mul_hi_u32 v22, s94, v252
	v_add_u32_e32 v22, v252, v22
	v_lshrrev_b32_e32 v22, s95, v22
	v_mul_lo_u32 v22, v22, s80
	v_sub_u32_e32 v22, v252, v22
	v_mad_i64_i32 v[22:23], s[38:39], v22, s54, 0
	v_lshl_add_u64 v[22:23], v[22:23], 1, v[4:5]
	flat_load_ushort v22, v[22:23]
	s_waitcnt vmcnt(0) lgkmcnt(0)
	ds_write_b16 v164, v3 offset:17408
	ds_write_b16 v211, v22 offset:17408
	v_mul_hi_u32 v3, s94, v209
	v_add_u32_e32 v3, v209, v3
	v_lshrrev_b32_e32 v3, s95, v3
	v_mul_lo_u32 v3, v3, s80
	v_sub_u32_e32 v3, v209, v3
	v_mad_i64_i32 v[22:23], s[38:39], v3, s54, 0
	v_lshl_add_u64 v[22:23], v[22:23], 1, v[4:5]
	flat_load_ushort v3, v[22:23]
	v_mul_hi_u32 v22, s94, v253
	v_add_u32_e32 v22, v253, v22
	v_lshrrev_b32_e32 v22, s95, v22
	v_mul_lo_u32 v22, v22, s80
	v_sub_u32_e32 v22, v253, v22
	v_mad_i64_i32 v[22:23], s[38:39], v22, s54, 0
	v_lshl_add_u64 v[22:23], v[22:23], 1, v[4:5]
	flat_load_ushort v22, v[22:23]
.LBB24_218:                             ;   in Loop: Header=BB24_12 Depth=1
	s_or_b64 exec, exec, s[36:37]
	s_waitcnt vmcnt(0) lgkmcnt(0)
	ds_write_b16 v212, v3 offset:17408
	ds_write_b16 v213, v22 offset:17408
                                        ; implicit-def: $sgpr34
	s_and_saveexec_b64 s[36:37], vcc
	s_xor_b64 s[36:37], exec, s[36:37]
	s_cbranch_execz .LBB24_220
; %bb.219:                              ;   in Loop: Header=BB24_12 Depth=1
	ds_write_b16 v214, v2 offset:17408
	ds_write_b16 v215, v2 offset:17408
	s_mov_b32 s34, 0
                                        ; implicit-def: $vgpr1
                                        ; implicit-def: $vgpr4_vgpr5
                                        ; implicit-def: $vgpr249
                                        ; implicit-def: $vgpr251
                                        ; implicit-def: $vgpr208
.LBB24_220:                             ;   in Loop: Header=BB24_12 Depth=1
	s_or_saveexec_b64 s[36:37], s[36:37]
	v_mov_b32_e32 v3, s34
	v_mov_b32_e32 v22, s34
	s_xor_b64 exec, exec, s[36:37]
	s_cbranch_execz .LBB24_222
; %bb.221:                              ;   in Loop: Header=BB24_12 Depth=1
	v_mul_hi_u32 v3, s94, v1
	v_add_u32_e32 v3, v1, v3
	v_lshrrev_b32_e32 v3, s95, v3
	v_mul_lo_u32 v3, v3, s80
	v_sub_u32_e32 v1, v1, v3
	v_mul_hi_u32 v3, s94, v249
	v_add_u32_e32 v3, v249, v3
	v_lshrrev_b32_e32 v3, s95, v3
	v_mad_i64_i32 v[22:23], s[38:39], v1, s54, 0
	v_mul_lo_u32 v3, v3, s80
	v_lshl_add_u64 v[22:23], v[22:23], 1, v[4:5]
	v_sub_u32_e32 v3, v249, v3
	flat_load_ushort v1, v[22:23]
	v_mad_i64_i32 v[22:23], s[38:39], v3, s54, 0
	v_lshl_add_u64 v[22:23], v[22:23], 1, v[4:5]
	flat_load_ushort v3, v[22:23]
	s_waitcnt vmcnt(0) lgkmcnt(0)
	ds_write_b16 v214, v1 offset:17408
	ds_write_b16 v215, v3 offset:17408
	v_mul_hi_u32 v1, s94, v251
	v_add_u32_e32 v1, v251, v1
	v_lshrrev_b32_e32 v1, s95, v1
	v_mul_lo_u32 v1, v1, s80
	v_sub_u32_e32 v1, v251, v1
	v_mad_i64_i32 v[22:23], s[38:39], v1, s54, 0
	v_mul_hi_u32 v1, s94, v208
	v_add_u32_e32 v1, v208, v1
	v_lshrrev_b32_e32 v1, s95, v1
	v_mul_lo_u32 v1, v1, s80
	v_lshl_add_u64 v[22:23], v[22:23], 1, v[4:5]
	v_sub_u32_e32 v1, v208, v1
	flat_load_ushort v3, v[22:23]
	v_mad_i64_i32 v[22:23], s[38:39], v1, s54, 0
	v_lshl_add_u64 v[4:5], v[22:23], 1, v[4:5]
	flat_load_ushort v22, v[4:5]
.LBB24_222:                             ;   in Loop: Header=BB24_12 Depth=1
	s_or_b64 exec, exec, s[36:37]
	s_waitcnt vmcnt(0) lgkmcnt(0)
	ds_write_b16 v216, v3 offset:17408
	ds_write_b16 v217, v22 offset:17408
.LBB24_223:                             ;   in Loop: Header=BB24_12 Depth=1
	v_mul_lo_u32 v1, v26, s83
	v_mul_hi_u32 v3, v26, s82
	v_add_u32_e32 v5, v3, v1
	v_mul_lo_u32 v4, v26, s82
	v_lshlrev_b64 v[4:5], 2, v[4:5]
	v_lshl_add_u64 v[76:77], s[84:85], 0, v[4:5]
	v_lshl_add_u64 v[22:23], v[38:39], 2, v[76:77]
	v_lshlrev_b32_e32 v28, 2, v34
	v_mov_b32_e32 v29, v2
	v_mov_b32_e32 v3, v2
	;; [unrolled: 1-line block ×4, first 2 shown]
	v_cmp_lt_i32_e64 s[42:43], v122, v78
	v_lshl_add_u64 v[22:23], v[22:23], 0, v[28:29]
	v_mov_b32_e32 v1, s93
	v_mov_b32_e32 v27, s92
	scratch_store_dwordx4 off, v[2:5], off
	v_cndmask_b32_e64 v23, v1, v23, s[42:43]
	v_cndmask_b32_e64 v22, v27, v22, s[42:43]
	flat_load_dwordx4 v[22:25], v[22:23]
	v_cmp_lt_i32_e64 s[40:41], v218, v78
	v_cmp_lt_i32_e64 s[36:37], v220, v78
	;; [unrolled: 1-line block ×3, first 2 shown]
	s_andn2_b64 vcc, exec, s[44:45]
	s_waitcnt vmcnt(0) lgkmcnt(0)
	ds_write_b128 v123, v[22:25]
	v_lshl_add_u64 v[22:23], v[40:41], 2, v[76:77]
	v_lshl_add_u64 v[22:23], v[22:23], 0, v[28:29]
	v_cndmask_b32_e64 v23, v1, v23, s[40:41]
	v_cndmask_b32_e64 v22, v27, v22, s[40:41]
	flat_load_dwordx4 v[22:25], v[22:23]
	s_waitcnt vmcnt(0) lgkmcnt(0)
	ds_write_b128 v219, v[22:25]
	v_lshl_add_u64 v[22:23], v[42:43], 2, v[76:77]
	v_lshl_add_u64 v[22:23], v[22:23], 0, v[28:29]
	v_cndmask_b32_e64 v23, v1, v23, s[36:37]
	v_cndmask_b32_e64 v22, v27, v22, s[36:37]
	flat_load_dwordx4 v[22:25], v[22:23]
	;; [unrolled: 7-line block ×3, first 2 shown]
	v_add_u32_e32 v1, v121, v166
	s_waitcnt vmcnt(0) lgkmcnt(0)
	ds_write_b128 v223, v[22:25]
	s_waitcnt lgkmcnt(0)
	s_barrier
	ds_read2_b64 v[22:25], v1 offset1:4
	s_waitcnt lgkmcnt(0)
	v_mfma_f32_16x16x16_f16 v[80:83], v[22:23], v[18:19], 0
	v_mfma_f32_16x16x16_f16 v[22:25], v[24:25], v[20:21], v[80:83]
	s_nop 5
	ds_read2_b64 v[80:83], v1 offset0:8 offset1:12
	s_waitcnt lgkmcnt(0)
	v_mfma_f32_16x16x16_f16 v[22:25], v[80:81], v[14:15], v[22:25]
	v_mfma_f32_16x16x16_f16 v[22:25], v[82:83], v[16:17], v[22:25]
	ds_read2_b64 v[80:83], v1 offset0:16 offset1:20
	s_waitcnt lgkmcnt(0)
	v_mfma_f32_16x16x16_f16 v[22:25], v[80:81], v[10:11], v[22:25]
	v_mfma_f32_16x16x16_f16 v[22:25], v[82:83], v[12:13], v[22:25]
	ds_read2_b64 v[80:83], v1 offset0:24 offset1:28
	v_add_u32_e32 v1, 0x2000, v1
	s_waitcnt lgkmcnt(0)
	v_mfma_f32_16x16x16_f16 v[22:25], v[80:81], v[6:7], v[22:25]
	v_mfma_f32_16x16x16_f16 v[22:25], v[82:83], v[8:9], v[22:25]
	ds_read2_b64 v[80:83], v1 offset0:64 offset1:68
	s_waitcnt lgkmcnt(0)
	v_mfma_f32_16x16x16_f16 v[84:87], v[80:81], v[18:19], 0
	v_mfma_f32_16x16x16_f16 v[18:21], v[82:83], v[20:21], v[84:87]
	ds_read2_b64 v[80:83], v1 offset0:72 offset1:76
	s_waitcnt lgkmcnt(0)
	v_mfma_f32_16x16x16_f16 v[18:21], v[80:81], v[14:15], v[18:21]
	v_mfma_f32_16x16x16_f16 v[14:17], v[82:83], v[16:17], v[18:21]
	s_nop 5
	ds_read2_b64 v[18:21], v1 offset0:80 offset1:84
	s_waitcnt lgkmcnt(0)
	v_mfma_f32_16x16x16_f16 v[14:17], v[18:19], v[10:11], v[14:17]
	v_mfma_f32_16x16x16_f16 v[10:13], v[20:21], v[12:13], v[14:17]
	s_nop 5
	ds_read2_b64 v[14:17], v1 offset0:88 offset1:92
	s_waitcnt lgkmcnt(0)
	v_mfma_f32_16x16x16_f16 v[10:13], v[14:15], v[6:7], v[10:13]
	s_barrier
	v_mfma_f32_16x16x16_f16 v[6:9], v[16:17], v[8:9], v[10:13]
	s_cbranch_vccnz .LBB24_225
; %bb.224:                              ;   in Loop: Header=BB24_12 Depth=1
	v_add_u32_e32 v1, 0x4400, v168
	s_nop 2
	ds_read2_b32 v[10:11], v1 offset1:1
	ds_read_b32 v1, v170 offset:17408
	s_waitcnt lgkmcnt(1)
	v_cvt_f32_f16_e32 v12, v10
	v_cvt_f32_f16_sdwa v13, v10 dst_sel:DWORD dst_unused:UNUSED_PAD src0_sel:WORD_1
	v_cvt_f32_f16_e32 v10, v11
	v_cvt_f32_f16_sdwa v11, v11 dst_sel:DWORD dst_unused:UNUSED_PAD src0_sel:WORD_1
	v_pk_fma_f32 v[22:23], v[74:75], v[12:13], v[22:23] op_sel_hi:[0,1,1]
	v_pk_fma_f32 v[24:25], v[74:75], v[10:11], v[24:25] op_sel_hi:[0,1,1]
	s_waitcnt lgkmcnt(0)
	v_cvt_f32_f16_sdwa v11, v1 dst_sel:DWORD dst_unused:UNUSED_PAD src0_sel:WORD_1
	v_cvt_f32_f16_e32 v10, v1
	ds_read_b32 v1, v172 offset:17408
	v_pk_fma_f32 v[6:7], v[74:75], v[10:11], v[6:7] op_sel_hi:[0,1,1]
	s_waitcnt lgkmcnt(0)
	v_cvt_f32_f16_sdwa v13, v1 dst_sel:DWORD dst_unused:UNUSED_PAD src0_sel:WORD_1
	v_cvt_f32_f16_e32 v12, v1
	v_pk_fma_f32 v[8:9], v[74:75], v[12:13], v[8:9] op_sel_hi:[0,1,1]
.LBB24_225:                             ;   in Loop: Header=BB24_12 Depth=1
	v_mul_lo_u32 v1, v26, s77
	s_nop 2
	v_mul_hi_u32 v10, v26, s76
	v_add_u32_e32 v11, v10, v1
	v_mul_lo_u32 v10, v26, s76
	v_lshlrev_b64 v[10:11], 2, v[10:11]
	v_lshl_add_u64 v[18:19], s[26:27], 0, v[10:11]
	v_lshl_add_u64 v[10:11], v[46:47], 2, v[18:19]
	;; [unrolled: 1-line block ×3, first 2 shown]
	v_mov_b32_e32 v26, s93
	v_mov_b32_e32 v27, s92
	v_cndmask_b32_e64 v11, v26, v11, s[42:43]
	v_cndmask_b32_e64 v10, v27, v10, s[42:43]
	scratch_store_dwordx4 off, v[2:5], off
	flat_load_dwordx4 v[14:17], v[10:11]
	v_add_f32_e32 v13, 0x40051340, v22
	v_max_f32_e32 v20, v187, v187
	v_and_b32_e32 v21, 64, v210
	v_xor_b32_e32 v80, 32, v210
	v_max_f32_e32 v13, v20, v13
	v_add_u32_e32 v20, 64, v21
	v_xor_b32_e32 v81, 16, v210
	v_cmp_lt_u32_e64 s[52:53], v165, v78
	v_cmp_lt_i32_e32 vcc, v80, v20
	v_add_f32_e32 v74, 0x40051340, v23
	v_cndmask_b32_e64 v87, v187, v13, s[52:53]
	v_cndmask_b32_e32 v13, v210, v80, vcc
	v_cmp_lt_i32_e32 vcc, v81, v20
	v_lshl_add_u64 v[20:21], v[48:49], 2, v[18:19]
	v_lshl_add_u64 v[20:21], v[20:21], 0, v[28:29]
	v_cndmask_b32_e64 v21, v26, v21, s[40:41]
	v_cndmask_b32_e64 v20, v27, v20, s[40:41]
	v_cndmask_b32_e32 v88, v210, v81, vcc
	v_cmp_lt_u32_e64 s[48:49], v239, v78
	v_add_f32_e32 v76, 0x40051340, v24
	v_cmp_lt_u32_e64 s[50:51], v240, v78
	v_add_f32_e32 v77, 0x40051340, v25
	;; [unrolled: 2-line block ×3, first 2 shown]
	v_cmp_lt_u32_e32 vcc, v169, v78
	v_add_f32_e32 v84, 0x40051340, v7
	v_cmp_lt_u32_e64 s[40:41], v242, v78
	v_add_f32_e32 v85, 0x40051340, v8
	v_cmp_lt_u32_e64 s[42:43], v171, v78
	;; [unrolled: 2-line block ×3, first 2 shown]
	v_lshlrev_b32_e32 v13, 2, v13
	v_cndmask_b32_e64 v24, v24, v24, s[48:49]
	v_cndmask_b32_e32 v9, v9, v9, vcc
	v_cndmask_b32_e32 v8, v8, v8, vcc
	;; [unrolled: 1-line block ×3, first 2 shown]
	v_mov_b32_e32 v1, s35
	v_mov_b32_e32 v4, s35
	;; [unrolled: 1-line block ×7, first 2 shown]
	s_cmp_eq_u64 s[90:91], 0
	s_cselect_b64 s[26:27], -1, 0
	s_waitcnt vmcnt(0) lgkmcnt(0)
	ds_write_b128 v123, v[14:17]
	flat_load_dwordx4 v[80:83], v[20:21]
	v_max_f32_e32 v14, v87, v87
	v_max_f32_e32 v20, v14, v74
	v_lshl_add_u64 v[14:15], v[50:51], 2, v[18:19]
	v_lshl_add_u64 v[16:17], v[52:53], 2, v[18:19]
	v_cndmask_b32_e64 v18, v87, v20, s[48:49]
	v_max_f32_e32 v19, v18, v18
	v_max_f32_e32 v19, v19, v76
	v_cndmask_b32_e64 v18, v18, v19, s[50:51]
	v_max_f32_e32 v19, v18, v18
	v_max_f32_e32 v19, v19, v77
	;; [unrolled: 3-line block ×3, first 2 shown]
	v_cndmask_b32_e32 v18, v18, v19, vcc
	v_max_f32_e32 v19, v18, v18
	v_max_f32_e32 v19, v19, v84
	v_cndmask_b32_e64 v18, v18, v19, s[40:41]
	v_max_f32_e32 v19, v18, v18
	v_max_f32_e32 v19, v19, v85
	v_cndmask_b32_e64 v18, v18, v19, s[42:43]
	;; [unrolled: 3-line block ×3, first 2 shown]
	v_cndmask_b32_e64 v25, v18, v19, s[44:45]
	v_lshl_add_u64 v[14:15], v[14:15], 0, v[28:29]
	v_lshl_add_u64 v[16:17], v[16:17], 0, v[28:29]
	ds_bpermute_b32 v28, v13, v25
	v_cndmask_b32_e64 v19, v26, v15, s[36:37]
	v_cndmask_b32_e64 v18, v27, v14, s[36:37]
	v_max_f32_e32 v14, v25, v25
	v_lshlrev_b32_e32 v21, 2, v88
	s_waitcnt lgkmcnt(0)
	v_max_f32_e32 v15, v28, v28
	v_max_f32_e32 v14, v14, v15
	ds_bpermute_b32 v15, v21, v14
	v_cndmask_b32_e64 v17, v26, v17, s[38:39]
	v_cndmask_b32_e64 v16, v27, v16, s[38:39]
	s_waitcnt lgkmcnt(0)
	v_max_f32_e32 v15, v15, v15
	v_max_f32_e32 v14, v14, v15
	v_sub_f32_e32 v15, v22, v14
	v_sub_f32_e32 v22, v23, v14
	;; [unrolled: 1-line block ×7, first 2 shown]
	v_mul_f32_e32 v29, 0x3fb8aa3b, v15
	v_mul_f32_e32 v74, 0x3fb8aa3b, v22
	v_fma_f32 v87, v15, s89, -v29
	v_rndne_f32_e32 v88, v29
	v_sub_f32_e32 v20, v20, v14
	v_mul_f32_e32 v76, 0x3fb8aa3b, v23
	v_fma_f32 v89, v22, s89, -v74
	v_rndne_f32_e32 v90, v74
	v_fmac_f32_e32 v87, 0x32a5705f, v15
	v_sub_f32_e32 v29, v29, v88
	v_mul_f32_e32 v77, 0x3fb8aa3b, v20
	v_mul_f32_e32 v79, 0x3fb8aa3b, v25
	;; [unrolled: 1-line block ×3, first 2 shown]
	v_fma_f32 v91, v23, s89, -v76
	v_rndne_f32_e32 v92, v76
	v_fmac_f32_e32 v89, 0x32a5705f, v22
	v_sub_f32_e32 v74, v74, v90
	v_add_f32_e32 v29, v29, v87
	v_sub_f32_e32 v28, v187, v14
	v_mul_f32_e32 v78, 0x3fb8aa3b, v24
	v_fma_f32 v93, v20, s89, -v77
	v_rndne_f32_e32 v94, v77
	v_fma_f32 v97, v25, s89, -v79
	v_cvt_i32_f32_e32 v88, v88
	v_fmac_f32_e32 v91, 0x32a5705f, v23
	v_sub_f32_e32 v76, v76, v92
	v_add_f32_e32 v74, v74, v89
	v_exp_f32_e32 v29, v29
	v_mul_f32_e32 v84, 0x3fb8aa3b, v26
	v_mul_f32_e32 v86, 0x3fb8aa3b, v28
	v_fma_f32 v95, v24, s89, -v78
	v_rndne_f32_e32 v96, v78
	s_waitcnt vmcnt(0)
	ds_write_b128 v219, v[80:83]
	flat_load_dwordx4 v[6:9], v[18:19]
	v_rndne_f32_e32 v18, v79
	v_fma_f32 v81, v27, s89, -v85
	v_rndne_f32_e32 v82, v85
	v_cvt_i32_f32_e32 v90, v90
	v_fmac_f32_e32 v93, 0x32a5705f, v20
	v_sub_f32_e32 v77, v77, v94
	v_fmac_f32_e32 v97, 0x32a5705f, v25
	v_sub_f32_e32 v79, v79, v18
	;; [unrolled: 2-line block ×3, first 2 shown]
	v_add_f32_e32 v76, v76, v91
	v_exp_f32_e32 v74, v74
	v_fma_f32 v19, v26, s89, -v84
	v_rndne_f32_e32 v80, v84
	v_fma_f32 v83, v28, s89, -v86
	v_rndne_f32_e32 v98, v86
	v_cvt_i32_f32_e32 v92, v92
	v_fmac_f32_e32 v95, 0x32a5705f, v24
	v_sub_f32_e32 v78, v78, v96
	v_add_f32_e32 v77, v77, v93
	v_add_f32_e32 v79, v79, v97
	;; [unrolled: 1-line block ×3, first 2 shown]
	v_exp_f32_e32 v76, v76
	v_cvt_i32_f32_e32 v94, v94
	v_cvt_i32_f32_e32 v18, v18
	v_fmac_f32_e32 v19, 0x32a5705f, v26
	v_sub_f32_e32 v84, v84, v80
	v_cvt_i32_f32_e32 v82, v82
	v_fmac_f32_e32 v83, 0x32a5705f, v28
	v_sub_f32_e32 v86, v86, v98
	v_add_f32_e32 v78, v78, v95
	v_exp_f32_e32 v77, v77
	v_exp_f32_e32 v79, v79
	;; [unrolled: 1-line block ×3, first 2 shown]
	v_cvt_i32_f32_e32 v96, v96
	v_add_f32_e32 v19, v84, v19
	v_add_f32_e32 v83, v86, v83
	v_exp_f32_e32 v78, v78
	v_ldexp_f32 v29, v29, v88
	v_cmp_ngt_f32_e64 s[36:37], s96, v15
	v_cvt_i32_f32_e32 v80, v80
	v_cvt_i32_f32_e32 v98, v98
	v_exp_f32_e32 v19, v19
	v_exp_f32_e32 v83, v83
	v_ldexp_f32 v74, v74, v90
	v_cndmask_b32_e64 v29, 0, v29, s[36:37]
	v_cmp_ngt_f32_e64 s[36:37], s96, v22
	v_ldexp_f32 v76, v76, v92
	v_ldexp_f32 v77, v77, v94
	v_cndmask_b32_e64 v74, 0, v74, s[36:37]
	v_cmp_ngt_f32_e64 s[36:37], s96, v23
	v_ldexp_f32 v18, v79, v18
	v_ldexp_f32 v79, v81, v82
	v_cndmask_b32_e64 v81, 0, v76, s[36:37]
	v_cmp_ngt_f32_e64 s[36:37], s96, v20
	v_ldexp_f32 v78, v78, v96
	v_ldexp_f32 v19, v19, v80
	v_cndmask_b32_e64 v82, 0, v77, s[36:37]
	v_cmp_ngt_f32_e64 s[36:37], s96, v24
	v_ldexp_f32 v80, v83, v98
	s_waitcnt vmcnt(0) lgkmcnt(0)
	ds_write_b128 v221, v[6:9]
	v_cndmask_b32_e64 v83, 0, v78, s[36:37]
	v_cmp_ngt_f32_e64 s[36:37], s96, v25
	s_nop 1
	v_cndmask_b32_e64 v18, 0, v18, s[36:37]
	v_cmp_ngt_f32_e64 s[36:37], s96, v26
	s_nop 1
	;; [unrolled: 3-line block ×3, first 2 shown]
	v_cndmask_b32_e64 v84, 0, v79, s[36:37]
	flat_load_dwordx4 v[76:79], v[16:17]
	v_cmp_ngt_f32_e64 s[36:37], s96, v28
	s_waitcnt vmcnt(0) lgkmcnt(0)
	ds_write_b128 v223, v[76:79]
	v_cndmask_b32_e64 v80, 0, v80, s[36:37]
	v_cmp_nlt_f32_e64 s[36:37], s81, v15
	s_waitcnt lgkmcnt(0)
	s_barrier
	v_cndmask_b32_e64 v6, v246, v29, s[36:37]
	v_cmp_nlt_f32_e64 s[36:37], s81, v22
	v_cndmask_b32_e64 v6, 0, v6, s[52:53]
	v_cvt_f16_f32_e32 v16, v6
	v_cndmask_b32_e64 v7, v246, v74, s[36:37]
	v_cmp_nlt_f32_e64 s[36:37], s81, v23
	v_cndmask_b32_e64 v1, v1, v7, s[48:49]
	v_add_f32_e32 v7, v7, v6
	v_cndmask_b32_e64 v8, v246, v81, s[36:37]
	v_cmp_nlt_f32_e64 s[36:37], s81, v20
	v_cndmask_b32_e64 v4, v4, v8, s[50:51]
	v_cvt_f16_f32_e32 v1, v1
	v_cndmask_b32_e64 v9, v246, v82, s[36:37]
	v_cmp_nlt_f32_e64 s[36:37], s81, v24
	v_cndmask_b32_e64 v3, v3, v9, s[46:47]
	v_cndmask_b32_e64 v6, v6, v7, s[48:49]
	;; [unrolled: 1-line block ×3, first 2 shown]
	v_cmp_nlt_f32_e64 s[36:37], s81, v25
	v_cvt_f16_f32_e32 v4, v4
	v_cvt_f16_f32_e32 v3, v3
	v_add_f32_e32 v7, v6, v8
	v_cndmask_b32_e64 v29, v246, v18, s[36:37]
	v_cmp_nlt_f32_e64 s[36:37], s81, v26
	v_cndmask_b32_e64 v6, v6, v7, s[50:51]
	v_add_f32_e32 v7, v6, v9
	v_cndmask_b32_e64 v74, v246, v19, s[36:37]
	v_cmp_nlt_f32_e64 s[36:37], s81, v27
	v_pack_b32_f16 v18, v16, v1
	v_cndmask_b32_e64 v1, v6, v7, s[46:47]
	v_cndmask_b32_e64 v81, v246, v84, s[36:37]
	v_cmp_nlt_f32_e64 s[36:37], s81, v28
	v_pack_b32_f16 v19, v4, v3
	v_add_f32_e32 v3, v23, v1
	v_cndmask_b32_e64 v15, v246, v80, s[36:37]
	v_cmp_le_f32_e64 s[36:37], s97, v28
	v_cndmask_b32_e32 v1, v1, v3, vcc
	v_cndmask_b32_e32 v12, v12, v23, vcc
	v_cndmask_b32_e64 v80, 0, v15, s[36:37]
	v_cndmask_b32_e64 v5, v5, v29, s[40:41]
	;; [unrolled: 1-line block ×4, first 2 shown]
	v_cvt_f16_f32_e32 v15, v80
	v_add_f32_e32 v3, v29, v1
	v_cvt_f16_f32_e32 v17, v12
	v_cvt_f16_f32_e32 v5, v5
	;; [unrolled: 1-line block ×4, first 2 shown]
	v_cndmask_b32_e64 v1, v1, v3, s[40:41]
	v_add_f32_e32 v3, v74, v1
	v_cndmask_b32_e64 v1, v1, v3, s[42:43]
	v_pk_mul_f16 v8, v15, v203 op_sel_hi:[0,1]
	v_pk_mul_f16 v9, v15, v202 op_sel_hi:[0,1]
	;; [unrolled: 1-line block ×4, first 2 shown]
	v_add_f32_e32 v3, v81, v1
	v_pack_b32_f16 v16, v17, v5
	v_pack_b32_f16 v17, v10, v11
	v_cvt_f32_f16_e32 v4, v8
	v_cvt_f32_f16_sdwa v5, v8 dst_sel:DWORD dst_unused:UNUSED_PAD src0_sel:WORD_1
	v_cvt_f32_f16_e32 v6, v9
	v_cvt_f32_f16_sdwa v7, v9 dst_sel:DWORD dst_unused:UNUSED_PAD src0_sel:WORD_1
	;; [unrolled: 2-line block ×4, first 2 shown]
	v_cndmask_b32_e64 v23, v1, v3, s[44:45]
	ds_read_u16 v1, v126
	ds_read_u16 v3, v126 offset:32
	ds_read_u16 v78, v126 offset:64
	;; [unrolled: 1-line block ×11, first 2 shown]
	ds_read_u16 v89, v124
	ds_read_u16 v90, v124 offset:32
	ds_read_u16 v91, v124 offset:64
	;; [unrolled: 1-line block ×7, first 2 shown]
	s_waitcnt lgkmcnt(14)
	v_perm_b32 v29, v1, v28, s64
	s_waitcnt lgkmcnt(7)
	v_perm_b32 v28, v74, v89, s64
	ds_read_u16 v1, v224 offset:544
	ds_read_u16 v74, v224 offset:272
	;; [unrolled: 1-line block ×3, first 2 shown]
	v_perm_b32 v77, v3, v77, s64
	s_waitcnt lgkmcnt(9)
	v_perm_b32 v76, v76, v90, s64
	v_mfma_f32_16x16x16_f16 v[4:7], v[28:29], v[18:19], v[4:7]
	s_waitcnt lgkmcnt(0)
	v_perm_b32 v29, v89, v1, s64
	v_perm_b32 v28, v74, v82, s64
	ds_read_u16 v90, v126 offset:224
	v_mfma_f32_16x16x16_f16 v[8:11], v[76:77], v[18:19], v[8:11]
	s_nop 1
	v_cvt_f16_f32_e32 v1, v4
	v_cvt_f16_f32_e32 v3, v5
	;; [unrolled: 1-line block ×4, first 2 shown]
	v_cvt_f32_f16_e32 v4, v1
	v_cvt_f32_f16_e32 v5, v3
	;; [unrolled: 1-line block ×4, first 2 shown]
	v_cvt_f16_f32_e32 v8, v8
	v_cvt_f16_f32_e32 v9, v9
	;; [unrolled: 1-line block ×4, first 2 shown]
	ds_read_u16 v1, v127 offset:8704
	ds_read_u16 v3, v128 offset:272
	ds_read_u16 v74, v226 offset:544
	ds_read_u16 v76, v129 offset:8704
	ds_read_u16 v82, v227 offset:272
	ds_read_u16 v89, v227 offset:544
	ds_read_u16 v97, v130 offset:8704
	ds_read_u16 v98, v131 offset:272
	s_waitcnt lgkmcnt(4)
	v_perm_b32 v77, v76, v74, s64
	v_perm_b32 v76, v3, v1, s64
	v_mfma_f32_16x16x16_f16 v[4:7], v[28:29], v[16:17], v[4:7]
	v_cvt_f32_f16_e32 v8, v8
	v_cvt_f32_f16_e32 v9, v9
	;; [unrolled: 1-line block ×4, first 2 shown]
	v_pk_mul_f16 v83, v15, v199 op_sel_hi:[0,1]
	v_pk_mul_f16 v84, v15, v198 op_sel_hi:[0,1]
	s_nop 0
	v_cvt_f16_f32_e32 v3, v5
	v_cvt_f16_f32_e32 v5, v6
	v_cvt_f16_f32_e32 v28, v7
	s_waitcnt lgkmcnt(2)
	v_perm_b32 v7, v78, v89, s64
	v_perm_b32 v6, v82, v91, s64
	v_cvt_f32_f16_e32 v74, v83
	v_fmac_f32_e32 v23, v75, v80
	v_cvt_f16_f32_e32 v1, v4
	v_mfma_f32_16x16x16_f16 v[8:11], v[76:77], v[16:17], v[8:11]
	v_cvt_f32_f16_sdwa v75, v83 dst_sel:DWORD dst_unused:UNUSED_PAD src0_sel:WORD_1
	v_cvt_f32_f16_e32 v76, v84
	v_cvt_f32_f16_sdwa v77, v84 dst_sel:DWORD dst_unused:UNUSED_PAD src0_sel:WORD_1
	v_pack_b32_f16 v4, v1, v3
	v_pack_b32_f16 v1, v5, v28
	s_nop 1
	v_cvt_f16_f32_e32 v3, v8
	v_cvt_f16_f32_e32 v5, v9
	v_mfma_f32_16x16x16_f16 v[6:9], v[6:7], v[18:19], v[74:77]
	v_pk_mul_f16 v85, v15, v197 op_sel_hi:[0,1]
	v_pk_mul_f16 v86, v15, v196 op_sel_hi:[0,1]
	v_cvt_f16_f32_e32 v89, v11
	v_pk_mul_f16 v27, v15, v195 op_sel_hi:[0,1]
	v_pk_mul_f16 v26, v15, v194 op_sel_hi:[0,1]
	s_nop 1
	v_cvt_f16_f32_e32 v6, v6
	v_cvt_f16_f32_e32 v7, v7
	;; [unrolled: 1-line block ×4, first 2 shown]
	v_cvt_f32_f16_e32 v74, v6
	v_cvt_f32_f16_e32 v75, v7
	;; [unrolled: 1-line block ×3, first 2 shown]
	ds_read_u16 v6, v228 offset:544
	ds_read_u16 v7, v132 offset:8704
	;; [unrolled: 1-line block ×8, first 2 shown]
	s_waitcnt lgkmcnt(6)
	v_perm_b32 v9, v7, v6, s64
	v_perm_b32 v8, v98, v97, s64
	v_cvt_f32_f16_e32 v77, v28
	s_waitcnt lgkmcnt(4)
	v_perm_b32 v29, v79, v29, s64
	v_perm_b32 v28, v78, v92, s64
	v_cvt_f16_f32_e32 v7, v10
	v_mfma_f32_16x16x16_f16 v[8:11], v[8:9], v[16:17], v[74:77]
	v_pack_b32_f16 v6, v3, v5
	v_cvt_f32_f16_e32 v78, v27
	v_pack_b32_f16 v3, v7, v89
	v_cvt_f32_f16_e32 v74, v85
	v_cvt_f32_f16_sdwa v75, v85 dst_sel:DWORD dst_unused:UNUSED_PAD src0_sel:WORD_1
	v_cvt_f32_f16_e32 v76, v86
	v_cvt_f32_f16_sdwa v77, v86 dst_sel:DWORD dst_unused:UNUSED_PAD src0_sel:WORD_1
	v_cvt_f16_f32_e32 v5, v8
	v_cvt_f16_f32_e32 v7, v9
	v_mfma_f32_16x16x16_f16 v[74:77], v[28:29], v[18:19], v[74:77]
	s_waitcnt lgkmcnt(0)
	v_perm_b32 v29, v84, v83, s64
	v_cvt_f32_f16_sdwa v79, v27 dst_sel:DWORD dst_unused:UNUSED_PAD src0_sel:WORD_1
	v_pk_mul_f16 v25, v15, v193 op_sel_hi:[0,1]
	v_pk_mul_f16 v12, v15, v192 op_sel_hi:[0,1]
	s_nop 1
	v_cvt_f16_f32_e32 v8, v74
	v_cvt_f16_f32_e32 v9, v75
	;; [unrolled: 1-line block ×4, first 2 shown]
	v_cvt_f32_f16_e32 v74, v8
	v_cvt_f32_f16_e32 v75, v9
	;; [unrolled: 1-line block ×3, first 2 shown]
	v_perm_b32 v28, v82, v80, s64
	v_cvt_f16_f32_e32 v9, v10
	v_cvt_f16_f32_e32 v82, v11
	v_pack_b32_f16 v8, v5, v7
	ds_read_u16 v5, v231 offset:272
	ds_read_u16 v7, v231 offset:544
	;; [unrolled: 1-line block ×8, first 2 shown]
	s_waitcnt lgkmcnt(6)
	v_perm_b32 v11, v81, v7, s64
	v_perm_b32 v10, v5, v93, s64
	v_cvt_f32_f16_e32 v77, v77
	v_cvt_f32_f16_e32 v80, v26
	v_cvt_f32_f16_sdwa v81, v26 dst_sel:DWORD dst_unused:UNUSED_PAD src0_sel:WORD_1
	v_mfma_f32_16x16x16_f16 v[74:77], v[28:29], v[16:17], v[74:77]
	v_pack_b32_f16 v5, v9, v82
	v_pk_mul_f16 v24, v15, v191 op_sel_hi:[0,1]
	v_pk_mul_f16 v20, v15, v190 op_sel_hi:[0,1]
	v_mfma_f32_16x16x16_f16 v[26:29], v[10:11], v[18:19], v[78:81]
	s_nop 2
	v_cvt_f16_f32_e32 v7, v74
	v_cvt_f16_f32_e32 v9, v75
	s_waitcnt lgkmcnt(2)
	v_perm_b32 v75, v86, v85, s64
	v_perm_b32 v74, v84, v83, s64
	s_waitcnt lgkmcnt(0)
	v_perm_b32 v79, v87, v91, s64
	v_cvt_f16_f32_e32 v10, v26
	v_cvt_f16_f32_e32 v11, v27
	;; [unrolled: 1-line block ×4, first 2 shown]
	v_cvt_f32_f16_e32 v26, v10
	v_cvt_f32_f16_e32 v27, v11
	v_cvt_f32_f16_e32 v28, v28
	v_cvt_f32_f16_e32 v29, v29
	v_perm_b32 v78, v89, v94, s64
	v_cvt_f16_f32_e32 v11, v76
	v_cvt_f16_f32_e32 v80, v77
	v_mfma_f32_16x16x16_f16 v[26:29], v[74:75], v[16:17], v[26:29]
	v_cvt_f32_f16_e32 v74, v25
	v_cvt_f32_f16_sdwa v75, v25 dst_sel:DWORD dst_unused:UNUSED_PAD src0_sel:WORD_1
	v_cvt_f32_f16_e32 v76, v12
	v_cvt_f32_f16_sdwa v77, v12 dst_sel:DWORD dst_unused:UNUSED_PAD src0_sel:WORD_1
	v_pack_b32_f16 v10, v7, v9
	s_nop 1
	v_cvt_f16_f32_e32 v9, v26
	v_mfma_f32_16x16x16_f16 v[74:77], v[78:79], v[18:19], v[74:77]
	v_pack_b32_f16 v7, v11, v80
	v_cvt_f16_f32_e32 v11, v27
	v_cvt_f16_f32_e32 v82, v28
	v_cvt_f16_f32_e32 v83, v29
	s_nop 2
	v_cvt_f16_f32_e32 v12, v74
	v_cvt_f16_f32_e32 v25, v75
	;; [unrolled: 1-line block ×4, first 2 shown]
	v_cvt_f32_f16_e32 v74, v12
	v_cvt_f32_f16_e32 v75, v25
	;; [unrolled: 1-line block ×3, first 2 shown]
	ds_read_u16 v12, v139 offset:8704
	ds_read_u16 v25, v140 offset:272
	;; [unrolled: 1-line block ×8, first 2 shown]
	s_waitcnt lgkmcnt(4)
	v_perm_b32 v27, v27, v26, s64
	v_perm_b32 v26, v25, v12, s64
	v_cvt_f32_f16_e32 v77, v77
	s_waitcnt lgkmcnt(2)
	v_perm_b32 v25, v88, v79, s64
	v_pack_b32_f16 v12, v9, v11
	v_mfma_f32_16x16x16_f16 v[26:29], v[26:27], v[16:17], v[74:77]
	v_pack_b32_f16 v9, v82, v83
	v_pk_mul_f16 v22, v15, v188 op_sel_hi:[0,1]
	s_nop 0
	v_cvt_f32_f16_e32 v74, v24
	v_cvt_f32_f16_sdwa v75, v24 dst_sel:DWORD dst_unused:UNUSED_PAD src0_sel:WORD_1
	v_perm_b32 v24, v78, v95, s64
	v_cvt_f32_f16_e32 v76, v20
	v_cvt_f32_f16_sdwa v77, v20 dst_sel:DWORD dst_unused:UNUSED_PAD src0_sel:WORD_1
	v_cvt_f16_f32_e32 v11, v26
	v_cvt_f16_f32_e32 v20, v27
	v_mfma_f32_16x16x16_f16 v[24:27], v[24:25], v[18:19], v[74:77]
	s_nop 2
	ds_read_u16 v74, v236 offset:544
	ds_read_u16 v75, v144 offset:8704
	;; [unrolled: 1-line block ×8, first 2 shown]
	s_waitcnt lgkmcnt(6)
	v_perm_b32 v75, v75, v74, s64
	v_perm_b32 v74, v81, v80, s64
	v_cvt_f16_f32_e32 v24, v24
	v_cvt_f16_f32_e32 v25, v25
	;; [unrolled: 1-line block ×4, first 2 shown]
	v_cvt_f32_f16_e32 v24, v24
	v_cvt_f32_f16_e32 v25, v25
	;; [unrolled: 1-line block ×4, first 2 shown]
	v_pk_mul_f16 v15, v15, v186 op_sel_hi:[0,1]
	v_cvt_f16_f32_e32 v80, v28
	v_cvt_f16_f32_e32 v81, v29
	s_waitcnt lgkmcnt(4)
	v_perm_b32 v29, v90, v78, s64
	v_perm_b32 v28, v77, v96, s64
	v_mfma_f32_16x16x16_f16 v[24:27], v[74:75], v[16:17], v[24:27]
	v_cvt_f32_f16_e32 v74, v22
	v_cvt_f32_f16_sdwa v75, v22 dst_sel:DWORD dst_unused:UNUSED_PAD src0_sel:WORD_1
	v_cvt_f32_f16_e32 v76, v15
	v_cvt_f32_f16_sdwa v77, v15 dst_sel:DWORD dst_unused:UNUSED_PAD src0_sel:WORD_1
	v_readlane_b32 s36, v255, 1
	s_nop 1
	v_cvt_f16_f32_e32 v15, v24
	v_mfma_f32_16x16x16_f16 v[74:77], v[28:29], v[18:19], v[74:77]
	v_cvt_f16_f32_e32 v22, v25
	s_waitcnt lgkmcnt(0)
	v_perm_b32 v25, v84, v83, s64
	v_readlane_b32 s37, v255, 2
	s_xor_b64 s[36:37], s[36:37], -1
	s_nop 1
	v_cvt_f16_f32_e32 v24, v76
	v_cvt_f16_f32_e32 v18, v74
	;; [unrolled: 1-line block ×4, first 2 shown]
	v_cvt_f32_f16_e32 v76, v24
	v_perm_b32 v24, v82, v79, s64
	v_cvt_f32_f16_e32 v74, v18
	v_cvt_f32_f16_e32 v75, v19
	;; [unrolled: 1-line block ×3, first 2 shown]
	v_cvt_f16_f32_e32 v19, v26
	v_cvt_f16_f32_e32 v28, v27
	v_mfma_f32_16x16x16_f16 v[24:27], v[24:25], v[16:17], v[74:77]
	ds_bpermute_b32 v17, v13, v23
	v_pack_b32_f16 v18, v15, v22
	v_pack_b32_f16 v13, v19, v28
	;; [unrolled: 1-line block ×3, first 2 shown]
	s_nop 2
	v_cvt_f16_f32_e32 v15, v24
	v_cvt_f16_f32_e32 v16, v25
	;; [unrolled: 1-line block ×4, first 2 shown]
	v_pack_b32_f16 v11, v80, v81
	v_pack_b32_f16 v16, v15, v16
	s_waitcnt lgkmcnt(0)
	v_add_f32_e32 v15, v23, v17
	ds_bpermute_b32 v23, v21, v15
	v_pack_b32_f16 v17, v19, v22
	s_or_b64 s[26:27], s[36:37], s[26:27]
	s_waitcnt lgkmcnt(0)
	s_barrier
	v_add_f32_e32 v15, v15, v23
	s_and_saveexec_b64 s[36:37], s[26:27]
	s_xor_b64 s[26:27], exec, s[36:37]
	s_andn2_saveexec_b64 s[26:27], s[26:27]
	s_cbranch_execz .LBB24_227
; %bb.226:                              ;   in Loop: Header=BB24_12 Depth=1
	global_load_dword v19, v2, s[90:91]
	v_max_f32_e32 v23, v14, v14
	s_waitcnt vmcnt(0)
	v_max_f32_e32 v22, v19, v19
	v_max_f32_e32 v22, v23, v22
	v_sub_f32_e32 v14, v14, v22
	v_mul_f32_e32 v23, 0x3fb8aa3b, v14
	v_fma_f32 v24, v14, s89, -v23
	v_rndne_f32_e32 v25, v23
	v_fmac_f32_e32 v24, 0x32a5705f, v14
	v_sub_f32_e32 v23, v23, v25
	v_add_f32_e32 v23, v23, v24
	v_exp_f32_e32 v23, v23
	v_cvt_i32_f32_e32 v24, v25
	v_cmp_ngt_f32_e32 vcc, s96, v14
	v_sub_f32_e32 v19, v19, v22
	v_ldexp_f32 v23, v23, v24
	v_cndmask_b32_e32 v23, 0, v23, vcc
	v_cmp_nlt_f32_e32 vcc, s81, v14
	s_nop 1
	v_cndmask_b32_e32 v23, v246, v23, vcc
	v_cmp_le_f32_e32 vcc, s97, v14
	s_nop 1
	v_cndmask_b32_e32 v14, 0, v23, vcc
	v_cvt_f16_f32_e32 v23, v14
	v_cmp_ngt_f32_e32 vcc, s96, v19
	v_pk_mul_f16 v4, v23, v4 op_sel_hi:[0,1]
	v_pk_mul_f16 v1, v23, v1 op_sel_hi:[0,1]
	;; [unrolled: 1-line block ×16, first 2 shown]
	v_mul_f32_e32 v23, 0x3fb8aa3b, v19
	v_fma_f32 v24, v19, s89, -v23
	v_rndne_f32_e32 v25, v23
	v_fmac_f32_e32 v24, 0x32a5705f, v19
	v_sub_f32_e32 v23, v23, v25
	v_add_f32_e32 v23, v23, v24
	v_exp_f32_e32 v23, v23
	v_cvt_i32_f32_e32 v24, v25
	v_ldexp_f32 v23, v23, v24
	v_cndmask_b32_e32 v23, 0, v23, vcc
	v_cmp_nlt_f32_e32 vcc, s81, v19
	s_nop 1
	v_cndmask_b32_e32 v23, v246, v23, vcc
	v_fmac_f32_e32 v23, v15, v14
	v_mov_b64_e32 v[14:15], v[22:23]
.LBB24_227:                             ;   in Loop: Header=BB24_12 Depth=1
	s_or_b64 exec, exec, s[26:27]
	s_mov_b64 s[26:27], exec
	v_readlane_b32 s36, v255, 5
	v_readlane_b32 s37, v255, 6
	s_and_b64 s[36:37], s[26:27], s[36:37]
	s_mov_b64 exec, s[36:37]
	s_cbranch_execz .LBB24_229
; %bb.228:                              ;   in Loop: Header=BB24_12 Depth=1
	v_add_u32_e32 v19, 0, v173
	ds_write2_b32 v19, v14, v15 offset0:64 offset1:65
.LBB24_229:                             ;   in Loop: Header=BB24_12 Depth=1
	s_or_b64 exec, exec, s[26:27]
	s_waitcnt lgkmcnt(0)
	s_barrier
	s_mov_b64 s[26:27], exec
	v_readlane_b32 s36, v255, 3
	v_readlane_b32 s37, v255, 4
	s_and_b64 s[36:37], s[26:27], s[36:37]
	s_xor_b64 s[26:27], s[36:37], s[26:27]
	s_mov_b64 exec, s[36:37]
	s_cbranch_execz .LBB24_231
; %bb.230:                              ;   in Loop: Header=BB24_12 Depth=1
	s_barrier
	s_waitcnt lgkmcnt(0)
                                        ; implicit-def: $vgpr21
.LBB24_231:                             ;   in Loop: Header=BB24_12 Depth=1
	s_andn2_saveexec_b64 s[26:27], s[26:27]
	s_cbranch_execz .LBB24_235
; %bb.232:                              ;   in Loop: Header=BB24_12 Depth=1
	v_add_u32_e32 v19, 0, v174
	ds_read_b64 v[14:15], v19 offset:256
	s_waitcnt lgkmcnt(0)
	s_barrier
	ds_bpermute_b32 v22, v21, v14
	v_max_f32_e32 v23, v14, v14
	s_waitcnt lgkmcnt(0)
	v_max_f32_e32 v22, v22, v22
	v_max_f32_e32 v22, v23, v22
	v_sub_f32_e32 v14, v14, v22
	v_mul_f32_e32 v22, 0x3fb8aa3b, v14
	v_fma_f32 v23, v14, s89, -v22
	v_rndne_f32_e32 v24, v22
	v_fmac_f32_e32 v23, 0x32a5705f, v14
	v_sub_f32_e32 v22, v22, v24
	v_add_f32_e32 v22, v22, v23
	v_cvt_i32_f32_e32 v24, v24
	v_exp_f32_e32 v22, v22
	v_cmp_ngt_f32_e32 vcc, s96, v14
	v_ldexp_f32 v22, v22, v24
	s_nop 0
	v_cndmask_b32_e32 v22, 0, v22, vcc
	v_cmp_nlt_f32_e32 vcc, s81, v14
	s_nop 1
	v_cndmask_b32_e32 v14, v246, v22, vcc
	v_mul_f32_e32 v15, v15, v14
	ds_bpermute_b32 v21, v21, v15
	s_mov_b64 s[36:37], exec
	v_readlane_b32 s38, v255, 7
	v_readlane_b32 s39, v255, 8
	s_and_b64 s[38:39], s[36:37], s[38:39]
	s_mov_b64 exec, s[38:39]
	s_cbranch_execz .LBB24_234
; %bb.233:                              ;   in Loop: Header=BB24_12 Depth=1
	s_waitcnt lgkmcnt(0)
	v_add_f32_e32 v15, v15, v21
	ds_write_b64 v19, v[14:15] offset:256
.LBB24_234:                             ;   in Loop: Header=BB24_12 Depth=1
	s_or_b64 exec, exec, s[36:37]
.LBB24_235:                             ;   in Loop: Header=BB24_12 Depth=1
	s_or_b64 exec, exec, s[26:27]
	ds_write2_b32 v175, v4, v1 offset1:1
	ds_write2_b32 v175, v6, v3 offset0:8 offset1:9
	ds_write2_b32 v175, v8, v5 offset0:16 offset1:17
	;; [unrolled: 1-line block ×7, first 2 shown]
	s_waitcnt lgkmcnt(0)
	s_barrier
	s_mov_b64 s[26:27], exec
	v_readlane_b32 s36, v255, 1
	v_readlane_b32 s37, v255, 2
	s_and_b64 s[36:37], s[26:27], s[36:37]
	s_mov_b64 exec, s[36:37]
	s_cbranch_execz .LBB24_10
; %bb.236:                              ;   in Loop: Header=BB24_12 Depth=1
	v_add_u32_e32 v1, s56, v148
	v_cmp_gt_i32_e32 vcc, s80, v1
	v_mov_b32_e32 v3, 0x47
	s_and_saveexec_b64 s[36:37], vcc
	s_cbranch_execz .LBB24_238
; %bb.237:                              ;   in Loop: Header=BB24_12 Depth=1
	v_add_u32_e32 v3, 0, v178
	ds_read2_b32 v[4:5], v3 offset0:64 offset1:65
	ds_read2st64_b32 v[6:7], v179 offset1:17
	ds_read_b32 v8, v3 offset:4608
	v_readlane_b32 s34, v254, 56
	s_waitcnt lgkmcnt(1)
	v_cvt_f32_f16_sdwa v13, v6 dst_sel:DWORD dst_unused:UNUSED_PAD src0_sel:WORD_1
	v_cvt_f32_f16_e32 v12, v6
	v_cvt_f32_f16_sdwa v15, v7 dst_sel:DWORD dst_unused:UNUSED_PAD src0_sel:WORD_1
	v_cvt_f32_f16_e32 v14, v7
	v_mad_u64_u32 v[10:11], s[38:39], s34, v1, v[32:33]
	v_pk_fma_f32 v[12:13], v[4:5], v[12:13], 0 op_sel_hi:[0,1,0]
	s_waitcnt lgkmcnt(0)
	v_pk_fma_f32 v[6:7], v[8:9], v[14:15], v[12:13] op_sel_hi:[0,1,1]
	v_div_scale_f32 v1, s[38:39], v5, v5, v7
	v_rcp_f32_e32 v3, v1
	v_ashrrev_i32_e32 v11, 31, v10
	v_lshl_add_u64 v[10:11], v[10:11], 3, s[62:63]
	v_fma_f32 v4, -v1, v3, 1.0
	v_fmac_f32_e32 v3, v4, v3
	v_div_scale_f32 v4, vcc, v7, v5, v7
	v_mul_f32_e32 v8, v4, v3
	v_fma_f32 v9, -v1, v8, v4
	v_fmac_f32_e32 v8, v9, v3
	v_fma_f32 v1, -v1, v8, v4
	v_div_fmas_f32 v1, v1, v3, v8
	v_div_fixup_f32 v7, v1, v5, v7
	v_div_scale_f32 v1, s[38:39], v5, v5, v6
	v_rcp_f32_e32 v3, v1
	s_nop 0
	v_fma_f32 v4, -v1, v3, 1.0
	v_fmac_f32_e32 v3, v4, v3
	v_div_scale_f32 v4, vcc, v6, v5, v6
	v_mul_f32_e32 v8, v4, v3
	v_fma_f32 v9, -v1, v8, v4
	v_fmac_f32_e32 v8, v9, v3
	v_fma_f32 v1, -v1, v8, v4
	v_div_fmas_f32 v1, v1, v3, v8
	v_div_fixup_f32 v6, v1, v5, v6
	v_mov_b32_e32 v3, 0
	global_store_dwordx2 v[10:11], v[6:7], off
.LBB24_238:                             ;   in Loop: Header=BB24_12 Depth=1
	s_or_b64 exec, exec, s[36:37]
	s_movk_i32 s34, 0x47
	v_cmp_gt_i32_e32 vcc, s34, v3
	s_mov_b64 s[36:37], -1
	s_and_saveexec_b64 s[38:39], vcc
; %bb.239:                              ;   in Loop: Header=BB24_12 Depth=1
	v_cmp_eq_u32_e32 vcc, 0, v3
	s_orn2_b64 s[36:37], vcc, exec
; %bb.240:                              ;   in Loop: Header=BB24_12 Depth=1
	s_or_b64 exec, exec, s[38:39]
	s_and_b64 exec, exec, s[36:37]
	s_cbranch_execz .LBB24_10
; %bb.241:                              ;   in Loop: Header=BB24_12 Depth=1
	v_add_u32_e32 v1, s56, v149
	v_cmp_gt_i32_e32 vcc, s80, v1
	v_mov_b32_e32 v3, 0x47
	s_and_saveexec_b64 s[36:37], vcc
	s_cbranch_execz .LBB24_243
; %bb.242:                              ;   in Loop: Header=BB24_12 Depth=1
	v_add_u32_e32 v3, 0, v180
	ds_read2_b32 v[4:5], v3 offset0:64 offset1:65
	ds_read2st64_b32 v[6:7], v181 offset1:17
	ds_read_b32 v8, v3 offset:4608
	v_readlane_b32 s34, v254, 56
	s_waitcnt lgkmcnt(1)
	v_cvt_f32_f16_sdwa v13, v6 dst_sel:DWORD dst_unused:UNUSED_PAD src0_sel:WORD_1
	v_cvt_f32_f16_e32 v12, v6
	v_cvt_f32_f16_sdwa v15, v7 dst_sel:DWORD dst_unused:UNUSED_PAD src0_sel:WORD_1
	v_cvt_f32_f16_e32 v14, v7
	v_mad_u64_u32 v[10:11], s[38:39], s34, v1, v[32:33]
	v_pk_fma_f32 v[12:13], v[4:5], v[12:13], 0 op_sel_hi:[0,1,0]
	s_waitcnt lgkmcnt(0)
	v_pk_fma_f32 v[6:7], v[8:9], v[14:15], v[12:13] op_sel_hi:[0,1,1]
	v_div_scale_f32 v1, s[38:39], v5, v5, v7
	v_rcp_f32_e32 v3, v1
	v_ashrrev_i32_e32 v11, 31, v10
	v_lshl_add_u64 v[10:11], v[10:11], 3, s[62:63]
	v_fma_f32 v4, -v1, v3, 1.0
	v_fmac_f32_e32 v3, v4, v3
	v_div_scale_f32 v4, vcc, v7, v5, v7
	v_mul_f32_e32 v8, v4, v3
	v_fma_f32 v9, -v1, v8, v4
	v_fmac_f32_e32 v8, v9, v3
	v_fma_f32 v1, -v1, v8, v4
	v_div_fmas_f32 v1, v1, v3, v8
	v_div_fixup_f32 v7, v1, v5, v7
	v_div_scale_f32 v1, s[38:39], v5, v5, v6
	v_rcp_f32_e32 v3, v1
	s_nop 0
	v_fma_f32 v4, -v1, v3, 1.0
	v_fmac_f32_e32 v3, v4, v3
	v_div_scale_f32 v4, vcc, v6, v5, v6
	v_mul_f32_e32 v8, v4, v3
	v_fma_f32 v9, -v1, v8, v4
	v_fmac_f32_e32 v8, v9, v3
	v_fma_f32 v1, -v1, v8, v4
	v_div_fmas_f32 v1, v1, v3, v8
	v_div_fixup_f32 v6, v1, v5, v6
	v_mov_b32_e32 v3, 0
	global_store_dwordx2 v[10:11], v[6:7], off
.LBB24_243:                             ;   in Loop: Header=BB24_12 Depth=1
	s_or_b64 exec, exec, s[36:37]
	s_movk_i32 s34, 0x47
	v_cmp_gt_i32_e32 vcc, s34, v3
	s_mov_b64 s[36:37], -1
	s_and_saveexec_b64 s[38:39], vcc
; %bb.244:                              ;   in Loop: Header=BB24_12 Depth=1
	v_cmp_eq_u32_e32 vcc, 0, v3
	s_orn2_b64 s[36:37], vcc, exec
; %bb.245:                              ;   in Loop: Header=BB24_12 Depth=1
	s_or_b64 exec, exec, s[38:39]
	s_and_b64 exec, exec, s[36:37]
	;; [unrolled: 61-line block ×3, first 2 shown]
	s_cbranch_execz .LBB24_10
; %bb.251:                              ;   in Loop: Header=BB24_12 Depth=1
	v_add_u32_e32 v1, s56, v151
	v_cmp_gt_i32_e32 vcc, s80, v1
	v_mov_b32_e32 v3, 0x47
	s_and_saveexec_b64 s[36:37], vcc
	s_cbranch_execz .LBB24_253
; %bb.252:                              ;   in Loop: Header=BB24_12 Depth=1
	scratch_load_dword v3, off, off offset:16 ; 4-byte Folded Reload
	scratch_load_dword v6, off, off offset:20 ; 4-byte Folded Reload
	v_readlane_b32 s34, v254, 56
	s_waitcnt vmcnt(1)
	v_add_u32_e32 v3, 0, v3
	ds_read2_b32 v[4:5], v3 offset0:64 offset1:65
	s_waitcnt vmcnt(0)
	ds_read2st64_b32 v[6:7], v6 offset1:17
	ds_read_b32 v8, v3 offset:4608
	v_mad_u64_u32 v[10:11], s[38:39], s34, v1, v[32:33]
	v_ashrrev_i32_e32 v11, 31, v10
	s_waitcnt lgkmcnt(1)
	v_cvt_f32_f16_sdwa v13, v6 dst_sel:DWORD dst_unused:UNUSED_PAD src0_sel:WORD_1
	v_cvt_f32_f16_e32 v12, v6
	v_cvt_f32_f16_sdwa v15, v7 dst_sel:DWORD dst_unused:UNUSED_PAD src0_sel:WORD_1
	v_cvt_f32_f16_e32 v14, v7
	v_lshl_add_u64 v[10:11], v[10:11], 3, s[62:63]
	v_pk_fma_f32 v[12:13], v[4:5], v[12:13], 0 op_sel_hi:[0,1,0]
	s_waitcnt lgkmcnt(0)
	v_pk_fma_f32 v[6:7], v[8:9], v[14:15], v[12:13] op_sel_hi:[0,1,1]
	v_div_scale_f32 v1, s[38:39], v5, v5, v7
	v_rcp_f32_e32 v3, v1
	s_nop 0
	v_fma_f32 v4, -v1, v3, 1.0
	v_fmac_f32_e32 v3, v4, v3
	v_div_scale_f32 v4, vcc, v7, v5, v7
	v_mul_f32_e32 v8, v4, v3
	v_fma_f32 v9, -v1, v8, v4
	v_fmac_f32_e32 v8, v9, v3
	v_fma_f32 v1, -v1, v8, v4
	v_div_fmas_f32 v1, v1, v3, v8
	v_div_fixup_f32 v7, v1, v5, v7
	v_div_scale_f32 v1, s[38:39], v5, v5, v6
	v_rcp_f32_e32 v3, v1
	s_nop 0
	v_fma_f32 v4, -v1, v3, 1.0
	v_fmac_f32_e32 v3, v4, v3
	v_div_scale_f32 v4, vcc, v6, v5, v6
	v_mul_f32_e32 v8, v4, v3
	v_fma_f32 v9, -v1, v8, v4
	v_fmac_f32_e32 v8, v9, v3
	v_fma_f32 v1, -v1, v8, v4
	v_div_fmas_f32 v1, v1, v3, v8
	v_div_fixup_f32 v6, v1, v5, v6
	v_mov_b32_e32 v3, 0
	global_store_dwordx2 v[10:11], v[6:7], off
.LBB24_253:                             ;   in Loop: Header=BB24_12 Depth=1
	s_or_b64 exec, exec, s[36:37]
	s_movk_i32 s34, 0x47
	v_cmp_gt_i32_e32 vcc, s34, v3
	s_mov_b64 s[36:37], -1
	s_and_saveexec_b64 s[38:39], vcc
; %bb.254:                              ;   in Loop: Header=BB24_12 Depth=1
	v_cmp_eq_u32_e32 vcc, 0, v3
	s_orn2_b64 s[36:37], vcc, exec
; %bb.255:                              ;   in Loop: Header=BB24_12 Depth=1
	s_or_b64 exec, exec, s[38:39]
	s_and_b64 exec, exec, s[36:37]
	s_cbranch_execz .LBB24_10
; %bb.256:                              ;   in Loop: Header=BB24_12 Depth=1
	v_add_u32_e32 v1, s56, v152
	v_cmp_gt_i32_e32 vcc, s80, v1
	v_mov_b32_e32 v3, 0x47
	s_and_saveexec_b64 s[36:37], vcc
	s_cbranch_execz .LBB24_258
; %bb.257:                              ;   in Loop: Header=BB24_12 Depth=1
	scratch_load_dword v3, off, off offset:24 ; 4-byte Folded Reload
	scratch_load_dword v6, off, off offset:28 ; 4-byte Folded Reload
	v_readlane_b32 s34, v254, 56
	s_waitcnt vmcnt(1)
	v_add_u32_e32 v3, 0, v3
	ds_read2_b32 v[4:5], v3 offset0:64 offset1:65
	s_waitcnt vmcnt(0)
	ds_read2st64_b32 v[6:7], v6 offset1:17
	ds_read_b32 v8, v3 offset:4608
	v_mad_u64_u32 v[10:11], s[38:39], s34, v1, v[32:33]
	v_ashrrev_i32_e32 v11, 31, v10
	s_waitcnt lgkmcnt(1)
	v_cvt_f32_f16_sdwa v13, v6 dst_sel:DWORD dst_unused:UNUSED_PAD src0_sel:WORD_1
	v_cvt_f32_f16_e32 v12, v6
	v_cvt_f32_f16_sdwa v15, v7 dst_sel:DWORD dst_unused:UNUSED_PAD src0_sel:WORD_1
	v_cvt_f32_f16_e32 v14, v7
	v_lshl_add_u64 v[10:11], v[10:11], 3, s[62:63]
	v_pk_fma_f32 v[12:13], v[4:5], v[12:13], 0 op_sel_hi:[0,1,0]
	s_waitcnt lgkmcnt(0)
	v_pk_fma_f32 v[6:7], v[8:9], v[14:15], v[12:13] op_sel_hi:[0,1,1]
	v_div_scale_f32 v1, s[38:39], v5, v5, v7
	v_rcp_f32_e32 v3, v1
	s_nop 0
	v_fma_f32 v4, -v1, v3, 1.0
	v_fmac_f32_e32 v3, v4, v3
	v_div_scale_f32 v4, vcc, v7, v5, v7
	v_mul_f32_e32 v8, v4, v3
	v_fma_f32 v9, -v1, v8, v4
	v_fmac_f32_e32 v8, v9, v3
	v_fma_f32 v1, -v1, v8, v4
	v_div_fmas_f32 v1, v1, v3, v8
	v_div_fixup_f32 v7, v1, v5, v7
	v_div_scale_f32 v1, s[38:39], v5, v5, v6
	v_rcp_f32_e32 v3, v1
	s_nop 0
	v_fma_f32 v4, -v1, v3, 1.0
	v_fmac_f32_e32 v3, v4, v3
	v_div_scale_f32 v4, vcc, v6, v5, v6
	v_mul_f32_e32 v8, v4, v3
	v_fma_f32 v9, -v1, v8, v4
	v_fmac_f32_e32 v8, v9, v3
	v_fma_f32 v1, -v1, v8, v4
	v_div_fmas_f32 v1, v1, v3, v8
	v_div_fixup_f32 v6, v1, v5, v6
	v_mov_b32_e32 v3, 0
	global_store_dwordx2 v[10:11], v[6:7], off
.LBB24_258:                             ;   in Loop: Header=BB24_12 Depth=1
	s_or_b64 exec, exec, s[36:37]
	s_movk_i32 s34, 0x47
	v_cmp_gt_i32_e32 vcc, s34, v3
	s_mov_b64 s[36:37], -1
	s_and_saveexec_b64 s[38:39], vcc
; %bb.259:                              ;   in Loop: Header=BB24_12 Depth=1
	v_cmp_eq_u32_e32 vcc, 0, v3
	s_orn2_b64 s[36:37], vcc, exec
; %bb.260:                              ;   in Loop: Header=BB24_12 Depth=1
	s_or_b64 exec, exec, s[38:39]
	s_and_b64 exec, exec, s[36:37]
	s_cbranch_execz .LBB24_10
; %bb.261:                              ;   in Loop: Header=BB24_12 Depth=1
	v_add_u32_e32 v1, s56, v153
	v_cmp_gt_i32_e32 vcc, s80, v1
	v_mov_b32_e32 v3, 0x47
	s_and_saveexec_b64 s[36:37], vcc
	s_cbranch_execz .LBB24_263
; %bb.262:                              ;   in Loop: Header=BB24_12 Depth=1
	scratch_load_dword v3, off, off offset:32 ; 4-byte Folded Reload
	scratch_load_dword v6, off, off offset:36 ; 4-byte Folded Reload
	v_readlane_b32 s34, v254, 56
	s_waitcnt vmcnt(1)
	v_add_u32_e32 v3, 0, v3
	ds_read2_b32 v[4:5], v3 offset0:64 offset1:65
	s_waitcnt vmcnt(0)
	ds_read2st64_b32 v[6:7], v6 offset1:17
	ds_read_b32 v8, v3 offset:4608
	v_mad_u64_u32 v[10:11], s[38:39], s34, v1, v[32:33]
	v_ashrrev_i32_e32 v11, 31, v10
	s_waitcnt lgkmcnt(1)
	v_cvt_f32_f16_sdwa v13, v6 dst_sel:DWORD dst_unused:UNUSED_PAD src0_sel:WORD_1
	v_cvt_f32_f16_e32 v12, v6
	v_cvt_f32_f16_sdwa v15, v7 dst_sel:DWORD dst_unused:UNUSED_PAD src0_sel:WORD_1
	v_cvt_f32_f16_e32 v14, v7
	v_lshl_add_u64 v[10:11], v[10:11], 3, s[62:63]
	v_pk_fma_f32 v[12:13], v[4:5], v[12:13], 0 op_sel_hi:[0,1,0]
	s_waitcnt lgkmcnt(0)
	v_pk_fma_f32 v[6:7], v[8:9], v[14:15], v[12:13] op_sel_hi:[0,1,1]
	v_div_scale_f32 v1, s[38:39], v5, v5, v7
	v_rcp_f32_e32 v3, v1
	s_nop 0
	v_fma_f32 v4, -v1, v3, 1.0
	v_fmac_f32_e32 v3, v4, v3
	v_div_scale_f32 v4, vcc, v7, v5, v7
	v_mul_f32_e32 v8, v4, v3
	v_fma_f32 v9, -v1, v8, v4
	v_fmac_f32_e32 v8, v9, v3
	v_fma_f32 v1, -v1, v8, v4
	v_div_fmas_f32 v1, v1, v3, v8
	v_div_fixup_f32 v7, v1, v5, v7
	v_div_scale_f32 v1, s[38:39], v5, v5, v6
	v_rcp_f32_e32 v3, v1
	s_nop 0
	v_fma_f32 v4, -v1, v3, 1.0
	v_fmac_f32_e32 v3, v4, v3
	v_div_scale_f32 v4, vcc, v6, v5, v6
	v_mul_f32_e32 v8, v4, v3
	v_fma_f32 v9, -v1, v8, v4
	v_fmac_f32_e32 v8, v9, v3
	v_fma_f32 v1, -v1, v8, v4
	v_div_fmas_f32 v1, v1, v3, v8
	v_div_fixup_f32 v6, v1, v5, v6
	v_mov_b32_e32 v3, 0
	global_store_dwordx2 v[10:11], v[6:7], off
.LBB24_263:                             ;   in Loop: Header=BB24_12 Depth=1
	s_or_b64 exec, exec, s[36:37]
	s_movk_i32 s34, 0x47
	v_cmp_gt_i32_e32 vcc, s34, v3
	s_mov_b64 s[36:37], -1
	s_and_saveexec_b64 s[38:39], vcc
; %bb.264:                              ;   in Loop: Header=BB24_12 Depth=1
	v_cmp_eq_u32_e32 vcc, 0, v3
	s_orn2_b64 s[36:37], vcc, exec
; %bb.265:                              ;   in Loop: Header=BB24_12 Depth=1
	s_or_b64 exec, exec, s[38:39]
	s_and_b64 exec, exec, s[36:37]
	s_cbranch_execz .LBB24_10
; %bb.266:                              ;   in Loop: Header=BB24_12 Depth=1
	v_add_u32_e32 v1, s56, v154
	v_cmp_gt_i32_e32 vcc, s80, v1
	v_mov_b32_e32 v3, 0x47
	s_and_saveexec_b64 s[36:37], vcc
	s_cbranch_execz .LBB24_268
; %bb.267:                              ;   in Loop: Header=BB24_12 Depth=1
	scratch_load_dword v3, off, off offset:40 ; 4-byte Folded Reload
	scratch_load_dword v6, off, off offset:44 ; 4-byte Folded Reload
	v_readlane_b32 s34, v254, 56
	s_waitcnt vmcnt(1)
	v_add_u32_e32 v3, 0, v3
	ds_read2_b32 v[4:5], v3 offset0:64 offset1:65
	s_waitcnt vmcnt(0)
	ds_read2st64_b32 v[6:7], v6 offset1:17
	ds_read_b32 v8, v3 offset:4608
	v_mad_u64_u32 v[10:11], s[38:39], s34, v1, v[32:33]
	v_ashrrev_i32_e32 v11, 31, v10
	s_waitcnt lgkmcnt(1)
	v_cvt_f32_f16_sdwa v13, v6 dst_sel:DWORD dst_unused:UNUSED_PAD src0_sel:WORD_1
	v_cvt_f32_f16_e32 v12, v6
	v_cvt_f32_f16_sdwa v15, v7 dst_sel:DWORD dst_unused:UNUSED_PAD src0_sel:WORD_1
	v_cvt_f32_f16_e32 v14, v7
	v_lshl_add_u64 v[10:11], v[10:11], 3, s[62:63]
	v_pk_fma_f32 v[12:13], v[4:5], v[12:13], 0 op_sel_hi:[0,1,0]
	s_waitcnt lgkmcnt(0)
	v_pk_fma_f32 v[6:7], v[8:9], v[14:15], v[12:13] op_sel_hi:[0,1,1]
	v_div_scale_f32 v1, s[38:39], v5, v5, v7
	v_rcp_f32_e32 v3, v1
	s_nop 0
	v_fma_f32 v4, -v1, v3, 1.0
	v_fmac_f32_e32 v3, v4, v3
	v_div_scale_f32 v4, vcc, v7, v5, v7
	v_mul_f32_e32 v8, v4, v3
	v_fma_f32 v9, -v1, v8, v4
	v_fmac_f32_e32 v8, v9, v3
	v_fma_f32 v1, -v1, v8, v4
	v_div_fmas_f32 v1, v1, v3, v8
	v_div_fixup_f32 v7, v1, v5, v7
	v_div_scale_f32 v1, s[38:39], v5, v5, v6
	v_rcp_f32_e32 v3, v1
	s_nop 0
	v_fma_f32 v4, -v1, v3, 1.0
	v_fmac_f32_e32 v3, v4, v3
	v_div_scale_f32 v4, vcc, v6, v5, v6
	v_mul_f32_e32 v8, v4, v3
	v_fma_f32 v9, -v1, v8, v4
	v_fmac_f32_e32 v8, v9, v3
	v_fma_f32 v1, -v1, v8, v4
	v_div_fmas_f32 v1, v1, v3, v8
	v_div_fixup_f32 v6, v1, v5, v6
	v_mov_b32_e32 v3, 0
	global_store_dwordx2 v[10:11], v[6:7], off
.LBB24_268:                             ;   in Loop: Header=BB24_12 Depth=1
	s_or_b64 exec, exec, s[36:37]
	s_movk_i32 s34, 0x47
	v_cmp_gt_i32_e32 vcc, s34, v3
	s_mov_b64 s[36:37], -1
	s_and_saveexec_b64 s[38:39], vcc
; %bb.269:                              ;   in Loop: Header=BB24_12 Depth=1
	v_cmp_eq_u32_e32 vcc, 0, v3
	s_orn2_b64 s[36:37], vcc, exec
; %bb.270:                              ;   in Loop: Header=BB24_12 Depth=1
	s_or_b64 exec, exec, s[38:39]
	s_and_b64 exec, exec, s[36:37]
	s_cbranch_execz .LBB24_10
; %bb.271:                              ;   in Loop: Header=BB24_12 Depth=1
	v_add_u32_e32 v1, s56, v155
	v_cmp_gt_i32_e32 vcc, s80, v1
	v_mov_b32_e32 v3, 0x47
	s_and_saveexec_b64 s[36:37], vcc
	s_cbranch_execz .LBB24_273
; %bb.272:                              ;   in Loop: Header=BB24_12 Depth=1
	scratch_load_dword v3, off, off offset:48 ; 4-byte Folded Reload
	scratch_load_dword v6, off, off offset:52 ; 4-byte Folded Reload
	v_readlane_b32 s34, v254, 56
	s_waitcnt vmcnt(1)
	v_add_u32_e32 v3, 0, v3
	ds_read2_b32 v[4:5], v3 offset0:64 offset1:65
	s_waitcnt vmcnt(0)
	ds_read2st64_b32 v[6:7], v6 offset1:17
	ds_read_b32 v8, v3 offset:4608
	v_mad_u64_u32 v[10:11], s[38:39], s34, v1, v[32:33]
	v_ashrrev_i32_e32 v11, 31, v10
	s_waitcnt lgkmcnt(1)
	v_cvt_f32_f16_sdwa v13, v6 dst_sel:DWORD dst_unused:UNUSED_PAD src0_sel:WORD_1
	v_cvt_f32_f16_e32 v12, v6
	v_cvt_f32_f16_sdwa v15, v7 dst_sel:DWORD dst_unused:UNUSED_PAD src0_sel:WORD_1
	v_cvt_f32_f16_e32 v14, v7
	v_lshl_add_u64 v[10:11], v[10:11], 3, s[62:63]
	v_pk_fma_f32 v[12:13], v[4:5], v[12:13], 0 op_sel_hi:[0,1,0]
	s_waitcnt lgkmcnt(0)
	v_pk_fma_f32 v[6:7], v[8:9], v[14:15], v[12:13] op_sel_hi:[0,1,1]
	v_div_scale_f32 v1, s[38:39], v5, v5, v7
	v_rcp_f32_e32 v3, v1
	s_nop 0
	v_fma_f32 v4, -v1, v3, 1.0
	v_fmac_f32_e32 v3, v4, v3
	v_div_scale_f32 v4, vcc, v7, v5, v7
	v_mul_f32_e32 v8, v4, v3
	v_fma_f32 v9, -v1, v8, v4
	v_fmac_f32_e32 v8, v9, v3
	v_fma_f32 v1, -v1, v8, v4
	v_div_fmas_f32 v1, v1, v3, v8
	v_div_fixup_f32 v7, v1, v5, v7
	v_div_scale_f32 v1, s[38:39], v5, v5, v6
	v_rcp_f32_e32 v3, v1
	s_nop 0
	v_fma_f32 v4, -v1, v3, 1.0
	v_fmac_f32_e32 v3, v4, v3
	v_div_scale_f32 v4, vcc, v6, v5, v6
	v_mul_f32_e32 v8, v4, v3
	v_fma_f32 v9, -v1, v8, v4
	v_fmac_f32_e32 v8, v9, v3
	v_fma_f32 v1, -v1, v8, v4
	v_div_fmas_f32 v1, v1, v3, v8
	v_div_fixup_f32 v6, v1, v5, v6
	v_mov_b32_e32 v3, 0
	global_store_dwordx2 v[10:11], v[6:7], off
.LBB24_273:                             ;   in Loop: Header=BB24_12 Depth=1
	s_or_b64 exec, exec, s[36:37]
	s_movk_i32 s34, 0x47
	v_cmp_gt_i32_e32 vcc, s34, v3
	s_mov_b64 s[36:37], -1
	s_and_saveexec_b64 s[38:39], vcc
; %bb.274:                              ;   in Loop: Header=BB24_12 Depth=1
	v_cmp_eq_u32_e32 vcc, 0, v3
	s_orn2_b64 s[36:37], vcc, exec
; %bb.275:                              ;   in Loop: Header=BB24_12 Depth=1
	s_or_b64 exec, exec, s[38:39]
	s_and_b64 exec, exec, s[36:37]
	s_cbranch_execz .LBB24_10
; %bb.276:                              ;   in Loop: Header=BB24_12 Depth=1
	v_add_u32_e32 v1, 16, v148
	v_add_u32_e32 v1, s56, v1
	v_cmp_gt_i32_e32 vcc, s80, v1
	v_mov_b32_e32 v3, 0x47
	s_and_saveexec_b64 s[36:37], vcc
	s_cbranch_execz .LBB24_278
; %bb.277:                              ;   in Loop: Header=BB24_12 Depth=1
	scratch_load_dword v3, off, off offset:56 ; 4-byte Folded Reload
	scratch_load_dword v6, off, off offset:60 ; 4-byte Folded Reload
	v_readlane_b32 s34, v254, 56
	s_waitcnt vmcnt(1)
	v_add_u32_e32 v3, 0, v3
	ds_read2_b32 v[4:5], v3 offset0:64 offset1:65
	s_waitcnt vmcnt(0)
	ds_read2st64_b32 v[6:7], v6 offset1:17
	ds_read_b32 v8, v3 offset:4608
	v_mad_u64_u32 v[10:11], s[38:39], s34, v1, v[32:33]
	v_ashrrev_i32_e32 v11, 31, v10
	s_waitcnt lgkmcnt(1)
	v_cvt_f32_f16_sdwa v13, v6 dst_sel:DWORD dst_unused:UNUSED_PAD src0_sel:WORD_1
	v_cvt_f32_f16_e32 v12, v6
	v_cvt_f32_f16_sdwa v15, v7 dst_sel:DWORD dst_unused:UNUSED_PAD src0_sel:WORD_1
	v_cvt_f32_f16_e32 v14, v7
	v_lshl_add_u64 v[10:11], v[10:11], 3, s[62:63]
	v_pk_fma_f32 v[12:13], v[4:5], v[12:13], 0 op_sel_hi:[0,1,0]
	s_waitcnt lgkmcnt(0)
	v_pk_fma_f32 v[6:7], v[8:9], v[14:15], v[12:13] op_sel_hi:[0,1,1]
	v_div_scale_f32 v1, s[38:39], v5, v5, v7
	v_rcp_f32_e32 v3, v1
	s_nop 0
	v_fma_f32 v4, -v1, v3, 1.0
	v_fmac_f32_e32 v3, v4, v3
	v_div_scale_f32 v4, vcc, v7, v5, v7
	v_mul_f32_e32 v8, v4, v3
	v_fma_f32 v9, -v1, v8, v4
	v_fmac_f32_e32 v8, v9, v3
	v_fma_f32 v1, -v1, v8, v4
	v_div_fmas_f32 v1, v1, v3, v8
	v_div_fixup_f32 v7, v1, v5, v7
	v_div_scale_f32 v1, s[38:39], v5, v5, v6
	v_rcp_f32_e32 v3, v1
	s_nop 0
	v_fma_f32 v4, -v1, v3, 1.0
	v_fmac_f32_e32 v3, v4, v3
	v_div_scale_f32 v4, vcc, v6, v5, v6
	v_mul_f32_e32 v8, v4, v3
	v_fma_f32 v9, -v1, v8, v4
	v_fmac_f32_e32 v8, v9, v3
	v_fma_f32 v1, -v1, v8, v4
	v_div_fmas_f32 v1, v1, v3, v8
	v_div_fixup_f32 v6, v1, v5, v6
	v_mov_b32_e32 v3, 0
	global_store_dwordx2 v[10:11], v[6:7], off
.LBB24_278:                             ;   in Loop: Header=BB24_12 Depth=1
	s_or_b64 exec, exec, s[36:37]
	s_movk_i32 s34, 0x47
	v_cmp_gt_i32_e32 vcc, s34, v3
	s_mov_b64 s[36:37], -1
	s_and_saveexec_b64 s[38:39], vcc
; %bb.279:                              ;   in Loop: Header=BB24_12 Depth=1
	v_cmp_eq_u32_e32 vcc, 0, v3
	s_orn2_b64 s[36:37], vcc, exec
; %bb.280:                              ;   in Loop: Header=BB24_12 Depth=1
	s_or_b64 exec, exec, s[38:39]
	s_and_b64 exec, exec, s[36:37]
	s_cbranch_execz .LBB24_10
; %bb.281:                              ;   in Loop: Header=BB24_12 Depth=1
	v_add_u32_e32 v1, s56, v156
	v_cmp_gt_i32_e32 vcc, s80, v1
	v_mov_b32_e32 v3, 0x47
	s_and_saveexec_b64 s[36:37], vcc
	s_cbranch_execz .LBB24_283
; %bb.282:                              ;   in Loop: Header=BB24_12 Depth=1
	scratch_load_dword v3, off, off offset:64 ; 4-byte Folded Reload
	scratch_load_dword v6, off, off offset:68 ; 4-byte Folded Reload
	v_readlane_b32 s34, v254, 56
	s_waitcnt vmcnt(1)
	v_add_u32_e32 v3, 0, v3
	ds_read2_b32 v[4:5], v3 offset0:64 offset1:65
	s_waitcnt vmcnt(0)
	ds_read2st64_b32 v[6:7], v6 offset1:17
	ds_read_b32 v8, v3 offset:4608
	v_mad_u64_u32 v[10:11], s[38:39], s34, v1, v[32:33]
	v_ashrrev_i32_e32 v11, 31, v10
	s_waitcnt lgkmcnt(1)
	v_cvt_f32_f16_sdwa v13, v6 dst_sel:DWORD dst_unused:UNUSED_PAD src0_sel:WORD_1
	v_cvt_f32_f16_e32 v12, v6
	v_cvt_f32_f16_sdwa v15, v7 dst_sel:DWORD dst_unused:UNUSED_PAD src0_sel:WORD_1
	v_cvt_f32_f16_e32 v14, v7
	v_lshl_add_u64 v[10:11], v[10:11], 3, s[62:63]
	v_pk_fma_f32 v[12:13], v[4:5], v[12:13], 0 op_sel_hi:[0,1,0]
	s_waitcnt lgkmcnt(0)
	v_pk_fma_f32 v[6:7], v[8:9], v[14:15], v[12:13] op_sel_hi:[0,1,1]
	v_div_scale_f32 v1, s[38:39], v5, v5, v7
	v_rcp_f32_e32 v3, v1
	s_nop 0
	v_fma_f32 v4, -v1, v3, 1.0
	v_fmac_f32_e32 v3, v4, v3
	v_div_scale_f32 v4, vcc, v7, v5, v7
	v_mul_f32_e32 v8, v4, v3
	v_fma_f32 v9, -v1, v8, v4
	v_fmac_f32_e32 v8, v9, v3
	v_fma_f32 v1, -v1, v8, v4
	v_div_fmas_f32 v1, v1, v3, v8
	v_div_fixup_f32 v7, v1, v5, v7
	v_div_scale_f32 v1, s[38:39], v5, v5, v6
	v_rcp_f32_e32 v3, v1
	s_nop 0
	v_fma_f32 v4, -v1, v3, 1.0
	v_fmac_f32_e32 v3, v4, v3
	v_div_scale_f32 v4, vcc, v6, v5, v6
	v_mul_f32_e32 v8, v4, v3
	v_fma_f32 v9, -v1, v8, v4
	v_fmac_f32_e32 v8, v9, v3
	v_fma_f32 v1, -v1, v8, v4
	v_div_fmas_f32 v1, v1, v3, v8
	v_div_fixup_f32 v6, v1, v5, v6
	v_mov_b32_e32 v3, 0
	global_store_dwordx2 v[10:11], v[6:7], off
.LBB24_283:                             ;   in Loop: Header=BB24_12 Depth=1
	s_or_b64 exec, exec, s[36:37]
	s_movk_i32 s34, 0x47
	v_cmp_gt_i32_e32 vcc, s34, v3
	s_mov_b64 s[36:37], -1
	s_and_saveexec_b64 s[38:39], vcc
; %bb.284:                              ;   in Loop: Header=BB24_12 Depth=1
	v_cmp_eq_u32_e32 vcc, 0, v3
	s_orn2_b64 s[36:37], vcc, exec
; %bb.285:                              ;   in Loop: Header=BB24_12 Depth=1
	s_or_b64 exec, exec, s[38:39]
	s_and_b64 exec, exec, s[36:37]
	s_cbranch_execz .LBB24_10
; %bb.286:                              ;   in Loop: Header=BB24_12 Depth=1
	v_add_u32_e32 v1, s56, v157
	v_cmp_gt_i32_e32 vcc, s80, v1
	v_mov_b32_e32 v3, 0x47
	s_and_saveexec_b64 s[36:37], vcc
	s_cbranch_execz .LBB24_288
; %bb.287:                              ;   in Loop: Header=BB24_12 Depth=1
	scratch_load_dword v3, off, off offset:72 ; 4-byte Folded Reload
	scratch_load_dword v6, off, off offset:76 ; 4-byte Folded Reload
	v_readlane_b32 s34, v254, 56
	s_waitcnt vmcnt(1)
	v_add_u32_e32 v3, 0, v3
	ds_read2_b32 v[4:5], v3 offset0:64 offset1:65
	s_waitcnt vmcnt(0)
	ds_read2st64_b32 v[6:7], v6 offset1:17
	ds_read_b32 v8, v3 offset:4608
	v_mad_u64_u32 v[10:11], s[38:39], s34, v1, v[32:33]
	v_ashrrev_i32_e32 v11, 31, v10
	s_waitcnt lgkmcnt(1)
	v_cvt_f32_f16_sdwa v13, v6 dst_sel:DWORD dst_unused:UNUSED_PAD src0_sel:WORD_1
	v_cvt_f32_f16_e32 v12, v6
	v_cvt_f32_f16_sdwa v15, v7 dst_sel:DWORD dst_unused:UNUSED_PAD src0_sel:WORD_1
	v_cvt_f32_f16_e32 v14, v7
	v_lshl_add_u64 v[10:11], v[10:11], 3, s[62:63]
	v_pk_fma_f32 v[12:13], v[4:5], v[12:13], 0 op_sel_hi:[0,1,0]
	s_waitcnt lgkmcnt(0)
	v_pk_fma_f32 v[6:7], v[8:9], v[14:15], v[12:13] op_sel_hi:[0,1,1]
	v_div_scale_f32 v1, s[38:39], v5, v5, v7
	v_rcp_f32_e32 v3, v1
	s_nop 0
	v_fma_f32 v4, -v1, v3, 1.0
	v_fmac_f32_e32 v3, v4, v3
	v_div_scale_f32 v4, vcc, v7, v5, v7
	v_mul_f32_e32 v8, v4, v3
	v_fma_f32 v9, -v1, v8, v4
	v_fmac_f32_e32 v8, v9, v3
	v_fma_f32 v1, -v1, v8, v4
	v_div_fmas_f32 v1, v1, v3, v8
	v_div_fixup_f32 v7, v1, v5, v7
	v_div_scale_f32 v1, s[38:39], v5, v5, v6
	v_rcp_f32_e32 v3, v1
	s_nop 0
	v_fma_f32 v4, -v1, v3, 1.0
	v_fmac_f32_e32 v3, v4, v3
	v_div_scale_f32 v4, vcc, v6, v5, v6
	v_mul_f32_e32 v8, v4, v3
	v_fma_f32 v9, -v1, v8, v4
	v_fmac_f32_e32 v8, v9, v3
	v_fma_f32 v1, -v1, v8, v4
	v_div_fmas_f32 v1, v1, v3, v8
	v_div_fixup_f32 v6, v1, v5, v6
	v_mov_b32_e32 v3, 0
	global_store_dwordx2 v[10:11], v[6:7], off
.LBB24_288:                             ;   in Loop: Header=BB24_12 Depth=1
	s_or_b64 exec, exec, s[36:37]
	s_movk_i32 s34, 0x47
	v_cmp_gt_i32_e32 vcc, s34, v3
	s_mov_b64 s[36:37], -1
	s_and_saveexec_b64 s[38:39], vcc
; %bb.289:                              ;   in Loop: Header=BB24_12 Depth=1
	v_cmp_eq_u32_e32 vcc, 0, v3
	s_orn2_b64 s[36:37], vcc, exec
; %bb.290:                              ;   in Loop: Header=BB24_12 Depth=1
	s_or_b64 exec, exec, s[38:39]
	s_and_b64 exec, exec, s[36:37]
	s_cbranch_execz .LBB24_10
; %bb.291:                              ;   in Loop: Header=BB24_12 Depth=1
	v_add_u32_e32 v1, s56, v177
	v_cmp_gt_i32_e32 vcc, s80, v1
	v_mov_b32_e32 v3, 0x47
	s_and_saveexec_b64 s[36:37], vcc
	s_cbranch_execz .LBB24_293
; %bb.292:                              ;   in Loop: Header=BB24_12 Depth=1
	scratch_load_dword v3, off, off offset:80 ; 4-byte Folded Reload
	scratch_load_dword v6, off, off offset:84 ; 4-byte Folded Reload
	v_readlane_b32 s34, v254, 56
	s_waitcnt vmcnt(1)
	v_add_u32_e32 v3, 0, v3
	ds_read2_b32 v[4:5], v3 offset0:64 offset1:65
	s_waitcnt vmcnt(0)
	ds_read2st64_b32 v[6:7], v6 offset1:17
	ds_read_b32 v8, v3 offset:4608
	v_mad_u64_u32 v[10:11], s[38:39], s34, v1, v[32:33]
	v_ashrrev_i32_e32 v11, 31, v10
	s_waitcnt lgkmcnt(1)
	v_cvt_f32_f16_sdwa v13, v6 dst_sel:DWORD dst_unused:UNUSED_PAD src0_sel:WORD_1
	v_cvt_f32_f16_e32 v12, v6
	v_cvt_f32_f16_sdwa v15, v7 dst_sel:DWORD dst_unused:UNUSED_PAD src0_sel:WORD_1
	v_cvt_f32_f16_e32 v14, v7
	v_lshl_add_u64 v[10:11], v[10:11], 3, s[62:63]
	v_pk_fma_f32 v[12:13], v[4:5], v[12:13], 0 op_sel_hi:[0,1,0]
	s_waitcnt lgkmcnt(0)
	v_pk_fma_f32 v[6:7], v[8:9], v[14:15], v[12:13] op_sel_hi:[0,1,1]
	v_div_scale_f32 v1, s[38:39], v5, v5, v7
	v_rcp_f32_e32 v3, v1
	s_nop 0
	v_fma_f32 v4, -v1, v3, 1.0
	v_fmac_f32_e32 v3, v4, v3
	v_div_scale_f32 v4, vcc, v7, v5, v7
	v_mul_f32_e32 v8, v4, v3
	v_fma_f32 v9, -v1, v8, v4
	v_fmac_f32_e32 v8, v9, v3
	v_fma_f32 v1, -v1, v8, v4
	v_div_fmas_f32 v1, v1, v3, v8
	v_div_fixup_f32 v7, v1, v5, v7
	v_div_scale_f32 v1, s[38:39], v5, v5, v6
	v_rcp_f32_e32 v3, v1
	s_nop 0
	v_fma_f32 v4, -v1, v3, 1.0
	v_fmac_f32_e32 v3, v4, v3
	v_div_scale_f32 v4, vcc, v6, v5, v6
	v_mul_f32_e32 v8, v4, v3
	v_fma_f32 v9, -v1, v8, v4
	v_fmac_f32_e32 v8, v9, v3
	v_fma_f32 v1, -v1, v8, v4
	v_div_fmas_f32 v1, v1, v3, v8
	v_div_fixup_f32 v6, v1, v5, v6
	v_mov_b32_e32 v3, 0
	global_store_dwordx2 v[10:11], v[6:7], off
.LBB24_293:                             ;   in Loop: Header=BB24_12 Depth=1
	s_or_b64 exec, exec, s[36:37]
	s_movk_i32 s34, 0x47
	v_cmp_gt_i32_e32 vcc, s34, v3
	s_mov_b64 s[36:37], -1
	s_and_saveexec_b64 s[38:39], vcc
; %bb.294:                              ;   in Loop: Header=BB24_12 Depth=1
	v_cmp_eq_u32_e32 vcc, 0, v3
	s_orn2_b64 s[36:37], vcc, exec
; %bb.295:                              ;   in Loop: Header=BB24_12 Depth=1
	s_or_b64 exec, exec, s[38:39]
	s_and_b64 exec, exec, s[36:37]
	s_cbranch_execz .LBB24_10
; %bb.296:                              ;   in Loop: Header=BB24_12 Depth=1
	v_add_u32_e32 v1, 24, v148
	v_add_u32_e32 v1, s56, v1
	v_cmp_gt_i32_e32 vcc, s80, v1
	v_mov_b32_e32 v3, 0x47
	s_and_saveexec_b64 s[36:37], vcc
	s_cbranch_execz .LBB24_298
; %bb.297:                              ;   in Loop: Header=BB24_12 Depth=1
	scratch_load_dword v3, off, off offset:88 ; 4-byte Folded Reload
	scratch_load_dword v6, off, off offset:92 ; 4-byte Folded Reload
	v_readlane_b32 s34, v254, 56
	s_waitcnt vmcnt(1)
	v_add_u32_e32 v3, 0, v3
	ds_read2_b32 v[4:5], v3 offset0:64 offset1:65
	s_waitcnt vmcnt(0)
	ds_read2st64_b32 v[6:7], v6 offset1:17
	ds_read_b32 v8, v3 offset:4608
	v_mad_u64_u32 v[10:11], s[38:39], s34, v1, v[32:33]
	v_ashrrev_i32_e32 v11, 31, v10
	s_waitcnt lgkmcnt(1)
	v_cvt_f32_f16_sdwa v13, v6 dst_sel:DWORD dst_unused:UNUSED_PAD src0_sel:WORD_1
	v_cvt_f32_f16_e32 v12, v6
	v_cvt_f32_f16_sdwa v15, v7 dst_sel:DWORD dst_unused:UNUSED_PAD src0_sel:WORD_1
	v_cvt_f32_f16_e32 v14, v7
	v_lshl_add_u64 v[10:11], v[10:11], 3, s[62:63]
	v_pk_fma_f32 v[12:13], v[4:5], v[12:13], 0 op_sel_hi:[0,1,0]
	s_waitcnt lgkmcnt(0)
	v_pk_fma_f32 v[6:7], v[8:9], v[14:15], v[12:13] op_sel_hi:[0,1,1]
	v_div_scale_f32 v1, s[38:39], v5, v5, v7
	v_rcp_f32_e32 v3, v1
	s_nop 0
	v_fma_f32 v4, -v1, v3, 1.0
	v_fmac_f32_e32 v3, v4, v3
	v_div_scale_f32 v4, vcc, v7, v5, v7
	v_mul_f32_e32 v8, v4, v3
	v_fma_f32 v9, -v1, v8, v4
	v_fmac_f32_e32 v8, v9, v3
	v_fma_f32 v1, -v1, v8, v4
	v_div_fmas_f32 v1, v1, v3, v8
	v_div_fixup_f32 v7, v1, v5, v7
	v_div_scale_f32 v1, s[38:39], v5, v5, v6
	v_rcp_f32_e32 v3, v1
	s_nop 0
	v_fma_f32 v4, -v1, v3, 1.0
	v_fmac_f32_e32 v3, v4, v3
	v_div_scale_f32 v4, vcc, v6, v5, v6
	v_mul_f32_e32 v8, v4, v3
	v_fma_f32 v9, -v1, v8, v4
	v_fmac_f32_e32 v8, v9, v3
	v_fma_f32 v1, -v1, v8, v4
	v_div_fmas_f32 v1, v1, v3, v8
	v_div_fixup_f32 v6, v1, v5, v6
	v_mov_b32_e32 v3, 0
	global_store_dwordx2 v[10:11], v[6:7], off
.LBB24_298:                             ;   in Loop: Header=BB24_12 Depth=1
	s_or_b64 exec, exec, s[36:37]
	s_movk_i32 s34, 0x47
	v_cmp_gt_i32_e32 vcc, s34, v3
	s_mov_b64 s[36:37], -1
	s_and_saveexec_b64 s[38:39], vcc
; %bb.299:                              ;   in Loop: Header=BB24_12 Depth=1
	v_cmp_eq_u32_e32 vcc, 0, v3
	s_orn2_b64 s[36:37], vcc, exec
; %bb.300:                              ;   in Loop: Header=BB24_12 Depth=1
	s_or_b64 exec, exec, s[38:39]
	s_and_b64 exec, exec, s[36:37]
	s_cbranch_execz .LBB24_10
; %bb.301:                              ;   in Loop: Header=BB24_12 Depth=1
	v_add_u32_e32 v1, 26, v148
	v_add_u32_e32 v1, s56, v1
	v_cmp_gt_i32_e32 vcc, s80, v1
	v_mov_b32_e32 v3, 0x47
	s_and_saveexec_b64 s[36:37], vcc
	s_cbranch_execz .LBB24_303
; %bb.302:                              ;   in Loop: Header=BB24_12 Depth=1
	scratch_load_dword v3, off, off offset:96 ; 4-byte Folded Reload
	scratch_load_dword v6, off, off offset:100 ; 4-byte Folded Reload
	v_readlane_b32 s34, v254, 56
	s_waitcnt vmcnt(1)
	v_add_u32_e32 v3, 0, v3
	ds_read2_b32 v[4:5], v3 offset0:64 offset1:65
	s_waitcnt vmcnt(0)
	ds_read2st64_b32 v[6:7], v6 offset1:17
	ds_read_b32 v8, v3 offset:4608
	v_mad_u64_u32 v[10:11], s[38:39], s34, v1, v[32:33]
	v_ashrrev_i32_e32 v11, 31, v10
	s_waitcnt lgkmcnt(1)
	v_cvt_f32_f16_sdwa v13, v6 dst_sel:DWORD dst_unused:UNUSED_PAD src0_sel:WORD_1
	v_cvt_f32_f16_e32 v12, v6
	v_cvt_f32_f16_sdwa v15, v7 dst_sel:DWORD dst_unused:UNUSED_PAD src0_sel:WORD_1
	v_cvt_f32_f16_e32 v14, v7
	v_lshl_add_u64 v[10:11], v[10:11], 3, s[62:63]
	v_pk_fma_f32 v[12:13], v[4:5], v[12:13], 0 op_sel_hi:[0,1,0]
	s_waitcnt lgkmcnt(0)
	v_pk_fma_f32 v[6:7], v[8:9], v[14:15], v[12:13] op_sel_hi:[0,1,1]
	v_div_scale_f32 v1, s[38:39], v5, v5, v7
	v_rcp_f32_e32 v3, v1
	s_nop 0
	v_fma_f32 v4, -v1, v3, 1.0
	v_fmac_f32_e32 v3, v4, v3
	v_div_scale_f32 v4, vcc, v7, v5, v7
	v_mul_f32_e32 v8, v4, v3
	v_fma_f32 v9, -v1, v8, v4
	v_fmac_f32_e32 v8, v9, v3
	v_fma_f32 v1, -v1, v8, v4
	v_div_fmas_f32 v1, v1, v3, v8
	v_div_fixup_f32 v7, v1, v5, v7
	v_div_scale_f32 v1, s[38:39], v5, v5, v6
	v_rcp_f32_e32 v3, v1
	s_nop 0
	v_fma_f32 v4, -v1, v3, 1.0
	v_fmac_f32_e32 v3, v4, v3
	v_div_scale_f32 v4, vcc, v6, v5, v6
	v_mul_f32_e32 v8, v4, v3
	v_fma_f32 v9, -v1, v8, v4
	v_fmac_f32_e32 v8, v9, v3
	v_fma_f32 v1, -v1, v8, v4
	v_div_fmas_f32 v1, v1, v3, v8
	v_div_fixup_f32 v6, v1, v5, v6
	v_mov_b32_e32 v3, 0
	global_store_dwordx2 v[10:11], v[6:7], off
.LBB24_303:                             ;   in Loop: Header=BB24_12 Depth=1
	s_or_b64 exec, exec, s[36:37]
	s_movk_i32 s34, 0x47
	v_cmp_gt_i32_e32 vcc, s34, v3
	s_mov_b64 s[36:37], -1
	s_and_saveexec_b64 s[38:39], vcc
; %bb.304:                              ;   in Loop: Header=BB24_12 Depth=1
	v_cmp_eq_u32_e32 vcc, 0, v3
	s_orn2_b64 s[36:37], vcc, exec
; %bb.305:                              ;   in Loop: Header=BB24_12 Depth=1
	s_or_b64 exec, exec, s[38:39]
	s_and_b64 exec, exec, s[36:37]
	s_cbranch_execz .LBB24_10
; %bb.306:                              ;   in Loop: Header=BB24_12 Depth=1
	v_add_u32_e32 v1, 28, v148
	v_add_u32_e32 v1, s56, v1
	v_cmp_gt_i32_e32 vcc, s80, v1
	v_mov_b32_e32 v3, 0x47
	s_and_saveexec_b64 s[36:37], vcc
	s_cbranch_execz .LBB24_308
; %bb.307:                              ;   in Loop: Header=BB24_12 Depth=1
	scratch_load_dword v3, off, off offset:104 ; 4-byte Folded Reload
	scratch_load_dword v6, off, off offset:108 ; 4-byte Folded Reload
	v_readlane_b32 s34, v254, 56
	s_waitcnt vmcnt(1)
	v_add_u32_e32 v3, 0, v3
	ds_read2_b32 v[4:5], v3 offset0:64 offset1:65
	s_waitcnt vmcnt(0)
	ds_read2st64_b32 v[6:7], v6 offset1:17
	ds_read_b32 v8, v3 offset:4608
	v_mad_u64_u32 v[10:11], s[38:39], s34, v1, v[32:33]
	v_ashrrev_i32_e32 v11, 31, v10
	s_waitcnt lgkmcnt(1)
	v_cvt_f32_f16_sdwa v13, v6 dst_sel:DWORD dst_unused:UNUSED_PAD src0_sel:WORD_1
	v_cvt_f32_f16_e32 v12, v6
	v_cvt_f32_f16_sdwa v15, v7 dst_sel:DWORD dst_unused:UNUSED_PAD src0_sel:WORD_1
	v_cvt_f32_f16_e32 v14, v7
	v_lshl_add_u64 v[10:11], v[10:11], 3, s[62:63]
	v_pk_fma_f32 v[12:13], v[4:5], v[12:13], 0 op_sel_hi:[0,1,0]
	s_waitcnt lgkmcnt(0)
	v_pk_fma_f32 v[6:7], v[8:9], v[14:15], v[12:13] op_sel_hi:[0,1,1]
	v_div_scale_f32 v1, s[38:39], v5, v5, v7
	v_rcp_f32_e32 v3, v1
	s_nop 0
	v_fma_f32 v4, -v1, v3, 1.0
	v_fmac_f32_e32 v3, v4, v3
	v_div_scale_f32 v4, vcc, v7, v5, v7
	v_mul_f32_e32 v8, v4, v3
	v_fma_f32 v9, -v1, v8, v4
	v_fmac_f32_e32 v8, v9, v3
	v_fma_f32 v1, -v1, v8, v4
	v_div_fmas_f32 v1, v1, v3, v8
	v_div_fixup_f32 v7, v1, v5, v7
	v_div_scale_f32 v1, s[38:39], v5, v5, v6
	v_rcp_f32_e32 v3, v1
	s_nop 0
	v_fma_f32 v4, -v1, v3, 1.0
	v_fmac_f32_e32 v3, v4, v3
	v_div_scale_f32 v4, vcc, v6, v5, v6
	v_mul_f32_e32 v8, v4, v3
	v_fma_f32 v9, -v1, v8, v4
	v_fmac_f32_e32 v8, v9, v3
	v_fma_f32 v1, -v1, v8, v4
	v_div_fmas_f32 v1, v1, v3, v8
	v_div_fixup_f32 v6, v1, v5, v6
	v_mov_b32_e32 v3, 0
	global_store_dwordx2 v[10:11], v[6:7], off
.LBB24_308:                             ;   in Loop: Header=BB24_12 Depth=1
	s_or_b64 exec, exec, s[36:37]
	s_movk_i32 s34, 0x47
	v_cmp_gt_i32_e32 vcc, s34, v3
	s_mov_b64 s[36:37], -1
	s_and_saveexec_b64 s[38:39], vcc
; %bb.309:                              ;   in Loop: Header=BB24_12 Depth=1
	v_cmp_eq_u32_e32 vcc, 0, v3
	s_orn2_b64 s[36:37], vcc, exec
; %bb.310:                              ;   in Loop: Header=BB24_12 Depth=1
	s_or_b64 exec, exec, s[38:39]
	s_and_b64 exec, exec, s[36:37]
	s_cbranch_execz .LBB24_10
; %bb.311:                              ;   in Loop: Header=BB24_12 Depth=1
	v_add_u32_e32 v1, s56, v162
	v_cmp_gt_i32_e32 vcc, s80, v1
	s_and_b64 exec, exec, vcc
	s_cbranch_execz .LBB24_10
; %bb.312:                              ;   in Loop: Header=BB24_12 Depth=1
	scratch_load_dword v3, off, off offset:116 ; 4-byte Folded Reload
	v_readlane_b32 s34, v254, 56
	s_waitcnt vmcnt(0)
	ds_read2st64_b32 v[4:5], v3 offset1:17
	scratch_load_dword v3, off, off offset:112 ; 4-byte Folded Reload
	s_waitcnt lgkmcnt(0)
	v_cvt_f32_f16_sdwa v11, v4 dst_sel:DWORD dst_unused:UNUSED_PAD src0_sel:WORD_1
	v_cvt_f32_f16_e32 v10, v4
	v_cvt_f32_f16_sdwa v13, v5 dst_sel:DWORD dst_unused:UNUSED_PAD src0_sel:WORD_1
	v_cvt_f32_f16_e32 v12, v5
	s_waitcnt vmcnt(0)
	v_add_u32_e32 v3, 0, v3
	ds_read2_b32 v[6:7], v3 offset0:64 offset1:65
	ds_read_b32 v8, v3 offset:4608
	s_waitcnt lgkmcnt(1)
	v_pk_fma_f32 v[4:5], v[6:7], v[10:11], 0 op_sel_hi:[0,1,0]
	s_waitcnt lgkmcnt(0)
	v_pk_fma_f32 v[4:5], v[8:9], v[12:13], v[4:5] op_sel_hi:[0,1,1]
	v_div_scale_f32 v3, s[36:37], v7, v7, v5
	v_rcp_f32_e32 v6, v3
	v_mad_u64_u32 v[8:9], s[36:37], s34, v1, v[32:33]
	v_ashrrev_i32_e32 v9, 31, v8
	v_fma_f32 v1, -v3, v6, 1.0
	v_fmac_f32_e32 v6, v1, v6
	v_div_scale_f32 v1, vcc, v5, v7, v5
	v_mul_f32_e32 v10, v1, v6
	v_fma_f32 v11, -v3, v10, v1
	v_fmac_f32_e32 v10, v11, v6
	v_fma_f32 v1, -v3, v10, v1
	v_div_scale_f32 v3, s[36:37], v7, v7, v4
	v_rcp_f32_e32 v11, v3
	v_div_fmas_f32 v1, v1, v6, v10
	v_div_fixup_f32 v5, v1, v7, v5
	v_lshl_add_u64 v[8:9], v[8:9], 3, s[62:63]
	v_fma_f32 v1, -v3, v11, 1.0
	v_fmac_f32_e32 v11, v1, v11
	v_div_scale_f32 v1, vcc, v4, v7, v4
	v_mul_f32_e32 v6, v1, v11
	v_fma_f32 v10, -v3, v6, v1
	v_fmac_f32_e32 v6, v10, v11
	v_fma_f32 v1, -v3, v6, v1
	v_div_fmas_f32 v1, v1, v11, v6
	v_div_fixup_f32 v4, v1, v7, v4
	global_store_dwordx2 v[8:9], v[4:5], off
	s_branch .LBB24_10
.LBB24_313:
	s_mov_b64 s[94:95], s[42:43]
	s_mov_b32 s88, s46
	s_mov_b32 s75, s45
	;; [unrolled: 1-line block ×3, first 2 shown]
	s_andn2_b64 vcc, exec, s[26:27]
	s_cbranch_vccz .LBB24_316
.LBB24_314:
	s_endpgm
.LBB24_315:
	v_readlane_b32 s36, v254, 50
	v_readlane_b32 s51, v254, 38
	;; [unrolled: 1-line block ×8, first 2 shown]
	s_andn2_b64 vcc, exec, s[26:27]
	s_cbranch_vccnz .LBB24_314
.LBB24_316:
	v_readlane_b32 s6, v254, 7
	s_abs_i32 s0, s6
	v_cvt_f32_u32_e32 v1, s0
	s_sub_i32 s3, 0, s0
	s_abs_i32 s2, s88
	s_xor_b32 s1, s88, s6
	v_rcp_iflag_f32_e32 v1, v1
	s_ashr_i32 s1, s1, 31
	v_readlane_b32 s10, v254, 6
	v_readlane_b32 s7, v254, 3
	v_mul_f32_e32 v1, 0x4f7ffffe, v1
	v_cvt_u32_f32_e32 v1, v1
	v_readlane_b32 s16, v254, 22
	v_readlane_b32 s22, v254, 28
	;; [unrolled: 1-line block ×3, first 2 shown]
	v_readfirstlane_b32 s4, v1
	s_mul_i32 s3, s3, s4
	s_mul_hi_u32 s3, s4, s3
	s_add_i32 s4, s4, s3
	s_mul_hi_u32 s3, s2, s4
	s_mul_i32 s4, s3, s0
	s_sub_i32 s2, s2, s4
	s_add_i32 s5, s3, 1
	s_sub_i32 s4, s2, s0
	s_cmp_ge_u32 s2, s0
	s_cselect_b32 s3, s5, s3
	s_cselect_b32 s2, s4, s2
	s_add_i32 s4, s3, 1
	s_cmp_ge_u32 s2, s0
	s_cselect_b32 s0, s4, s3
	s_abs_i32 s2, s10
	v_cvt_f32_u32_e32 v1, s2
	s_xor_b32 s0, s0, s1
	s_sub_i32 s3, 0, s2
	s_sub_i32 s8, s0, s1
	v_rcp_iflag_f32_e32 v1, v1
	s_mul_i32 s0, s8, s6
	s_sub_i32 s0, s88, s0
	s_abs_i32 s4, s0
	v_mul_f32_e32 v1, 0x4f7ffffe, v1
	v_cvt_u32_f32_e32 v1, v1
	s_xor_b32 s1, s0, s10
	s_ashr_i32 s1, s1, 31
	v_readlane_b32 s17, v254, 23
	v_readfirstlane_b32 s5, v1
	s_mul_i32 s3, s3, s5
	s_mul_hi_u32 s3, s5, s3
	s_add_i32 s5, s5, s3
	s_mul_hi_u32 s3, s4, s5
	s_mul_i32 s5, s3, s2
	s_sub_i32 s4, s4, s5
	s_add_i32 s6, s3, 1
	s_sub_i32 s5, s4, s2
	s_cmp_ge_u32 s4, s2
	s_cselect_b32 s3, s6, s3
	s_cselect_b32 s4, s5, s4
	s_add_i32 s5, s3, 1
	s_cmp_ge_u32 s4, s2
	s_cselect_b32 s2, s5, s3
	s_abs_i32 s3, s7
	v_cvt_f32_u32_e32 v1, s3
	s_xor_b32 s2, s2, s1
	s_sub_i32 s4, 0, s3
	s_sub_i32 s9, s2, s1
	v_rcp_iflag_f32_e32 v1, v1
	s_mul_i32 s1, s9, s10
	s_sub_i32 s1, s0, s1
	s_abs_i32 s2, s1
	v_mul_f32_e32 v1, 0x4f7ffffe, v1
	v_cvt_u32_f32_e32 v1, v1
	s_xor_b32 s0, s1, s7
	s_ashr_i32 s0, s0, 31
	v_readlane_b32 s18, v254, 24
	v_readfirstlane_b32 s5, v1
	s_mul_i32 s4, s4, s5
	s_mul_hi_u32 s4, s5, s4
	s_add_i32 s5, s5, s4
	s_mul_hi_u32 s4, s2, s5
	s_mul_i32 s5, s4, s3
	s_sub_i32 s2, s2, s5
	s_add_i32 s6, s4, 1
	s_sub_i32 s5, s2, s3
	s_cmp_ge_u32 s2, s3
	s_cselect_b32 s4, s6, s4
	s_cselect_b32 s2, s5, s2
	s_add_i32 s5, s4, 1
	s_cmp_ge_u32 s2, s3
	s_cselect_b32 s2, s5, s4
	s_xor_b32 s2, s2, s0
	s_sub_i32 s0, s2, s0
	s_mul_i32 s2, s0, s7
	s_sub_i32 s1, s1, s2
	s_abs_i32 s12, s1
	s_ashr_i32 s10, s8, 31
	s_mul_hi_u32 s11, s12, s75
	v_readlane_b32 s19, v254, 25
	v_readlane_b32 s20, v254, 26
	;; [unrolled: 1-line block ×5, first 2 shown]
	s_cmp_eq_u64 s[22:23], 0
	s_mov_b64 s[2:3], 0
	v_readlane_b32 s24, v254, 30
	v_readlane_b32 s25, v254, 31
	;; [unrolled: 1-line block ×6, first 2 shown]
	s_cbranch_scc1 .LBB24_318
; %bb.317:
	s_abs_i32 s2, s14
	v_cvt_f32_u32_e32 v1, s2
	s_sub_i32 s4, 0, s2
	s_abs_i32 s3, s8
	v_readlane_b32 s6, v254, 13
	v_rcp_iflag_f32_e32 v1, v1
	v_readlane_b32 s7, v254, 14
	v_mul_f32_e32 v1, 0x4f7ffffe, v1
	v_cvt_u32_f32_e32 v1, v1
	s_nop 0
	v_readfirstlane_b32 s5, v1
	s_mul_i32 s4, s4, s5
	s_mul_hi_u32 s4, s5, s4
	s_add_i32 s5, s5, s4
	s_mul_hi_u32 s4, s3, s5
	s_mul_i32 s4, s4, s2
	s_sub_i32 s3, s3, s4
	s_sub_i32 s4, s3, s2
	s_cmp_ge_u32 s3, s2
	s_cselect_b32 s3, s4, s3
	s_sub_i32 s4, s3, s2
	s_cmp_ge_u32 s3, s2
	s_cselect_b32 s2, s4, s3
	s_xor_b32 s2, s2, s10
	s_sub_i32 s2, s2, s10
	s_ashr_i32 s3, s2, 31
	s_mul_i32 s4, s2, s7
	s_mul_hi_u32 s5, s2, s6
	s_add_i32 s4, s5, s4
	s_mul_i32 s3, s3, s6
	s_add_i32 s4, s4, s3
	s_mul_i32 s2, s2, s6
	s_add_u32 s2, s22, s2
	s_addc_u32 s3, s23, s4
.LBB24_318:
	s_ashr_i32 s14, s1, 31
	v_readlane_b32 s1, v254, 2
	s_mul_i32 s13, s9, s1
	s_add_i32 s13, s13, s0
	v_cmp_le_f32_e64 s[0:1], s37, 0
	s_and_b64 vcc, exec, s[0:1]
	v_mov_b32_e32 v30, 1.0
	s_cbranch_vccnz .LBB24_320
; %bb.319:
	v_readlane_b32 s1, v254, 10
	s_sub_i32 s0, s13, s1
	s_lshl_b32 s0, s0, 1
	s_add_i32 s4, s13, 1
	s_or_b32 s5, s0, 1
	s_cmp_lt_u32 s13, s1
	s_cselect_b64 vcc, -1, 0
	s_and_b64 s[0:1], vcc, exec
	v_mov_b32_e32 v1, s39
	v_mov_b32_e32 v2, s38
	s_cselect_b32 s0, s4, s5
	v_cndmask_b32_e32 v18, v1, v2, vcc
	v_cvt_f32_i32_e32 v1, s0
	v_cmp_neq_f32_e32 vcc, 1.0, v18
	s_mov_b32 s0, 0x3f2aaaab
	s_movk_i32 s4, 0x204
	v_cndmask_b32_e32 v19, 1.0, v1, vcc
	v_cmp_eq_f32_e32 vcc, 0, v19
	s_mov_b32 s6, 0x42b17218
	s_mov_b32 s5, 0x7f800000
	v_cndmask_b32_e64 v20, |v18|, 1.0, vcc
	v_frexp_mant_f32_e32 v1, v20
	v_cmp_gt_f32_e64 s[0:1], s0, v1
	s_brev_b32 s15, -2
	s_nop 0
	v_cndmask_b32_e64 v2, 1.0, 2.0, s[0:1]
	v_mul_f32_e32 v1, v1, v2
	v_add_f32_e32 v2, 1.0, v1
	v_rcp_f32_e32 v10, v2
	v_add_f32_e32 v3, -1.0, v2
	v_sub_f32_e32 v5, v1, v3
	v_add_f32_e32 v3, -1.0, v1
	v_mul_f32_e32 v1, v3, v10
	v_mul_f32_e32 v4, v2, v1
	v_fma_f32 v6, v1, v2, -v4
	v_fmac_f32_e32 v6, v1, v5
	v_add_f32_e32 v2, v4, v6
	v_sub_f32_e32 v5, v3, v2
	v_pk_add_f32 v[8:9], v[2:3], v[4:5] neg_lo:[0,1] neg_hi:[0,1]
	v_mov_b32_e32 v7, v2
	v_pk_add_f32 v[2:3], v[8:9], v[6:7] neg_lo:[0,1] neg_hi:[0,1]
	v_mov_b32_e32 v6, 0x3e91f4c4
	v_add_f32_e32 v2, v2, v3
	v_add_f32_e32 v2, v5, v2
	v_mul_f32_e32 v3, v10, v2
	v_add_f32_e32 v2, v1, v3
	v_sub_f32_e32 v1, v2, v1
	v_sub_f32_e32 v1, v3, v1
	v_mul_f32_e32 v3, v2, v2
	v_fma_f32 v5, v2, v2, -v3
	v_add_f32_e32 v4, v1, v1
	v_fmac_f32_e32 v5, v2, v4
	v_add_f32_e32 v4, v3, v5
	v_fmac_f32_e32 v6, 0x3e76c4e1, v4
	v_fmaak_f32 v6, v4, v6, 0x3ecccdef
	v_sub_f32_e32 v3, v4, v3
	v_sub_f32_e32 v12, v5, v3
	v_mul_f32_e32 v3, v4, v6
	v_fma_f32 v5, v4, v6, -v3
	v_fmac_f32_e32 v5, v12, v6
	v_add_f32_e32 v6, v3, v5
	v_add_f32_e32 v7, 0x3f2aaaaa, v6
	v_sub_f32_e32 v3, v6, v3
	v_sub_f32_e32 v3, v5, v3
	v_add_f32_e32 v5, 0xbf2aaaaa, v7
	v_add_f32_e32 v3, 0x31739010, v3
	v_sub_f32_e32 v5, v6, v5
	v_pk_mul_f32 v[8:9], v[2:3], v[4:5]
	v_pk_add_f32 v[10:11], v[2:3], v[4:5]
	v_fma_f32 v6, v4, v2, -v8
	v_fmac_f32_e32 v6, v4, v1
	v_mov_b32_e32 v9, v11
	v_fmac_f32_e32 v6, v12, v2
	v_pk_add_f32 v[4:5], v[8:9], v[6:7]
	v_ldexp_f32 v1, v1, 1
	v_sub_f32_e32 v3, v4, v8
	v_sub_f32_e32 v3, v6, v3
	;; [unrolled: 1-line block ×3, first 2 shown]
	v_add_f32_e32 v9, v11, v6
	v_mov_b32_e32 v6, v5
	v_pk_mul_f32 v[6:7], v[4:5], v[6:7]
	v_cvt_f64_f32_e32 v[10:11], v20
	v_frexp_exp_i32_f64_e32 v7, v[10:11]
	v_subbrev_co_u32_e64 v7, s[0:1], 0, v7, s[0:1]
	v_cvt_f32_i32_e32 v7, v7
	v_fma_f32 v8, v4, v5, -v6
	v_fmac_f32_e32 v8, v4, v9
	s_mov_b32 s0, 0x3f317218
	v_mul_f32_e32 v4, 0x3f317218, v7
	v_fmac_f32_e32 v8, v3, v5
	v_fma_f32 v3, v7, s0, -v4
	v_fmamk_f32 v10, v7, 0xb102e308, v3
	v_ldexp_f32 v11, v2, 1
	v_add_f32_e32 v5, v6, v8
	v_pk_add_f32 v[2:3], v[4:5], v[10:11]
	v_mov_b32_e32 v12, v5
	v_mov_b32_e32 v13, v3
	v_mov_b32_e32 v7, v11
	v_pk_add_f32 v[6:7], v[12:13], v[6:7] neg_lo:[0,1] neg_hi:[0,1]
	v_mov_b32_e32 v9, v5
	v_pk_add_f32 v[6:7], v[8:9], v[6:7] neg_lo:[0,1] neg_hi:[0,1]
	v_mov_b32_e32 v11, v2
	v_add_f32_e32 v1, v1, v6
	v_add_f32_e32 v5, v1, v7
	v_pk_add_f32 v[6:7], v[2:3], v[4:5] neg_lo:[0,1] neg_hi:[0,1]
	v_pk_add_f32 v[8:9], v[2:3], v[4:5]
	v_mov_b32_e32 v12, v6
	v_mov_b32_e32 v13, v9
	v_pk_add_f32 v[12:13], v[10:11], v[12:13]
	v_pk_add_f32 v[6:7], v[10:11], v[6:7] neg_lo:[0,1] neg_hi:[0,1]
	v_mov_b32_e32 v4, v13
	v_pk_add_f32 v[14:15], v[4:5], v[2:3] neg_lo:[0,1] neg_hi:[0,1]
	v_mov_b32_e32 v12, v9
	v_mov_b32_e32 v1, v14
	;; [unrolled: 1-line block ×4, first 2 shown]
	v_pk_add_f32 v[16:17], v[8:9], v[0:1] neg_lo:[0,1] neg_hi:[0,1]
	v_pk_add_f32 v[2:3], v[12:13], v[2:3] neg_lo:[0,1] neg_hi:[0,1]
	v_mov_b32_e32 v10, v5
	v_pk_add_f32 v[2:3], v[10:11], v[2:3] neg_lo:[0,1] neg_hi:[0,1]
	v_mov_b32_e32 v16, v6
	v_pk_add_f32 v[8:9], v[16:17], v[2:3]
	v_mov_b32_e32 v7, v13
	v_mov_b32_e32 v10, v9
	v_pk_add_f32 v[10:11], v[8:9], v[10:11]
	s_nop 0
	v_pk_add_f32 v[4:5], v[4:5], v[10:11]
	v_mov_b32_e32 v3, v10
	v_mov_b32_e32 v9, v4
	v_pk_add_f32 v[12:13], v[8:9], v[6:7] neg_lo:[0,1] neg_hi:[0,1]
	s_nop 0
	v_sub_f32_e32 v1, v8, v12
	v_pk_add_f32 v[2:3], v[2:3], v[12:13] neg_lo:[0,1] neg_hi:[0,1]
	v_sub_f32_e32 v1, v6, v1
	v_add_f32_e32 v1, v2, v1
	v_add_f32_e32 v1, v1, v3
	;; [unrolled: 1-line block ×3, first 2 shown]
	v_sub_f32_e32 v3, v2, v4
	v_sub_f32_e32 v1, v1, v3
	v_mul_f32_e32 v3, v19, v2
	v_fma_f32 v2, v19, v2, -v3
	v_fmac_f32_e32 v2, v19, v1
	v_add_f32_e32 v1, v3, v2
	v_cmp_class_f32_e64 s[0:1], v3, s4
	v_sub_f32_e32 v4, v1, v3
	v_sub_f32_e32 v2, v2, v4
	v_cndmask_b32_e64 v1, v1, v3, s[0:1]
	v_mov_b32_e32 v3, 0x37000000
	v_cmp_eq_f32_e64 s[0:1], s6, v1
	s_nop 1
	v_cndmask_b32_e64 v3, 0, v3, s[0:1]
	v_sub_f32_e32 v4, v1, v3
	s_mov_b32 s0, 0x3fb8aa3b
	v_mul_f32_e32 v5, 0x3fb8aa3b, v4
	v_fma_f32 v6, v4, s0, -v5
	v_rndne_f32_e32 v7, v5
	v_fmamk_f32 v6, v4, 0x32a5705f, v6
	v_sub_f32_e32 v5, v5, v7
	v_add_f32_e32 v5, v5, v6
	v_exp_f32_e32 v5, v5
	v_cvt_i32_f32_e32 v6, v7
	v_cmp_neq_f32_e64 s[0:1], |v1|, s5
	s_nop 1
	v_cndmask_b32_e64 v1, 0, v2, s[0:1]
	s_mov_b32 s0, 0xc2ce8ed0
	v_ldexp_f32 v2, v5, v6
	v_cmp_ngt_f32_e64 s[0:1], s0, v4
	v_add_f32_e32 v1, v3, v1
	v_mov_b32_e32 v3, 0x7f800000
	v_cndmask_b32_e64 v2, 0, v2, s[0:1]
	v_cmp_nlt_f32_e64 s[0:1], s6, v4
	v_trunc_f32_e32 v4, v19
	v_mov_b32_e32 v5, 0x7fc00000
	v_cndmask_b32_e64 v2, v3, v2, s[0:1]
	v_fma_f32 v1, v2, v1, v2
	v_cmp_class_f32_e64 s[0:1], v2, s4
	v_cmp_gt_f32_e64 s[6:7], 0, v19
	s_nop 0
	v_cndmask_b32_e64 v1, v1, v2, s[0:1]
	v_cndmask_b32_e64 v2, v18, 1.0, vcc
	v_cmp_eq_f32_e32 vcc, v4, v19
	v_mul_f32_e32 v4, 0.5, v19
	v_trunc_f32_e32 v6, v4
	v_cmp_neq_f32_e64 s[0:1], v6, v4
	s_and_b64 s[0:1], vcc, s[0:1]
	s_nop 0
	v_cndmask_b32_e64 v4, 1.0, v2, s[0:1]
	v_bfi_b32 v1, s15, v1, v4
	v_cndmask_b32_e32 v4, v5, v1, vcc
	v_cmp_gt_f32_e32 vcc, 0, v2
	s_nop 1
	v_cndmask_b32_e32 v1, v1, v4, vcc
	v_cmp_eq_f32_e32 vcc, s5, v20
	v_cmp_eq_f32_e64 s[4:5], 0, v2
	s_xor_b64 s[6:7], s[6:7], s[4:5]
	v_cndmask_b32_e64 v3, v3, 0, s[6:7]
	v_cndmask_b32_e64 v4, 0, v2, s[0:1]
	v_bfi_b32 v3, s15, v3, v4
	s_or_b64 vcc, vcc, s[4:5]
	v_cndmask_b32_e32 v1, v1, v3, vcc
	v_cmp_o_f32_e32 vcc, v2, v2
	s_nop 1
	v_cndmask_b32_e32 v30, v5, v1, vcc
.LBB24_320:
	s_mul_i32 s1, s11, s33
	v_readlane_b32 s0, v254, 21
	s_sub_i32 s1, s12, s1
	s_xor_b32 s0, s14, s0
	s_add_i32 s4, s11, 1
	s_sub_i32 s5, s1, s33
	s_cmp_ge_u32 s1, s33
	s_cselect_b32 s4, s4, s11
	s_cselect_b32 s1, s5, s1
	s_add_i32 s5, s4, 1
	s_cmp_ge_u32 s1, s33
	s_cselect_b32 s1, s5, s4
	s_xor_b32 s1, s1, s0
	s_sub_i32 s4, s1, s0
	s_cmp_eq_u64 s[26:27], 0
	s_cbranch_scc1 .LBB24_322
; %bb.321:
	v_readlane_b32 s0, v254, 0
	s_mul_i32 s0, s8, s0
	s_add_i32 s0, s4, s0
	s_ashr_i32 s1, s0, 31
	s_lshl_b64 s[0:1], s[0:1], 2
	s_add_u32 s0, s26, s0
	s_addc_u32 s1, s27, s1
	v_mov_b32_e32 v1, 0
	global_load_dword v1, v1, s[0:1]
	s_waitcnt vmcnt(0)
	v_ashrrev_i32_e32 v2, 31, v1
	v_lshrrev_b32_e32 v2, 26, v2
	v_add_u32_e32 v1, v1, v2
	v_ashrrev_i32_e32 v1, 6, v1
	v_min_i32_e32 v100, v100, v1
.LBB24_322:
	v_readlane_b32 s6, v254, 8
	v_readlane_b32 s7, v254, 9
	s_mul_i32 s0, s8, s7
	s_ashr_i32 s1, s0, 31
	s_add_u32 s0, s16, s0
	s_mul_i32 s13, s13, s6
	s_addc_u32 s1, s17, s1
	s_ashr_i32 s5, s13, 31
	s_add_u32 s0, s0, s13
	s_addc_u32 s1, s1, s5
	s_lshl_b32 s6, s4, 5
	v_add_u32_e32 v97, s6, v35
	v_and_b32_e32 v34, 0x3ff, v0
	v_cmp_le_i32_e32 vcc, s80, v97
	s_and_saveexec_b64 s[4:5], vcc
	s_xor_b64 s[4:5], exec, s[4:5]
	s_cbranch_execz .LBB24_324
; %bb.323:
	s_movk_i32 s7, 0x44
	v_mad_u32_u24 v0, v35, s7, v34
	v_lshl_add_u32 v0, v0, 2, 0
	v_mov_b32_e32 v1, 0
	ds_write_b32 v0, v1
.LBB24_324:
	s_andn2_saveexec_b64 s[4:5], s[4:5]
	s_cbranch_execz .LBB24_326
; %bb.325:
	v_mad_u64_u32 v[0:1], s[12:13], v97, s98, v[34:35]
	v_ashrrev_i32_e32 v1, 31, v0
	v_lshl_add_u64 v[0:1], v[0:1], 3, s[0:1]
	global_load_dwordx2 v[0:1], v[0:1], off
	s_movk_i32 s7, 0x44
	v_mad_u32_u24 v2, v35, s7, v34
	s_waitcnt vmcnt(0)
	v_cvt_f16_f32_e32 v0, v0
	v_cvt_f16_f32_e32 v1, v1
	v_pack_b32_f16 v0, v0, v1
	v_pk_mul_f16 v0, v31, v0
	v_lshl_add_u32 v1, v2, 2, 0
	ds_write_b32 v1, v0
.LBB24_326:
	s_or_b64 exec, exec, s[4:5]
	v_add_u32_e32 v98, s6, v120
	v_cmp_le_i32_e32 vcc, s80, v98
	s_and_saveexec_b64 s[4:5], vcc
	s_xor_b64 s[4:5], exec, s[4:5]
	s_cbranch_execz .LBB24_328
; %bb.327:
	s_movk_i32 s7, 0x44
	v_mad_u32_u24 v0, v120, s7, v34
	v_lshl_add_u32 v0, v0, 2, 0
	v_mov_b32_e32 v1, 0
	ds_write_b32 v0, v1
                                        ; implicit-def: $vgpr120
.LBB24_328:
	s_andn2_saveexec_b64 s[4:5], s[4:5]
	s_cbranch_execz .LBB24_330
; %bb.329:
	v_mad_u64_u32 v[0:1], s[12:13], v98, s98, v[34:35]
	v_ashrrev_i32_e32 v1, 31, v0
	v_lshl_add_u64 v[0:1], v[0:1], 3, s[0:1]
	global_load_dwordx2 v[0:1], v[0:1], off
	s_movk_i32 s7, 0x44
	v_mad_u32_u24 v2, v120, s7, v34
	s_waitcnt vmcnt(0)
	v_cvt_f16_f32_e32 v0, v0
	v_cvt_f16_f32_e32 v1, v1
	v_pack_b32_f16 v0, v0, v1
	v_pk_mul_f16 v0, v31, v0
	v_lshl_add_u32 v1, v2, 2, 0
	ds_write_b32 v1, v0
.LBB24_330:
	s_or_b64 exec, exec, s[4:5]
	v_add_u32_e32 v99, s6, v119
	v_cmp_le_i32_e32 vcc, s80, v99
	s_and_saveexec_b64 s[4:5], vcc
	s_xor_b64 s[4:5], exec, s[4:5]
	s_cbranch_execz .LBB24_332
; %bb.331:
	s_movk_i32 s7, 0x44
	v_mad_u32_u24 v0, v119, s7, v34
	v_lshl_add_u32 v0, v0, 2, 0
	v_mov_b32_e32 v1, 0
	ds_write_b32 v0, v1
                                        ; implicit-def: $vgpr119
.LBB24_332:
	s_andn2_saveexec_b64 s[4:5], s[4:5]
	s_cbranch_execz .LBB24_334
; %bb.333:
	v_mad_u64_u32 v[0:1], s[12:13], v99, s98, v[34:35]
	v_ashrrev_i32_e32 v1, 31, v0
	v_lshl_add_u64 v[0:1], v[0:1], 3, s[0:1]
	global_load_dwordx2 v[0:1], v[0:1], off
	s_movk_i32 s7, 0x44
	v_mad_u32_u24 v2, v119, s7, v34
	s_waitcnt vmcnt(0)
	v_cvt_f16_f32_e32 v0, v0
	v_cvt_f16_f32_e32 v1, v1
	v_pack_b32_f16 v0, v0, v1
	v_pk_mul_f16 v0, v31, v0
	v_lshl_add_u32 v1, v2, 2, 0
	ds_write_b32 v1, v0
.LBB24_334:
	s_or_b64 exec, exec, s[4:5]
	v_add_u32_e32 v101, s6, v118
	v_cmp_le_i32_e32 vcc, s80, v101
	s_and_saveexec_b64 s[4:5], vcc
	s_xor_b64 s[4:5], exec, s[4:5]
	s_cbranch_execz .LBB24_336
; %bb.335:
	s_movk_i32 s7, 0x44
	v_mad_u32_u24 v0, v118, s7, v34
	v_lshl_add_u32 v0, v0, 2, 0
	v_mov_b32_e32 v1, 0
	ds_write_b32 v0, v1
                                        ; implicit-def: $vgpr118
.LBB24_336:
	s_andn2_saveexec_b64 s[4:5], s[4:5]
	s_cbranch_execz .LBB24_338
; %bb.337:
	v_mad_u64_u32 v[0:1], s[12:13], v101, s98, v[34:35]
	v_ashrrev_i32_e32 v1, 31, v0
	v_lshl_add_u64 v[0:1], v[0:1], 3, s[0:1]
	global_load_dwordx2 v[0:1], v[0:1], off
	s_movk_i32 s7, 0x44
	v_mad_u32_u24 v2, v118, s7, v34
	s_waitcnt vmcnt(0)
	v_cvt_f16_f32_e32 v0, v0
	v_cvt_f16_f32_e32 v1, v1
	v_pack_b32_f16 v0, v0, v1
	v_pk_mul_f16 v0, v31, v0
	v_lshl_add_u32 v1, v2, 2, 0
	ds_write_b32 v1, v0
.LBB24_338:
	s_or_b64 exec, exec, s[4:5]
	v_add_u32_e32 v102, s6, v117
	v_cmp_le_i32_e32 vcc, s80, v102
	s_and_saveexec_b64 s[4:5], vcc
	s_xor_b64 s[4:5], exec, s[4:5]
	s_cbranch_execz .LBB24_340
; %bb.339:
	s_movk_i32 s7, 0x44
	v_mad_u32_u24 v0, v117, s7, v34
	v_lshl_add_u32 v0, v0, 2, 0
	v_mov_b32_e32 v1, 0
	ds_write_b32 v0, v1
                                        ; implicit-def: $vgpr117
.LBB24_340:
	s_andn2_saveexec_b64 s[4:5], s[4:5]
	s_cbranch_execz .LBB24_342
; %bb.341:
	v_mad_u64_u32 v[0:1], s[12:13], v102, s98, v[34:35]
	v_ashrrev_i32_e32 v1, 31, v0
	v_lshl_add_u64 v[0:1], v[0:1], 3, s[0:1]
	global_load_dwordx2 v[0:1], v[0:1], off
	s_movk_i32 s7, 0x44
	v_mad_u32_u24 v2, v117, s7, v34
	s_waitcnt vmcnt(0)
	v_cvt_f16_f32_e32 v0, v0
	v_cvt_f16_f32_e32 v1, v1
	v_pack_b32_f16 v0, v0, v1
	v_pk_mul_f16 v0, v31, v0
	v_lshl_add_u32 v1, v2, 2, 0
	ds_write_b32 v1, v0
.LBB24_342:
	s_or_b64 exec, exec, s[4:5]
	v_add_u32_e32 v103, s6, v116
	v_cmp_le_i32_e32 vcc, s80, v103
	s_and_saveexec_b64 s[4:5], vcc
	s_xor_b64 s[4:5], exec, s[4:5]
	s_cbranch_execz .LBB24_344
; %bb.343:
	s_movk_i32 s7, 0x44
	v_mad_u32_u24 v0, v116, s7, v34
	v_lshl_add_u32 v0, v0, 2, 0
	v_mov_b32_e32 v1, 0
	ds_write_b32 v0, v1
                                        ; implicit-def: $vgpr116
.LBB24_344:
	s_andn2_saveexec_b64 s[4:5], s[4:5]
	s_cbranch_execz .LBB24_346
; %bb.345:
	v_mad_u64_u32 v[0:1], s[12:13], v103, s98, v[34:35]
	v_ashrrev_i32_e32 v1, 31, v0
	v_lshl_add_u64 v[0:1], v[0:1], 3, s[0:1]
	global_load_dwordx2 v[0:1], v[0:1], off
	s_movk_i32 s7, 0x44
	v_mad_u32_u24 v2, v116, s7, v34
	s_waitcnt vmcnt(0)
	v_cvt_f16_f32_e32 v0, v0
	v_cvt_f16_f32_e32 v1, v1
	v_pack_b32_f16 v0, v0, v1
	v_pk_mul_f16 v0, v31, v0
	v_lshl_add_u32 v1, v2, 2, 0
	ds_write_b32 v1, v0
.LBB24_346:
	s_or_b64 exec, exec, s[4:5]
	v_add_u32_e32 v104, s6, v115
	v_cmp_le_i32_e32 vcc, s80, v104
	s_and_saveexec_b64 s[4:5], vcc
	s_xor_b64 s[4:5], exec, s[4:5]
	s_cbranch_execz .LBB24_348
; %bb.347:
	s_movk_i32 s7, 0x44
	v_mad_u32_u24 v0, v115, s7, v34
	v_lshl_add_u32 v0, v0, 2, 0
	v_mov_b32_e32 v1, 0
	ds_write_b32 v0, v1
                                        ; implicit-def: $vgpr115
.LBB24_348:
	s_andn2_saveexec_b64 s[4:5], s[4:5]
	s_cbranch_execz .LBB24_350
; %bb.349:
	v_mad_u64_u32 v[0:1], s[12:13], v104, s98, v[34:35]
	v_ashrrev_i32_e32 v1, 31, v0
	v_lshl_add_u64 v[0:1], v[0:1], 3, s[0:1]
	global_load_dwordx2 v[0:1], v[0:1], off
	s_movk_i32 s7, 0x44
	v_mad_u32_u24 v2, v115, s7, v34
	s_waitcnt vmcnt(0)
	v_cvt_f16_f32_e32 v0, v0
	v_cvt_f16_f32_e32 v1, v1
	v_pack_b32_f16 v0, v0, v1
	v_pk_mul_f16 v0, v31, v0
	v_lshl_add_u32 v1, v2, 2, 0
	ds_write_b32 v1, v0
.LBB24_350:
	s_or_b64 exec, exec, s[4:5]
	v_add_u32_e32 v107, s6, v33
	v_cmp_le_i32_e32 vcc, s80, v107
	s_and_saveexec_b64 s[4:5], vcc
	s_xor_b64 s[4:5], exec, s[4:5]
	s_cbranch_execz .LBB24_352
; %bb.351:
	s_movk_i32 s6, 0x44
	v_mad_u32_u24 v0, v33, s6, v34
	v_lshl_add_u32 v0, v0, 2, 0
	v_mov_b32_e32 v1, 0
	ds_write_b32 v0, v1
                                        ; implicit-def: $vgpr31
                                        ; implicit-def: $vgpr33
.LBB24_352:
	s_andn2_saveexec_b64 s[4:5], s[4:5]
	s_cbranch_execz .LBB24_354
; %bb.353:
	v_mad_u64_u32 v[0:1], s[6:7], v107, s98, v[34:35]
	v_ashrrev_i32_e32 v1, 31, v0
	v_lshl_add_u64 v[0:1], v[0:1], 3, s[0:1]
	global_load_dwordx2 v[0:1], v[0:1], off
	s_movk_i32 s0, 0x44
	v_mad_u32_u24 v2, v33, s0, v34
	s_waitcnt vmcnt(0)
	v_cvt_f16_f32_e32 v0, v0
	v_cvt_f16_f32_e32 v1, v1
	v_pack_b32_f16 v0, v0, v1
	v_pk_mul_f16 v0, v31, v0
	v_lshl_add_u32 v1, v2, 2, 0
	ds_write_b32 v1, v0
.LBB24_354:
	s_or_b64 exec, exec, s[4:5]
	v_readlane_b32 s4, v254, 11
	v_readlane_b32 s5, v254, 12
	s_mul_i32 s0, s8, s5
	s_mul_hi_u32 s1, s8, s4
	s_add_i32 s0, s1, s0
	s_mul_i32 s1, s10, s4
	s_add_i32 s0, s0, s1
	s_mul_i32 s1, s8, s4
	v_readlane_b32 s4, v254, 17
	v_readlane_b32 s5, v254, 18
	;; [unrolled: 1-line block ×3, first 2 shown]
	v_lshrrev_b32_e32 v1, 3, v34
	s_add_u32 s1, s20, s1
	s_mov_b64 s[12:13], s[4:5]
	s_mul_i32 s4, s9, s7
	v_and_b32_e32 v16, 0x1ff0, v113
	s_movk_i32 s26, 0x110
	v_and_b32_e32 v79, 15, v34
	v_and_b32_e32 v80, 0x7e, v1
	s_addc_u32 s0, s21, s0
	s_ashr_i32 s5, s4, 31
	v_mad_u32_u24 v0, v16, s26, 0
	v_mul_u32_u24_e32 v105, 0x110, v79
	v_lshlrev_b32_e32 v106, 2, v80
	s_add_u32 s33, s1, s4
	v_add3_u32 v0, v0, v105, v106
	s_addc_u32 s40, s0, s5
	s_mul_i32 s0, s8, s13
	s_mul_hi_u32 s1, s8, s12
	s_waitcnt lgkmcnt(0)
	s_barrier
	ds_read2_b64 v[12:15], v0 offset1:4
	ds_read2_b64 v[8:11], v0 offset0:8 offset1:12
	ds_read2_b64 v[4:7], v0 offset0:16 offset1:20
	;; [unrolled: 1-line block ×3, first 2 shown]
	s_add_i32 s0, s1, s0
	s_mul_i32 s10, s10, s12
	v_readlane_b32 s4, v254, 15
	s_add_i32 s0, s0, s10
	s_mul_i32 s8, s8, s12
	v_readlane_b32 s5, v254, 16
	s_add_u32 s1, s18, s8
	s_mul_i32 s9, s9, s5
	s_addc_u32 s0, s19, s0
	s_ashr_i32 s4, s9, 31
	v_add_u32_e32 v109, -1, v100
	s_add_u32 s41, s1, s9
	v_cmp_ge_i32_e32 vcc, s44, v109
	s_addc_u32 s42, s0, s4
	s_mov_b32 s43, 0
	s_and_b64 vcc, exec, vcc
	v_mov_b32_e32 v93, 0
	v_or_b32_e32 v100, v16, v79
	v_lshlrev_b32_e32 v32, 1, v34
	v_mbcnt_lo_u32_b32 v84, -1, 0
	v_lshrrev_b32_e32 v108, 4, v34
	v_lshlrev_b32_e32 v78, 2, v34
	v_lshrrev_b32_e32 v83, 2, v34
	v_and_b32_e32 v82, 8, v113
	v_lshlrev_b32_e32 v81, 1, v79
	v_readlane_b32 s6, v254, 19
	s_waitcnt lgkmcnt(0)
	s_barrier
	s_cbranch_vccnz .LBB24_367
; %bb.355:
	v_mul_hi_u32 v17, s94, v97
	v_add_u32_e32 v17, v97, v17
	v_lshrrev_b32_e32 v17, s95, v17
	v_mul_lo_u32 v17, v17, s80
	v_mov_b32_e32 v16, 0
	v_sub_u32_e32 v17, v97, v17
	v_mov_b32_e32 v33, v16
	v_mad_i64_i32 v[38:39], s[4:5], v17, s54, 0
	v_mul_u32_u24_e32 v17, 0x90, v35
	v_lshl_add_u64 v[36:37], s[2:3], 0, v[32:33]
	v_add3_u32 v33, 0, v17, v32
	v_mul_hi_u32 v17, s94, v98
	v_add_u32_e32 v17, v98, v17
	v_lshrrev_b32_e32 v17, s95, v17
	v_mul_lo_u32 v17, v17, s80
	v_sub_u32_e32 v17, v98, v17
	v_mad_i64_i32 v[40:41], s[4:5], v17, s54, 0
	v_mul_hi_u32 v17, s94, v99
	v_add_u32_e32 v17, v99, v17
	v_lshrrev_b32_e32 v17, s95, v17
	v_mul_lo_u32 v17, v17, s80
	v_sub_u32_e32 v17, v99, v17
	v_mad_i64_i32 v[42:43], s[4:5], v17, s54, 0
	;; [unrolled: 6-line block ×7, first 2 shown]
	v_mbcnt_hi_u32_b32 v17, -1, v84
	v_and_b32_e32 v18, 64, v17
	v_add_u32_e32 v18, 64, v18
	v_xor_b32_e32 v19, 32, v17
	v_cmp_lt_i32_e32 vcc, v19, v18
	s_cmp_lg_u64 s[2:3], 0
	s_cselect_b64 s[30:31], -1, 0
	v_cndmask_b32_e32 v19, v17, v19, vcc
	v_lshlrev_b32_e32 v120, 2, v19
	v_xor_b32_e32 v19, 16, v17
	v_cmp_lt_i32_e32 vcc, v19, v18
	v_and_b32_e32 v18, 60, v78
	v_lshlrev_b32_e32 v20, 2, v18
	v_cndmask_b32_e32 v17, v17, v19, vcc
	v_lshlrev_b32_e32 v121, 2, v17
	v_lshl_add_u32 v17, v35, 2, v108
	v_mul_u32_u24_e32 v19, 0x110, v17
	v_add3_u32 v122, 0, v19, v20
	v_and_b32_e32 v19, 16, v112
	v_and_b32_e32 v22, 0xfc, v83
	v_mul_lo_u32 v62, s76, v17
	s_lshl_b32 s36, s76, 4
	s_movk_i32 s10, 0x90
	v_mul_lo_u32 v54, s82, v17
	s_lshl_b32 s11, s82, 4
	v_mul_u32_u24_e32 v21, 0x110, v19
	v_add_u32_e32 v23, v19, v22
	v_add_u16_e32 v19, v19, v22
	v_add_u32_e32 v64, s36, v62
	v_add_u32_e32 v56, s11, v54
	v_mad_u32_u24 v24, v100, s10, 0
	v_lshrrev_b16_e32 v19, 1, v19
	v_add_u32_e32 v66, s36, v64
	v_cmp_gt_u32_e64 s[28:29], 64, v17
	v_cmp_gt_u32_e64 s[4:5], 48, v17
	;; [unrolled: 1-line block ×3, first 2 shown]
	v_add_u32_e32 v58, s11, v56
	v_cmp_gt_u32_e64 s[8:9], 16, v17
	v_lshl_add_u32 v19, v19, 2, v24
	v_lshl_add_u32 v24, v23, 1, v24
	v_add_u32_e32 v68, s36, v66
	v_mul_u32_u24_e32 v17, 0x88, v22
	s_movk_i32 s36, 0x220
	v_add_u32_e32 v60, s11, v58
	v_add_u32_e32 v126, 64, v24
	;; [unrolled: 1-line block ×3, first 2 shown]
	v_cmp_gt_u32_e64 s[10:11], 64, v23
	v_cmp_gt_u32_e64 s[12:13], 63, v23
	;; [unrolled: 1-line block ×8, first 2 shown]
	v_or_b32_e32 v17, v17, v79
	v_mul_u32_u24_e32 v23, 0x110, v22
	v_or_b32_e32 v24, 3, v83
	v_mul_u32_u24_e32 v25, 0x220, v82
	v_mad_u32_u24 v26, v82, s36, 0
	v_mul_u32_u24_e32 v24, 0x110, v24
	v_lshlrev_b32_e32 v17, 1, v17
	v_add3_u32 v129, v26, v23, v81
	v_add3_u32 v23, 0, 32, v25
	v_add_u32_e32 v128, v26, v17
	v_add3_u32 v130, v26, v24, v81
	v_add_u32_e32 v133, v23, v17
	v_mad_u32_u24 v26, v22, s26, v23
	v_add3_u32 v136, v23, v24, v81
	v_add3_u32 v23, 0, 64, v25
	s_add_i32 s37, 0, 0x60
	v_add_u32_e32 v138, v23, v17
	v_mad_u32_u24 v25, v22, s26, v23
	v_add3_u32 v141, v23, v24, v81
	v_mov_b32_e32 v23, s37
	s_movk_i32 s27, 0x2200
	v_mad_u32_u24 v23, v82, s36, v23
	s_add_i32 s37, 0, 0x80
	v_add3_u32 v139, v25, v81, s27
	v_add_u32_e32 v143, v23, v17
	v_mad_u32_u24 v25, v22, s26, v23
	v_add3_u32 v146, v23, v24, v81
	v_mov_b32_e32 v23, s37
	v_mad_u32_u24 v23, v82, s36, v23
	s_add_i32 s37, 0, 0xa0
	v_add3_u32 v144, v25, v81, s27
	v_add_u32_e32 v148, v23, v17
	v_mad_u32_u24 v25, v22, s26, v23
	v_add3_u32 v151, v23, v24, v81
	v_mov_b32_e32 v23, s37
	;; [unrolled: 7-line block ×4, first 2 shown]
	v_mad_u32_u24 v23, v82, s36, v23
	s_mov_b64 s[34:35], src_private_base
	v_add3_u32 v20, 0, v105, v106
	v_add_u32_e32 v163, v23, v17
	v_mad_u32_u24 v17, v22, s26, v23
	v_cmp_lt_u32_e64 s[0:1], 63, v34
	v_add_u32_e32 v110, 0x240, v33
	v_add_u32_e32 v111, 0x480, v33
	;; [unrolled: 1-line block ×7, first 2 shown]
	s_mov_b32 s34, 0
	v_ashrrev_i32_e32 v55, 31, v54
	v_add_u32_e32 v123, 0x1100, v122
	v_ashrrev_i32_e32 v57, 31, v56
	v_add_u32_e32 v124, 0x2200, v122
	;; [unrolled: 2-line block ×3, first 2 shown]
	v_ashrrev_i32_e32 v61, 31, v60
	v_ashrrev_i32_e32 v63, 31, v62
	;; [unrolled: 1-line block ×5, first 2 shown]
	v_add_u32_e32 v131, 0x2200, v129
	v_add_u32_e32 v132, 32, v129
	v_add3_u32 v134, v26, v81, s27
	v_add_u32_e32 v135, 0x2200, v133
	v_add_u32_e32 v137, 64, v129
	v_add_u32_e32 v140, 0x2200, v138
	v_add_u32_e32 v142, 0x60, v129
	v_add_u32_e32 v145, 0x2200, v143
	v_add_u32_e32 v147, 0x80, v129
	v_add_u32_e32 v150, 0x2200, v148
	v_add_u32_e32 v152, 0xa0, v129
	v_add_u32_e32 v155, 0x2200, v153
	v_add_u32_e32 v157, 0xc0, v129
	v_add3_u32 v159, v25, v81, s27
	v_add_u32_e32 v160, 0x2200, v158
	v_add_u32_e32 v162, 0xe0, v129
	v_add3_u32 v164, v17, v81, s27
	v_add_u32_e32 v165, 0x2200, v163
	v_add3_u32 v166, v23, v24, v81
	v_mov_b32_e32 v70, v30
	v_mov_b32_e32 v71, v30
	s_lshl_b32 s36, s44, 6
	v_mov_b32_e32 v76, 0xfeffffff
	v_lshlrev_b32_e32 v72, 2, v18
	v_add_u32_e32 v167, v20, v21
	v_add_u32_e32 v168, 0x4400, v19
	s_mov_b32 s45, 0x3fb8aa3b
	s_mov_b32 s46, 0xc2ce8ed0
	;; [unrolled: 1-line block ×5, first 2 shown]
	v_mov_b32_e32 v169, 0x7f800000
	v_mov_b32_e32 v170, 0
	;; [unrolled: 1-line block ×18, first 2 shown]
.LBB24_356:                             ; =>This Inner Loop Header: Depth=1
	v_cndmask_b32_e64 v17, 0, 1, s[30:31]
	v_cmp_ne_u32_e64 s[26:27], 1, v17
	s_andn2_b64 vcc, exec, s[30:31]
	s_ashr_i32 s37, s36, 31
	s_cbranch_vccnz .LBB24_362
; %bb.357:                              ;   in Loop: Header=BB24_356 Depth=1
                                        ; implicit-def: $sgpr50
	s_and_saveexec_b64 s[38:39], s[0:1]
	s_xor_b64 s[38:39], exec, s[38:39]
	s_cbranch_execz .LBB24_359
; %bb.358:                              ;   in Loop: Header=BB24_356 Depth=1
	ds_write_b16 v33, v16 offset:17408
	ds_write_b16 v110, v16 offset:17408
	ds_write_b16 v111, v16 offset:17408
	ds_write_b16 v115, v16 offset:17408
	s_mov_b32 s50, 0
.LBB24_359:                             ;   in Loop: Header=BB24_356 Depth=1
	s_or_saveexec_b64 s[38:39], s[38:39]
	v_mov_b32_e32 v17, s50
	v_mov_b32_e32 v18, s50
	;; [unrolled: 1-line block ×4, first 2 shown]
	s_xor_b64 exec, exec, s[38:39]
	s_cbranch_execz .LBB24_361
; %bb.360:                              ;   in Loop: Header=BB24_356 Depth=1
	v_lshl_add_u64 v[18:19], s[36:37], 1, v[36:37]
	v_lshl_add_u64 v[20:21], v[38:39], 1, v[18:19]
	;; [unrolled: 1-line block ×5, first 2 shown]
	flat_load_ushort v17, v[20:21]
	flat_load_ushort v31, v[22:23]
	;; [unrolled: 1-line block ×4, first 2 shown]
	v_lshl_add_u64 v[20:21], v[46:47], 1, v[18:19]
	v_lshl_add_u64 v[22:23], v[48:49], 1, v[18:19]
	;; [unrolled: 1-line block ×4, first 2 shown]
	s_waitcnt vmcnt(0) lgkmcnt(0)
	ds_write_b16 v33, v17 offset:17408
	ds_write_b16 v110, v31 offset:17408
	ds_write_b16 v111, v73 offset:17408
	ds_write_b16 v115, v77 offset:17408
	flat_load_ushort v17, v[20:21]
	flat_load_ushort v18, v[22:23]
	;; [unrolled: 1-line block ×3, first 2 shown]
	s_nop 0
	flat_load_ushort v20, v[26:27]
.LBB24_361:                             ;   in Loop: Header=BB24_356 Depth=1
	s_or_b64 exec, exec, s[38:39]
	s_waitcnt vmcnt(0) lgkmcnt(0)
	ds_write_b16 v116, v17 offset:17408
	ds_write_b16 v117, v18 offset:17408
	;; [unrolled: 1-line block ×4, first 2 shown]
.LBB24_362:                             ;   in Loop: Header=BB24_356 Depth=1
	s_mul_hi_i32 s39, s36, s82
	s_mul_i32 s38, s36, s82
	s_lshl_b64 s[38:39], s[38:39], 2
	s_add_u32 s38, s41, s38
	s_addc_u32 s39, s42, s39
	v_lshl_add_u64 v[20:21], v[54:55], 2, s[38:39]
	v_mov_b32_e32 v73, v16
	v_mov_b32_e32 v17, v16
	;; [unrolled: 1-line block ×4, first 2 shown]
	v_lshl_add_u64 v[20:21], v[20:21], 0, v[72:73]
	v_mov_b32_e32 v26, s35
	v_mov_b32_e32 v27, s34
	scratch_store_dwordx4 off, v[16:19], off
	v_cndmask_b32_e64 v21, v26, v21, s[28:29]
	v_cndmask_b32_e64 v20, v27, v20, s[28:29]
	flat_load_dwordx4 v[20:23], v[20:21]
	v_lshl_add_u64 v[24:25], v[56:57], 2, s[38:39]
	v_lshl_add_u64 v[24:25], v[24:25], 0, v[72:73]
	v_cndmask_b32_e64 v25, v26, v25, s[4:5]
	v_cndmask_b32_e64 v24, v27, v24, s[4:5]
	v_add_u32_e32 v31, 0x2000, v167
	s_and_b64 vcc, exec, s[26:27]
	s_waitcnt vmcnt(0) lgkmcnt(0)
	ds_write_b128 v122, v[20:23]
	flat_load_dwordx4 v[20:23], v[24:25]
	v_lshl_add_u64 v[24:25], v[58:59], 2, s[38:39]
	v_lshl_add_u64 v[24:25], v[24:25], 0, v[72:73]
	v_cndmask_b32_e64 v25, v26, v25, s[6:7]
	v_cndmask_b32_e64 v24, v27, v24, s[6:7]
	s_waitcnt vmcnt(0) lgkmcnt(0)
	ds_write_b128 v123, v[20:23]
	flat_load_dwordx4 v[20:23], v[24:25]
	v_lshl_add_u64 v[24:25], v[60:61], 2, s[38:39]
	v_lshl_add_u64 v[24:25], v[24:25], 0, v[72:73]
	v_cndmask_b32_e64 v25, v26, v25, s[8:9]
	v_cndmask_b32_e64 v24, v27, v24, s[8:9]
	s_waitcnt vmcnt(0) lgkmcnt(0)
	ds_write_b128 v124, v[20:23]
	flat_load_dwordx4 v[20:23], v[24:25]
	s_waitcnt vmcnt(0) lgkmcnt(0)
	ds_write_b128 v125, v[20:23]
	s_waitcnt lgkmcnt(0)
	s_barrier
	ds_read2_b64 v[20:23], v167 offset1:4
	ds_read2_b64 v[172:175], v31 offset0:64 offset1:68
	s_waitcnt lgkmcnt(1)
	v_mfma_f32_16x16x16_f16 v[24:27], v[20:21], v[12:13], 0
	s_waitcnt lgkmcnt(0)
	v_mfma_f32_16x16x16_f16 v[176:179], v[172:173], v[12:13], 0
	v_mfma_f32_16x16x16_f16 v[20:23], v[22:23], v[14:15], v[24:27]
	v_mfma_f32_16x16x16_f16 v[24:27], v[174:175], v[14:15], v[176:179]
	ds_read2_b64 v[172:175], v167 offset0:8 offset1:12
	s_nop 3
	ds_read2_b64 v[176:179], v31 offset0:72 offset1:76
	s_waitcnt lgkmcnt(1)
	v_mfma_f32_16x16x16_f16 v[20:23], v[172:173], v[8:9], v[20:23]
	s_waitcnt lgkmcnt(0)
	v_mfma_f32_16x16x16_f16 v[24:27], v[176:177], v[8:9], v[24:27]
	v_mfma_f32_16x16x16_f16 v[20:23], v[174:175], v[10:11], v[20:23]
	ds_read2_b64 v[172:175], v167 offset0:16 offset1:20
	v_mfma_f32_16x16x16_f16 v[24:27], v[178:179], v[10:11], v[24:27]
	ds_read2_b64 v[176:179], v31 offset0:80 offset1:84
	s_waitcnt lgkmcnt(1)
	v_mfma_f32_16x16x16_f16 v[20:23], v[172:173], v[4:5], v[20:23]
	s_waitcnt lgkmcnt(0)
	v_mfma_f32_16x16x16_f16 v[24:27], v[176:177], v[4:5], v[24:27]
	v_mfma_f32_16x16x16_f16 v[20:23], v[174:175], v[6:7], v[20:23]
	ds_read2_b64 v[172:175], v167 offset0:24 offset1:28
	v_mfma_f32_16x16x16_f16 v[24:27], v[178:179], v[6:7], v[24:27]
	ds_read2_b64 v[176:179], v31 offset0:88 offset1:92
	s_waitcnt lgkmcnt(0)
	s_barrier
	v_mfma_f32_16x16x16_f16 v[20:23], v[172:173], v[0:1], v[20:23]
	v_mfma_f32_16x16x16_f16 v[180:183], v[176:177], v[0:1], v[24:27]
	;; [unrolled: 1-line block ×4, first 2 shown]
	s_cbranch_vccnz .LBB24_364
; %bb.363:                              ;   in Loop: Header=BB24_356 Depth=1
	ds_read2_b32 v[172:173], v168 offset1:1
	ds_read_b32 v77, v126 offset:17408
	ds_read_b32 v171, v127 offset:17408
	v_mov_b32_e32 v31, v30
	s_waitcnt lgkmcnt(2)
	v_cvt_f32_f16_e32 v174, v172
	v_cvt_f32_f16_sdwa v175, v172 dst_sel:DWORD dst_unused:UNUSED_PAD src0_sel:WORD_1
	v_cvt_f32_f16_e32 v172, v173
	v_cvt_f32_f16_sdwa v173, v173 dst_sel:DWORD dst_unused:UNUSED_PAD src0_sel:WORD_1
	s_waitcnt lgkmcnt(1)
	v_cvt_f32_f16_sdwa v177, v77 dst_sel:DWORD dst_unused:UNUSED_PAD src0_sel:WORD_1
	s_waitcnt lgkmcnt(0)
	v_cvt_f32_f16_sdwa v179, v171 dst_sel:DWORD dst_unused:UNUSED_PAD src0_sel:WORD_1
	v_cvt_f32_f16_e32 v178, v171
	v_cvt_f32_f16_e32 v176, v77
	v_pk_fma_f32 v[26:27], v[30:31], v[172:173], v[26:27]
	v_pk_fma_f32 v[24:25], v[70:71], v[174:175], v[24:25]
	;; [unrolled: 1-line block ×4, first 2 shown]
.LBB24_364:                             ;   in Loop: Header=BB24_356 Depth=1
	s_mul_hi_i32 s27, s36, s76
	s_mul_i32 s26, s36, s76
	s_lshl_b64 s[26:27], s[26:27], 2
	s_add_u32 s26, s33, s26
	s_addc_u32 s27, s40, s27
	v_lshl_add_u64 v[172:173], v[62:63], 2, s[26:27]
	v_lshl_add_u64 v[172:173], v[172:173], 0, v[72:73]
	v_mov_b32_e32 v31, s35
	v_mov_b32_e32 v77, s34
	v_cndmask_b32_e64 v173, v31, v173, s[28:29]
	v_cndmask_b32_e64 v172, v77, v172, s[28:29]
	scratch_store_dwordx4 off, v[16:19], off
	flat_load_dwordx4 v[172:175], v[172:173]
	v_add_f32_e32 v178, 0x40051340, v26
	v_add_f32_e32 v179, 0x40051340, v27
	v_cndmask_b32_e64 v184, v27, v27, s[12:13]
	v_cndmask_b32_e64 v185, v26, v26, s[12:13]
	v_lshl_add_u64 v[26:27], v[64:65], 2, s[26:27]
	v_lshl_add_u64 v[26:27], v[26:27], 0, v[72:73]
	v_cndmask_b32_e64 v27, v31, v27, s[4:5]
	v_cndmask_b32_e64 v26, v77, v26, s[4:5]
	v_add_f32_e32 v171, 0x40051340, v24
	v_max_f32_e32 v176, v76, v76
	v_max_f32_e32 v171, v176, v171
	v_cndmask_b32_e64 v171, v76, v171, s[10:11]
	v_add_f32_e32 v177, 0x40051340, v25
	v_max_f32_e32 v176, v171, v171
	v_max_f32_e32 v188, v176, v177
	v_lshl_add_u64 v[176:177], v[66:67], 2, s[26:27]
	v_lshl_add_u64 v[176:177], v[176:177], 0, v[72:73]
	v_cndmask_b32_e64 v177, v31, v177, s[6:7]
	v_cndmask_b32_e64 v176, v77, v176, s[6:7]
	;; [unrolled: 1-line block ×3, first 2 shown]
	v_max_f32_e32 v188, v171, v171
	v_max_f32_e32 v178, v188, v178
	v_cndmask_b32_e64 v171, v171, v178, s[14:15]
	v_max_f32_e32 v178, v171, v171
	v_max_f32_e32 v178, v178, v179
	v_cndmask_b32_e64 v171, v171, v178, s[16:17]
	v_add_f32_e32 v180, 0x40051340, v20
	v_max_f32_e32 v178, v171, v171
	v_max_f32_e32 v178, v178, v180
	v_cndmask_b32_e64 v171, v171, v178, s[18:19]
	v_add_f32_e32 v181, 0x40051340, v21
	v_max_f32_e32 v178, v171, v171
	v_max_f32_e32 v178, v178, v181
	v_cndmask_b32_e64 v171, v171, v178, s[20:21]
	v_add_f32_e32 v182, 0x40051340, v22
	v_max_f32_e32 v178, v171, v171
	v_max_f32_e32 v178, v178, v182
	v_cndmask_b32_e64 v171, v171, v178, s[22:23]
	v_add_f32_e32 v183, 0x40051340, v23
	v_max_f32_e32 v178, v171, v171
	v_max_f32_e32 v178, v178, v183
	v_cndmask_b32_e64 v171, v171, v178, s[24:25]
	v_lshl_add_u64 v[178:179], v[68:69], 2, s[26:27]
	v_lshl_add_u64 v[178:179], v[178:179], 0, v[72:73]
	v_cndmask_b32_e64 v179, v31, v179, s[8:9]
	v_cndmask_b32_e64 v178, v77, v178, s[8:9]
	ds_bpermute_b32 v180, v120, v171
	v_max_f32_e32 v73, v171, v171
	v_cndmask_b32_e64 v187, v21, v21, s[18:19]
	v_cndmask_b32_e64 v186, v22, v22, s[18:19]
	v_mov_b32_e32 v17, s43
	s_waitcnt lgkmcnt(0)
	v_max_f32_e32 v171, v180, v180
	v_max_f32_e32 v73, v73, v171
	ds_bpermute_b32 v171, v121, v73
	v_mov_b32_e32 v18, s43
	v_mov_b32_e32 v19, s43
	;; [unrolled: 1-line block ×4, first 2 shown]
	s_waitcnt lgkmcnt(0)
	v_max_f32_e32 v31, v171, v171
	v_max_f32_e32 v31, v73, v31
	v_sub_f32_e32 v24, v24, v31
	v_sub_f32_e32 v25, v25, v31
	v_mul_f32_e32 v181, 0x3fb8aa3b, v24
	v_sub_f32_e32 v73, v185, v31
	v_mul_f32_e32 v182, 0x3fb8aa3b, v25
	v_fma_f32 v190, v24, s45, -v181
	v_rndne_f32_e32 v191, v181
	v_sub_f32_e32 v77, v184, v31
	v_mul_f32_e32 v183, 0x3fb8aa3b, v73
	v_fma_f32 v192, v25, s45, -v182
	v_rndne_f32_e32 v193, v182
	v_fmac_f32_e32 v190, 0x32a5705f, v24
	v_sub_f32_e32 v181, v181, v191
	v_sub_f32_e32 v20, v20, v31
	v_mul_f32_e32 v184, 0x3fb8aa3b, v77
	v_fma_f32 v194, v73, s45, -v183
	v_rndne_f32_e32 v195, v183
	v_fmac_f32_e32 v192, 0x32a5705f, v25
	v_sub_f32_e32 v182, v182, v193
	s_waitcnt vmcnt(0)
	ds_write_b128 v122, v[172:175]
	flat_load_dwordx4 v[172:175], v[26:27]
	v_add_f32_e32 v181, v181, v190
	v_sub_f32_e32 v171, v187, v31
	v_mul_f32_e32 v185, 0x3fb8aa3b, v20
	v_fma_f32 v196, v77, s45, -v184
	v_rndne_f32_e32 v197, v184
	v_cvt_i32_f32_e32 v191, v191
	v_fmac_f32_e32 v194, 0x32a5705f, v73
	v_sub_f32_e32 v183, v183, v195
	v_add_f32_e32 v182, v182, v192
	v_exp_f32_e32 v181, v181
	v_cndmask_b32_e64 v27, v23, v23, s[18:19]
	v_sub_f32_e32 v180, v186, v31
	v_mul_f32_e32 v186, 0x3fb8aa3b, v171
	v_fma_f32 v198, v20, s45, -v185
	v_rndne_f32_e32 v199, v185
	v_cvt_i32_f32_e32 v193, v193
	v_fmac_f32_e32 v196, 0x32a5705f, v77
	v_sub_f32_e32 v184, v184, v197
	v_add_f32_e32 v183, v183, v194
	v_exp_f32_e32 v182, v182
	v_sub_f32_e32 v27, v27, v31
	v_mul_f32_e32 v187, 0x3fb8aa3b, v180
	v_fma_f32 v200, v171, s45, -v186
	v_rndne_f32_e32 v201, v186
	v_cvt_i32_f32_e32 v195, v195
	v_fmac_f32_e32 v198, 0x32a5705f, v20
	v_sub_f32_e32 v185, v185, v199
	v_add_f32_e32 v184, v184, v196
	v_exp_f32_e32 v183, v183
	;; [unrolled: 9-line block ×3, first 2 shown]
	v_mul_f32_e32 v189, 0x3fb8aa3b, v76
	v_fma_f32 v204, v27, s45, -v188
	v_cvt_i32_f32_e32 v199, v199
	v_fmac_f32_e32 v202, 0x32a5705f, v180
	v_sub_f32_e32 v187, v187, v203
	v_add_f32_e32 v186, v186, v200
	v_exp_f32_e32 v185, v185
	v_ldexp_f32 v181, v181, v191
	v_cmp_ngt_f32_e32 vcc, s46, v24
	v_rndne_f32_e32 v205, v189
	v_cvt_i32_f32_e32 v201, v201
	v_fmac_f32_e32 v204, 0x32a5705f, v27
	v_add_f32_e32 v187, v187, v202
	v_exp_f32_e32 v186, v186
	v_ldexp_f32 v182, v182, v193
	v_cndmask_b32_e32 v181, 0, v181, vcc
	v_cmp_ngt_f32_e32 vcc, s46, v25
	v_cvt_i32_f32_e32 v203, v203
	v_exp_f32_e32 v187, v187
	v_ldexp_f32 v183, v183, v195
	v_cndmask_b32_e32 v182, 0, v182, vcc
	v_cmp_ngt_f32_e32 vcc, s46, v73
	v_ldexp_f32 v184, v184, v197
	v_ldexp_f32 v185, v185, v199
	v_cndmask_b32_e32 v183, 0, v183, vcc
	v_cmp_ngt_f32_e32 vcc, s46, v77
	v_ldexp_f32 v186, v186, v201
	v_ldexp_f32 v187, v187, v203
	v_cndmask_b32_e32 v184, 0, v184, vcc
	v_cmp_ngt_f32_e32 vcc, s46, v20
	v_mov_b32_e32 v26, s43
	v_mov_b32_e32 v23, s43
	v_cndmask_b32_e32 v185, 0, v185, vcc
	v_cmp_ngt_f32_e32 vcc, s46, v171
	s_add_i32 s44, s44, 1
	s_add_i32 s36, s36, 64
	v_cndmask_b32_e32 v186, 0, v186, vcc
	v_cmp_ngt_f32_e32 vcc, s46, v180
	s_waitcnt vmcnt(0) lgkmcnt(0)
	ds_write_b128 v123, v[172:175]
	flat_load_dwordx4 v[172:175], v[176:177]
	v_rndne_f32_e32 v176, v188
	v_fma_f32 v177, v76, s45, -v189
	v_sub_f32_e32 v188, v188, v176
	v_fmac_f32_e32 v177, 0x32a5705f, v76
	v_sub_f32_e32 v189, v189, v205
	v_add_f32_e32 v188, v188, v204
	v_cvt_i32_f32_e32 v176, v176
	v_add_f32_e32 v177, v189, v177
	v_exp_f32_e32 v188, v188
	v_cvt_i32_f32_e32 v205, v205
	v_exp_f32_e32 v177, v177
	v_cndmask_b32_e32 v187, 0, v187, vcc
	v_ldexp_f32 v176, v188, v176
	v_cmp_ngt_f32_e32 vcc, s46, v27
	v_ldexp_f32 v177, v177, v205
	s_waitcnt vmcnt(0) lgkmcnt(0)
	ds_write_b128 v124, v[172:175]
	flat_load_dwordx4 v[172:175], v[178:179]
	v_cndmask_b32_e32 v176, 0, v176, vcc
	v_cmp_ngt_f32_e32 vcc, s46, v76
	s_waitcnt vmcnt(0) lgkmcnt(0)
	ds_write_b128 v125, v[172:175]
	v_cndmask_b32_e32 v177, 0, v177, vcc
	v_cmp_nlt_f32_e32 vcc, s47, v24
	s_waitcnt lgkmcnt(0)
	s_barrier
	v_cndmask_b32_e32 v24, v169, v181, vcc
	v_cmp_nlt_f32_e32 vcc, s47, v25
	s_nop 1
	v_cndmask_b32_e32 v25, v169, v182, vcc
	v_cmp_nlt_f32_e32 vcc, s47, v73
	v_cndmask_b32_e64 v17, v17, v25, s[12:13]
	s_nop 0
	v_cndmask_b32_e32 v73, v169, v183, vcc
	v_cmp_nlt_f32_e32 vcc, s47, v77
	v_cndmask_b32_e64 v18, v18, v73, s[14:15]
	v_cvt_f16_f32_e32 v18, v18
	v_cndmask_b32_e32 v77, v169, v184, vcc
	v_cmp_nlt_f32_e32 vcc, s47, v20
	v_cndmask_b32_e64 v20, 0, v24, s[10:11]
	v_add_f32_e32 v25, v25, v20
	v_cndmask_b32_e32 v178, v169, v185, vcc
	v_cmp_nlt_f32_e32 vcc, s47, v171
	v_cndmask_b32_e64 v19, v19, v77, s[16:17]
	v_cndmask_b32_e64 v24, v26, v178, s[18:19]
	v_cndmask_b32_e32 v171, v169, v186, vcc
	v_cmp_nlt_f32_e32 vcc, s47, v180
	v_cvt_f16_f32_e32 v19, v19
	v_cndmask_b32_e64 v21, v21, v171, s[20:21]
	v_cndmask_b32_e32 v179, v169, v187, vcc
	v_cmp_nlt_f32_e32 vcc, s47, v27
	v_cndmask_b32_e64 v22, v22, v179, s[22:23]
	v_cvt_f16_f32_e32 v24, v24
	v_cndmask_b32_e32 v176, v169, v176, vcc
	v_cmp_nlt_f32_e32 vcc, s47, v76
	v_cndmask_b32_e64 v23, v23, v176, s[24:25]
	v_cvt_f16_f32_e32 v21, v21
	v_cndmask_b32_e32 v27, v169, v177, vcc
	v_cmp_le_f32_e32 vcc, s48, v76
	v_cvt_f16_f32_e32 v76, v17
	v_cndmask_b32_e64 v17, v20, v25, s[12:13]
	v_cndmask_b32_e32 v177, 0, v27, vcc
	v_cvt_f16_f32_e32 v26, v177
	v_cvt_f16_f32_e32 v27, v20
	v_add_f32_e32 v20, v17, v73
	v_cndmask_b32_e64 v20, v17, v20, s[14:15]
	v_add_f32_e32 v25, v20, v77
	v_pk_mul_f16 v73, v26, v94 op_sel_hi:[0,1]
	v_pk_mul_f16 v182, v26, v90 op_sel_hi:[0,1]
	v_cndmask_b32_e64 v90, v20, v25, s[16:17]
	v_pack_b32_f16 v77, v18, v19
	v_cvt_f32_f16_e32 v18, v73
	v_cvt_f32_f16_sdwa v19, v73 dst_sel:DWORD dst_unused:UNUSED_PAD src0_sel:WORD_1
	v_add_f32_e32 v73, v178, v90
	v_cndmask_b32_e64 v73, v90, v73, s[18:19]
	v_add_f32_e32 v90, v171, v73
	v_cndmask_b32_e64 v73, v73, v90, s[20:21]
	v_cvt_f16_f32_e32 v22, v22
	v_cvt_f16_f32_e32 v23, v23
	v_add_f32_e32 v90, v179, v73
	v_cndmask_b32_e64 v73, v73, v90, s[22:23]
	v_add_f32_e32 v90, v176, v73
	v_pk_mul_f16 v93, v26, v93 op_sel_hi:[0,1]
	v_pk_mul_f16 v94, v26, v96 op_sel_hi:[0,1]
	;; [unrolled: 1-line block ×5, first 2 shown]
	v_cndmask_b32_e64 v73, v73, v90, s[24:25]
	v_pk_mul_f16 v86, v26, v86 op_sel_hi:[0,1]
	v_pk_mul_f16 v85, v26, v85 op_sel_hi:[0,1]
	;; [unrolled: 1-line block ×9, first 2 shown]
	v_pack_b32_f16 v76, v27, v76
	v_pack_b32_f16 v74, v24, v21
	;; [unrolled: 1-line block ×3, first 2 shown]
	v_cvt_f32_f16_e32 v20, v93
	v_cvt_f32_f16_sdwa v21, v93 dst_sel:DWORD dst_unused:UNUSED_PAD src0_sel:WORD_1
	v_cvt_f32_f16_e32 v22, v94
	v_cvt_f32_f16_sdwa v23, v94 dst_sel:DWORD dst_unused:UNUSED_PAD src0_sel:WORD_1
	;; [unrolled: 2-line block ×5, first 2 shown]
	v_fmac_f32_e32 v73, v170, v177
	ds_read_u16 v90, v129 offset:544
	ds_read_u16 v91, v130
	ds_read_u16 v92, v130 offset:32
	ds_read_u16 v94, v130 offset:64
	;; [unrolled: 1-line block ×19, first 2 shown]
	ds_read_u16 v188, v128
	ds_read_u16 v189, v128 offset:32
	ds_read_u16 v190, v128 offset:64
	;; [unrolled: 1-line block ×7, first 2 shown]
	s_waitcnt lgkmcnt(14)
	v_perm_b32 v91, v91, v90, s49
	s_waitcnt lgkmcnt(7)
	v_perm_b32 v90, v93, v188, s49
	v_perm_b32 v93, v92, v173, s49
	s_waitcnt lgkmcnt(6)
	v_perm_b32 v92, v172, v189, s49
	v_mfma_f32_16x16x16_f16 v[18:21], v[90:91], v[76:77], v[18:21]
	ds_read_u16 v188, v131 offset:272
	ds_read_u16 v196, v130 offset:8704
	;; [unrolled: 1-line block ×3, first 2 shown]
	v_cmp_lt_i32_e32 vcc, s44, v109
	s_and_b64 vcc, exec, vcc
	v_mfma_f32_16x16x16_f16 v[22:25], v[92:93], v[76:77], v[22:25]
	s_nop 0
	v_cvt_f16_f32_e32 v18, v18
	v_cvt_f16_f32_e32 v19, v19
	;; [unrolled: 1-line block ×4, first 2 shown]
	s_waitcnt lgkmcnt(1)
	v_perm_b32 v91, v196, v95, s49
	v_perm_b32 v90, v188, v171, s49
	v_cvt_f16_f32_e32 v22, v22
	v_cvt_f16_f32_e32 v23, v23
	;; [unrolled: 1-line block ×4, first 2 shown]
	v_cvt_f32_f16_e32 v18, v18
	v_cvt_f32_f16_e32 v19, v19
	;; [unrolled: 1-line block ×4, first 2 shown]
	v_perm_b32 v95, v94, v179, s49
	v_perm_b32 v94, v178, v190, s49
	;; [unrolled: 1-line block ×4, first 2 shown]
	v_cvt_f32_f16_e32 v22, v22
	v_cvt_f32_f16_e32 v23, v23
	;; [unrolled: 1-line block ×4, first 2 shown]
	v_mfma_f32_16x16x16_f16 v[18:21], v[90:91], v[74:75], v[18:21]
	v_mfma_f32_16x16x16_f16 v[26:29], v[94:95], v[76:77], v[26:29]
	s_nop 5
	v_cvt_f16_f32_e32 v90, v18
	v_cvt_f16_f32_e32 v91, v19
	;; [unrolled: 1-line block ×4, first 2 shown]
	v_mfma_f32_16x16x16_f16 v[18:21], v[92:93], v[74:75], v[22:25]
	v_cvt_f16_f32_e32 v26, v26
	v_cvt_f16_f32_e32 v27, v27
	;; [unrolled: 1-line block ×4, first 2 shown]
	v_pack_b32_f16 v94, v90, v91
	s_nop 1
	v_cvt_f16_f32_e32 v92, v18
	v_pack_b32_f16 v93, v95, v171
	ds_read_u16 v18, v140 offset:544
	ds_read_u16 v22, v141 offset:8704
	;; [unrolled: 1-line block ×8, first 2 shown]
	s_waitcnt lgkmcnt(6)
	v_perm_b32 v23, v22, v18, s49
	v_perm_b32 v22, v185, v184, s49
	v_cvt_f32_f16_e32 v26, v26
	v_cvt_f32_f16_e32 v27, v27
	;; [unrolled: 1-line block ×4, first 2 shown]
	v_cvt_f16_f32_e32 v95, v19
	v_cvt_f16_f32_e32 v174, v20
	;; [unrolled: 1-line block ×3, first 2 shown]
	v_mfma_f32_16x16x16_f16 v[18:21], v[22:23], v[74:75], v[26:29]
	v_cvt_f32_f16_e32 v22, v86
	v_cvt_f32_f16_sdwa v23, v86 dst_sel:DWORD dst_unused:UNUSED_PAD src0_sel:WORD_1
	v_cvt_f32_f16_e32 v24, v85
	s_waitcnt lgkmcnt(4)
	v_perm_b32 v27, v96, v90, s49
	v_perm_b32 v26, v25, v191, s49
	v_cvt_f32_f16_sdwa v25, v85 dst_sel:DWORD dst_unused:UNUSED_PAD src0_sel:WORD_1
	v_cvt_f16_f32_e32 v28, v18
	v_pack_b32_f16 v96, v92, v95
	v_mfma_f32_16x16x16_f16 v[22:25], v[26:27], v[76:77], v[22:25]
	s_waitcnt lgkmcnt(0)
	v_perm_b32 v27, v173, v172, s49
	v_perm_b32 v26, v171, v91, s49
	v_pack_b32_f16 v95, v174, v175
	v_cvt_f16_f32_e32 v29, v19
	s_nop 1
	v_cvt_f16_f32_e32 v18, v22
	v_cvt_f16_f32_e32 v23, v23
	v_cvt_f16_f32_e32 v24, v24
	v_cvt_f16_f32_e32 v25, v25
	v_cvt_f32_f16_e32 v22, v18
	v_cvt_f32_f16_e32 v23, v23
	;; [unrolled: 1-line block ×4, first 2 shown]
	v_cvt_f16_f32_e32 v85, v20
	v_cvt_f16_f32_e32 v86, v21
	v_mfma_f32_16x16x16_f16 v[18:21], v[26:27], v[74:75], v[22:25]
	s_nop 2
	ds_read_u16 v25, v147 offset:272
	ds_read_u16 v26, v147 offset:544
	;; [unrolled: 1-line block ×8, first 2 shown]
	s_waitcnt lgkmcnt(6)
	v_perm_b32 v27, v170, v26, s49
	v_perm_b32 v26, v25, v192, s49
	v_cvt_f32_f16_e32 v22, v180
	v_cvt_f32_f16_sdwa v23, v180 dst_sel:DWORD dst_unused:UNUSED_PAD src0_sel:WORD_1
	v_cvt_f32_f16_e32 v24, v181
	v_cvt_f32_f16_sdwa v25, v181 dst_sel:DWORD dst_unused:UNUSED_PAD src0_sel:WORD_1
	v_pack_b32_f16 v92, v28, v29
	v_cvt_f16_f32_e32 v28, v18
	v_mfma_f32_16x16x16_f16 v[22:25], v[26:27], v[76:77], v[22:25]
	s_waitcnt lgkmcnt(2)
	v_perm_b32 v27, v173, v172, s49
	v_perm_b32 v26, v171, v90, s49
	v_pack_b32_f16 v91, v85, v86
	v_cvt_f16_f32_e32 v29, v19
	s_nop 1
	v_cvt_f16_f32_e32 v18, v22
	v_cvt_f16_f32_e32 v23, v23
	;; [unrolled: 1-line block ×4, first 2 shown]
	v_cvt_f32_f16_e32 v22, v18
	v_cvt_f32_f16_e32 v23, v23
	;; [unrolled: 1-line block ×4, first 2 shown]
	v_cvt_f16_f32_e32 v85, v20
	v_cvt_f16_f32_e32 v90, v21
	v_mfma_f32_16x16x16_f16 v[18:21], v[26:27], v[74:75], v[22:25]
	s_waitcnt lgkmcnt(0)
	v_perm_b32 v27, v186, v175, s49
	v_perm_b32 v26, v174, v193, s49
	v_cvt_f32_f16_e32 v22, v182
	v_cvt_f32_f16_sdwa v23, v182 dst_sel:DWORD dst_unused:UNUSED_PAD src0_sel:WORD_1
	v_cvt_f32_f16_e32 v24, v183
	v_cvt_f32_f16_sdwa v25, v183 dst_sel:DWORD dst_unused:UNUSED_PAD src0_sel:WORD_1
	v_pack_b32_f16 v86, v28, v29
	v_cvt_f16_f32_e32 v28, v18
	v_mfma_f32_16x16x16_f16 v[22:25], v[26:27], v[76:77], v[22:25]
	v_pack_b32_f16 v85, v85, v90
	v_cvt_f16_f32_e32 v173, v20
	v_cvt_f16_f32_e32 v174, v21
	s_nop 3
	v_cvt_f16_f32_e32 v18, v22
	v_cvt_f16_f32_e32 v23, v23
	v_cvt_f16_f32_e32 v24, v24
	v_cvt_f16_f32_e32 v25, v25
	v_cvt_f32_f16_e32 v22, v18
	ds_read_u16 v18, v153 offset:8704
	ds_read_u16 v26, v154 offset:272
	;; [unrolled: 1-line block ×8, first 2 shown]
	s_waitcnt lgkmcnt(4)
	v_perm_b32 v27, v29, v27, s49
	v_perm_b32 v26, v26, v18, s49
	v_cvt_f32_f16_e32 v23, v23
	v_cvt_f32_f16_e32 v24, v24
	;; [unrolled: 1-line block ×3, first 2 shown]
	v_cvt_f16_f32_e32 v29, v19
	s_nop 0
	v_mfma_f32_16x16x16_f16 v[18:21], v[26:27], v[74:75], v[22:25]
	s_waitcnt lgkmcnt(2)
	v_perm_b32 v27, v187, v170, s49
	v_perm_b32 v26, v90, v194, s49
	v_cvt_f32_f16_e32 v22, v88
	v_cvt_f32_f16_sdwa v23, v88 dst_sel:DWORD dst_unused:UNUSED_PAD src0_sel:WORD_1
	v_cvt_f32_f16_e32 v24, v87
	v_cvt_f32_f16_sdwa v25, v87 dst_sel:DWORD dst_unused:UNUSED_PAD src0_sel:WORD_1
	v_pack_b32_f16 v88, v28, v29
	v_cvt_f16_f32_e32 v28, v18
	v_mfma_f32_16x16x16_f16 v[22:25], v[26:27], v[76:77], v[22:25]
	v_pack_b32_f16 v87, v173, v174
	v_cvt_f16_f32_e32 v176, v21
	s_nop 4
	v_cvt_f16_f32_e32 v18, v22
	v_cvt_f16_f32_e32 v23, v23
	;; [unrolled: 1-line block ×4, first 2 shown]
	v_cvt_f32_f16_e32 v22, v18
	ds_read_u16 v18, v160 offset:544
	ds_read_u16 v26, v161 offset:8704
	;; [unrolled: 1-line block ×8, first 2 shown]
	s_waitcnt lgkmcnt(6)
	v_perm_b32 v27, v26, v18, s49
	v_perm_b32 v26, v172, v171, s49
	v_cvt_f32_f16_e32 v23, v23
	v_cvt_f32_f16_e32 v24, v24
	;; [unrolled: 1-line block ×3, first 2 shown]
	v_cvt_f16_f32_e32 v171, v19
	v_cvt_f16_f32_e32 v172, v20
	v_mfma_f32_16x16x16_f16 v[18:21], v[26:27], v[74:75], v[22:25]
	s_waitcnt lgkmcnt(4)
	v_perm_b32 v27, v197, v90, s49
	v_perm_b32 v26, v29, v195, s49
	v_cvt_f32_f16_e32 v22, v89
	v_cvt_f32_f16_sdwa v23, v89 dst_sel:DWORD dst_unused:UNUSED_PAD src0_sel:WORD_1
	v_cvt_f32_f16_e32 v24, v17
	v_cvt_f32_f16_sdwa v25, v17 dst_sel:DWORD dst_unused:UNUSED_PAD src0_sel:WORD_1
	v_cvt_f16_f32_e32 v17, v18
	v_pack_b32_f16 v90, v28, v171
	v_mfma_f32_16x16x16_f16 v[22:25], v[26:27], v[76:77], v[22:25]
	s_waitcnt lgkmcnt(0)
	v_perm_b32 v27, v175, v174, s49
	v_perm_b32 v26, v173, v170, s49
	v_cvt_f16_f32_e32 v28, v19
	v_cvt_f16_f32_e32 v29, v20
	s_nop 1
	v_cvt_f16_f32_e32 v18, v22
	v_cvt_f16_f32_e32 v23, v23
	v_cvt_f16_f32_e32 v24, v24
	v_cvt_f16_f32_e32 v25, v25
	v_cvt_f32_f16_e32 v22, v18
	v_cvt_f32_f16_e32 v23, v23
	;; [unrolled: 1-line block ×4, first 2 shown]
	v_cvt_f16_f32_e32 v76, v21
	v_pack_b32_f16 v89, v172, v176
	v_mfma_f32_16x16x16_f16 v[18:21], v[26:27], v[74:75], v[22:25]
	v_pack_b32_f16 v75, v17, v28
	v_pack_b32_f16 v74, v29, v76
	s_barrier
	s_nop 3
	v_cvt_f16_f32_e32 v18, v18
	v_cvt_f16_f32_e32 v19, v19
	;; [unrolled: 1-line block ×4, first 2 shown]
	v_pack_b32_f16 v29, v18, v19
	v_pack_b32_f16 v28, v20, v21
	s_cbranch_vccz .LBB24_368
; %bb.365:                              ;   in Loop: Header=BB24_356 Depth=1
	v_mov_b32_e32 v170, v73
	v_mov_b32_e32 v76, v31
	s_branch .LBB24_356
.LBB24_366:
                                        ; implicit-def: $vgpr30_vgpr31
	s_load_dwordx2 s[42:43], s[0:1], 0x5c
	s_branch .LBB24_7
.LBB24_367:
	v_mov_b32_e32 v73, 0
	v_mov_b32_e32 v31, 0xfeffffff
	;; [unrolled: 1-line block ×17, first 2 shown]
.LBB24_368:
	s_lshl_b32 s10, s44, 6
	v_readlane_b32 s0, v254, 4
	s_sub_i32 s18, s0, s10
	s_cmp_lg_u64 s[2:3], 0
	s_cselect_b64 s[12:13], -1, 0
	s_ashr_i32 s11, s10, 31
	s_cmp_eq_u64 s[2:3], 0
	v_readlane_b32 s1, v254, 5
	s_cbranch_scc1 .LBB24_386
; %bb.369:
	s_lshl_b64 s[0:1], s[10:11], 1
	s_add_u32 s0, s2, s0
	s_addc_u32 s1, s3, s1
	v_mov_b32_e32 v33, 0
	v_cmp_gt_i32_e32 vcc, s18, v34
	v_lshl_add_u64 v[16:17], s[0:1], 0, v[32:33]
	v_mov_b32_e32 v19, 0
	s_and_saveexec_b64 s[0:1], vcc
	s_cbranch_execz .LBB24_371
; %bb.370:
	v_mul_hi_u32 v18, s94, v97
	v_add_u32_e32 v18, v97, v18
	v_lshrrev_b32_e32 v18, s95, v18
	v_mul_lo_u32 v18, v18, s80
	v_sub_u32_e32 v18, v97, v18
	v_mad_i64_i32 v[18:19], s[2:3], v18, s54, 0
	v_lshl_add_u64 v[18:19], v[18:19], 1, v[16:17]
	flat_load_ushort v19, v[18:19]
.LBB24_371:
	s_or_b64 exec, exec, s[0:1]
	s_movk_i32 s0, 0x90
	v_mad_u32_u24 v18, v35, s0, 0
	v_lshl_add_u32 v20, v34, 1, v18
	s_waitcnt vmcnt(0) lgkmcnt(0)
	ds_write_b16 v20, v19 offset:17408
	s_and_saveexec_b64 s[0:1], vcc
	s_cbranch_execz .LBB24_373
; %bb.372:
	v_mul_hi_u32 v19, s94, v98
	v_add_u32_e32 v19, v98, v19
	v_lshrrev_b32_e32 v19, s95, v19
	v_mul_lo_u32 v19, v19, s80
	v_sub_u32_e32 v19, v98, v19
	v_mad_i64_i32 v[20:21], s[2:3], v19, s54, 0
	v_lshl_add_u64 v[20:21], v[20:21], 1, v[16:17]
	flat_load_ushort v33, v[20:21]
.LBB24_373:
	s_or_b64 exec, exec, s[0:1]
	v_add_u32_e32 v19, 0x240, v18
	v_lshl_add_u32 v18, v34, 1, v19
	s_waitcnt vmcnt(0) lgkmcnt(0)
	ds_write_b16 v18, v33 offset:17408
	v_mov_b32_e32 v18, 0
	v_mov_b32_e32 v20, 0
	s_and_saveexec_b64 s[0:1], vcc
	s_cbranch_execz .LBB24_375
; %bb.374:
	v_mul_hi_u32 v20, s94, v99
	v_add_u32_e32 v20, v99, v20
	v_lshrrev_b32_e32 v20, s95, v20
	v_mul_lo_u32 v20, v20, s80
	v_sub_u32_e32 v20, v99, v20
	v_mad_i64_i32 v[20:21], s[2:3], v20, s54, 0
	v_lshl_add_u64 v[20:21], v[20:21], 1, v[16:17]
	flat_load_ushort v20, v[20:21]
.LBB24_375:
	s_or_b64 exec, exec, s[0:1]
	v_add_u32_e32 v19, 0x240, v19
	v_lshl_add_u32 v21, v34, 1, v19
	s_waitcnt vmcnt(0) lgkmcnt(0)
	ds_write_b16 v21, v20 offset:17408
	s_and_saveexec_b64 s[0:1], vcc
	s_cbranch_execz .LBB24_377
; %bb.376:
	v_mul_hi_u32 v18, s94, v101
	v_add_u32_e32 v18, v101, v18
	v_lshrrev_b32_e32 v18, s95, v18
	v_mul_lo_u32 v18, v18, s80
	v_sub_u32_e32 v18, v101, v18
	v_mad_i64_i32 v[20:21], s[2:3], v18, s54, 0
	v_lshl_add_u64 v[20:21], v[20:21], 1, v[16:17]
	flat_load_ushort v18, v[20:21]
.LBB24_377:
	s_or_b64 exec, exec, s[0:1]
	v_add_u32_e32 v19, 0x240, v19
	v_lshl_add_u32 v20, v34, 1, v19
	s_waitcnt vmcnt(0) lgkmcnt(0)
	ds_write_b16 v20, v18 offset:17408
	v_mov_b32_e32 v18, 0
	v_mov_b32_e32 v20, 0
	s_and_saveexec_b64 s[0:1], vcc
	s_cbranch_execz .LBB24_379
; %bb.378:
	v_mul_hi_u32 v20, s94, v102
	v_add_u32_e32 v20, v102, v20
	v_lshrrev_b32_e32 v20, s95, v20
	v_mul_lo_u32 v20, v20, s80
	v_sub_u32_e32 v20, v102, v20
	v_mad_i64_i32 v[20:21], s[2:3], v20, s54, 0
	v_lshl_add_u64 v[20:21], v[20:21], 1, v[16:17]
	flat_load_ushort v20, v[20:21]
.LBB24_379:
	s_or_b64 exec, exec, s[0:1]
	v_add_u32_e32 v19, 0x240, v19
	;; [unrolled: 36-line block ×3, first 2 shown]
	v_lshl_add_u32 v19, v34, 1, v19
	s_waitcnt vmcnt(0) lgkmcnt(0)
	ds_write_b16 v19, v20 offset:17408
	s_and_saveexec_b64 s[0:1], vcc
	s_cbranch_execz .LBB24_385
; %bb.384:
	v_mul_hi_u32 v18, s94, v107
	v_add_u32_e32 v18, v107, v18
	v_lshrrev_b32_e32 v18, s95, v18
	v_mul_lo_u32 v18, v18, s80
	v_sub_u32_e32 v18, v107, v18
	v_mad_i64_i32 v[20:21], s[2:3], v18, s54, 0
	v_lshl_add_u64 v[16:17], v[20:21], 1, v[16:17]
	flat_load_ushort v18, v[16:17]
.LBB24_385:
	s_or_b64 exec, exec, s[0:1]
	s_waitcnt vmcnt(0) lgkmcnt(0)
	ds_write_b16 v19, v18 offset:17984
.LBB24_386:
	s_mul_hi_i32 s1, s10, s82
	s_mul_i32 s0, s10, s82
	s_lshl_b64 s[0:1], s[0:1], 2
	v_lshl_add_u32 v18, v35, 2, v108
	s_add_u32 s0, s41, s0
	v_mov_b32_e32 v20, 0
	v_mul_lo_u32 v32, s82, v18
	s_addc_u32 s1, s42, s1
	v_mov_b32_e32 v21, v20
	v_mov_b32_e32 v22, v20
	;; [unrolled: 1-line block ×3, first 2 shown]
	v_and_b32_e32 v16, 60, v78
	v_ashrrev_i32_e32 v33, 31, v32
	s_mov_b64 s[2:3], src_private_base
	scratch_store_dwordx4 off, v[20:23], off
	v_lshlrev_b32_e32 v16, 2, v16
	v_mov_b32_e32 v17, v20
	v_lshl_add_u64 v[22:23], v[32:33], 2, s[0:1]
	v_lshl_add_u64 v[20:21], v[22:23], 0, v[16:17]
	v_mov_b32_e32 v19, s3
	v_cmp_gt_i32_e64 s[6:7], s18, v18
	v_mov_b32_e32 v23, 0
	s_lshl_b32 s2, s82, 4
	v_cndmask_b32_e64 v21, v19, v21, s[6:7]
	v_cndmask_b32_e64 v20, v23, v20, s[6:7]
	flat_load_dwordx4 v[24:27], v[20:21]
	v_mul_u32_u24_e32 v20, 0x110, v18
	v_add3_u32 v22, 0, v20, v16
	v_add_u32_e32 v20, s2, v32
	v_ashrrev_i32_e32 v21, 31, v20
	v_add_u32_e32 v36, 16, v18
	v_lshl_add_u64 v[32:33], v[20:21], 2, s[0:1]
	v_lshl_add_u64 v[32:33], v[32:33], 0, v[16:17]
	v_cmp_gt_i32_e64 s[4:5], s18, v36
	v_add_u32_e32 v20, s2, v20
	v_ashrrev_i32_e32 v21, 31, v20
	v_cndmask_b32_e64 v33, v19, v33, s[4:5]
	v_cndmask_b32_e64 v32, v23, v32, s[4:5]
	v_add_u32_e32 v36, 32, v18
	v_cmp_gt_i32_e64 s[8:9], s18, v36
	s_and_b64 vcc, exec, s[12:13]
	s_waitcnt vmcnt(0) lgkmcnt(0)
	ds_write_b128 v22, v[24:27]
	flat_load_dwordx4 v[24:27], v[32:33]
	v_lshl_add_u64 v[32:33], v[20:21], 2, s[0:1]
	v_lshl_add_u64 v[32:33], v[32:33], 0, v[16:17]
	v_cndmask_b32_e64 v33, v19, v33, s[8:9]
	v_cndmask_b32_e64 v32, v23, v32, s[8:9]
	v_add_u32_e32 v20, s2, v20
	v_ashrrev_i32_e32 v21, 31, v20
	v_lshl_add_u64 v[20:21], v[20:21], 2, s[0:1]
	v_lshl_add_u64 v[20:21], v[20:21], 0, v[16:17]
	v_and_b32_e32 v17, 16, v112
	s_waitcnt vmcnt(0) lgkmcnt(0)
	ds_write_b128 v22, v[24:27] offset:4352
	flat_load_dwordx4 v[24:27], v[32:33]
	v_add_u32_e32 v32, 48, v18
	v_cmp_gt_i32_e64 s[0:1], s18, v32
	s_waitcnt vmcnt(0) lgkmcnt(0)
	ds_write_b128 v22, v[24:27] offset:8704
	v_cndmask_b32_e64 v21, v19, v21, s[0:1]
	v_cndmask_b32_e64 v20, v23, v20, s[0:1]
	flat_load_dwordx4 v[24:27], v[20:21]
	v_add_u32_e32 v19, 0, v105
	v_mul_u32_u24_e32 v20, 0x110, v17
	v_add3_u32 v19, v19, v106, v20
	v_add_u32_e32 v20, 0x2000, v19
	s_waitcnt vmcnt(0) lgkmcnt(0)
	ds_write_b128 v22, v[24:27] offset:13056
	s_waitcnt lgkmcnt(0)
	s_barrier
	ds_read2_b64 v[24:27], v19 offset1:4
	ds_read2_b64 v[40:43], v20 offset0:64 offset1:68
	s_waitcnt lgkmcnt(1)
	v_mfma_f32_16x16x16_f16 v[36:39], v[24:25], v[12:13], 0
	s_waitcnt lgkmcnt(0)
	v_mfma_f32_16x16x16_f16 v[44:47], v[40:41], v[12:13], 0
	v_mfma_f32_16x16x16_f16 v[24:27], v[26:27], v[14:15], v[36:39]
	;; [unrolled: 1-line block ×3, first 2 shown]
	s_nop 2
	ds_read2_b64 v[36:39], v19 offset0:8 offset1:12
	ds_read2_b64 v[40:43], v20 offset0:72 offset1:76
	s_waitcnt lgkmcnt(1)
	v_mfma_f32_16x16x16_f16 v[24:27], v[36:37], v[8:9], v[24:27]
	s_waitcnt lgkmcnt(0)
	v_mfma_f32_16x16x16_f16 v[12:15], v[40:41], v[8:9], v[12:15]
	v_mfma_f32_16x16x16_f16 v[24:27], v[38:39], v[10:11], v[24:27]
	ds_read2_b64 v[36:39], v20 offset0:80 offset1:84
	v_mfma_f32_16x16x16_f16 v[8:11], v[42:43], v[10:11], v[12:15]
	s_nop 3
	ds_read2_b64 v[12:15], v19 offset0:16 offset1:20
	s_waitcnt lgkmcnt(0)
	v_mfma_f32_16x16x16_f16 v[24:27], v[12:13], v[4:5], v[24:27]
	v_mfma_f32_16x16x16_f16 v[8:11], v[36:37], v[4:5], v[8:11]
	;; [unrolled: 1-line block ×4, first 2 shown]
	ds_read2_b64 v[36:39], v20 offset0:88 offset1:92
	s_nop 2
	v_and_b32_e32 v26, 0xfc, v83
	v_add_u32_e32 v23, v17, v26
	ds_read2_b64 v[8:11], v19 offset0:24 offset1:28
	s_waitcnt lgkmcnt(0)
	v_mfma_f32_16x16x16_f16 v[12:15], v[8:9], v[0:1], v[12:15]
	v_add_u32_e32 v17, 32, v23
	v_add_u32_e32 v19, 34, v23
	v_mfma_f32_16x16x16_f16 v[4:7], v[36:37], v[0:1], v[4:7]
	s_barrier
	v_mfma_f32_16x16x16_f16 v[8:11], v[10:11], v[2:3], v[12:15]
	v_mfma_f32_16x16x16_f16 v[12:15], v[38:39], v[2:3], v[4:7]
	s_cbranch_vccz .LBB24_388
; %bb.387:
	s_movk_i32 s2, 0x90
	v_mad_u32_u24 v2, v100, s2, 0
	v_lshlrev_b32_e32 v0, 1, v23
	s_movk_i32 s2, 0x4400
	v_add_u32_e32 v25, 32, v23
	v_add_u32_e32 v24, 34, v23
	v_add3_u32 v0, v2, v0, s2
	v_lshl_add_u32 v3, v25, 1, v2
	v_lshl_add_u32 v2, v24, 1, v2
	ds_read2_b32 v[0:1], v0 offset1:1
	ds_read_b32 v3, v3 offset:17408
	ds_read_b32 v2, v2 offset:17408
	s_mov_b64 s[2:3], 0
	s_waitcnt lgkmcnt(2)
	v_cvt_f32_f16_e32 v4, v0
	v_cvt_f32_f16_sdwa v5, v0 dst_sel:DWORD dst_unused:UNUSED_PAD src0_sel:WORD_1
	v_cvt_f32_f16_e32 v0, v1
	v_cvt_f32_f16_sdwa v1, v1 dst_sel:DWORD dst_unused:UNUSED_PAD src0_sel:WORD_1
	s_waitcnt lgkmcnt(1)
	v_cvt_f32_f16_e32 v20, v3
	s_waitcnt lgkmcnt(0)
	v_cvt_f32_f16_e32 v6, v2
	v_cvt_f32_f16_sdwa v7, v2 dst_sel:DWORD dst_unused:UNUSED_PAD src0_sel:WORD_1
	v_cvt_f32_f16_sdwa v21, v3 dst_sel:DWORD dst_unused:UNUSED_PAD src0_sel:WORD_1
	v_pk_fma_f32 v[2:3], v[30:31], v[0:1], v[10:11] op_sel_hi:[0,1,1]
	v_pk_fma_f32 v[0:1], v[30:31], v[4:5], v[8:9] op_sel_hi:[0,1,1]
	;; [unrolled: 1-line block ×4, first 2 shown]
	s_branch .LBB24_389
.LBB24_388:
	s_mov_b64 s[2:3], -1
                                        ; implicit-def: $vgpr0_vgpr1_vgpr2_vgpr3
                                        ; implicit-def: $vgpr4_vgpr5_vgpr6_vgpr7
                                        ; implicit-def: $vgpr25
                                        ; implicit-def: $vgpr24
.LBB24_389:
	v_add_u32_e32 v30, 0x1100, v22
	v_add_u32_e32 v21, 0x2200, v22
	s_andn2_b64 vcc, exec, s[2:3]
	v_add_u32_e32 v20, 0x3300, v22
	s_cbranch_vccnz .LBB24_391
; %bb.390:
	v_mov_b64_e32 v[4:5], v[12:13]
	v_mov_b64_e32 v[0:1], v[8:9]
	v_mov_b32_e32 v24, v19
	v_mov_b32_e32 v25, v17
	v_mov_b64_e32 v[6:7], v[14:15]
	v_mov_b64_e32 v[2:3], v[10:11]
.LBB24_391:
	s_mul_hi_i32 s3, s10, s76
	s_mul_i32 s2, s10, s76
	s_lshl_b64 s[2:3], s[2:3], 2
	s_add_u32 s2, s33, s2
	v_mul_lo_u32 v8, s76, v18
	s_addc_u32 s3, s40, s3
	v_ashrrev_i32_e32 v9, 31, v8
	s_mov_b64 s[10:11], src_private_base
	v_lshl_add_u64 v[10:11], v[8:9], 2, s[2:3]
	v_mov_b32_e32 v17, 0
	v_lshl_add_u64 v[10:11], v[10:11], 0, v[16:17]
	v_mov_b32_e32 v36, s11
	v_mov_b32_e32 v46, 0
	v_cndmask_b32_e64 v11, v36, v11, s[6:7]
	v_cndmask_b32_e64 v10, v46, v10, s[6:7]
	s_lshl_b32 s6, s76, 4
	v_add_u32_e32 v8, s6, v8
	v_ashrrev_i32_e32 v9, 31, v8
	v_lshl_add_u64 v[12:13], v[8:9], 2, s[2:3]
	v_add_u32_e32 v8, s6, v8
	v_ashrrev_i32_e32 v9, 31, v8
	v_lshl_add_u64 v[14:15], v[8:9], 2, s[2:3]
	v_add_u32_e32 v8, s6, v8
	v_ashrrev_i32_e32 v9, 31, v8
	v_lshl_add_u64 v[8:9], v[8:9], 2, s[2:3]
	v_lshl_add_u64 v[12:13], v[12:13], 0, v[16:17]
	v_lshl_add_u64 v[42:43], v[14:15], 0, v[16:17]
	;; [unrolled: 1-line block ×3, first 2 shown]
	v_mov_b32_e32 v16, v17
	v_mov_b32_e32 v18, v17
	;; [unrolled: 1-line block ×3, first 2 shown]
	scratch_store_dwordx4 off, v[16:19], off
	flat_load_dwordx4 v[8:11], v[10:11]
	v_cndmask_b32_e64 v13, v36, v13, s[4:5]
	v_cndmask_b32_e64 v12, v46, v12, s[4:5]
	v_add_f32_e32 v15, 0x40051340, v0
	v_max_f32_e32 v16, v31, v31
	v_mbcnt_hi_u32_b32 v32, -1, v84
	v_max_f32_e32 v16, v16, v15
	v_cmp_gt_u32_e64 s[14:15], s18, v23
	v_or_b32_e32 v17, 1, v23
	v_or_b32_e32 v19, 2, v23
	;; [unrolled: 1-line block ×3, first 2 shown]
	v_add_u32_e32 v51, 33, v23
	v_add_u32_e32 v54, 35, v23
	v_and_b32_e32 v33, 64, v32
	v_cndmask_b32_e64 v23, v31, v16, s[14:15]
	v_add_f32_e32 v18, 0x40051340, v1
	v_add_u32_e32 v60, 64, v33
	v_xor_b32_e32 v37, 32, v32
	v_cmp_gt_u32_e64 s[12:13], s18, v17
	v_xor_b32_e32 v57, 16, v32
	v_cmp_lt_i32_e32 vcc, v37, v60
	v_add_f32_e32 v47, 0x40051340, v2
	v_cmp_gt_u32_e64 s[10:11], s18, v19
	v_cndmask_b32_e32 v37, v32, v37, vcc
	v_cmp_lt_i32_e32 vcc, v57, v60
	v_cndmask_b32_e64 v60, v2, v2, s[12:13]
	v_add_f32_e32 v49, 0x40051340, v3
	v_cndmask_b32_e32 v57, v32, v57, vcc
	v_lshlrev_b32_e32 v32, 2, v37
	v_lshlrev_b32_e32 v37, 2, v57
	v_cndmask_b32_e64 v57, v3, v3, s[12:13]
	v_cndmask_b32_e64 v3, v36, v43, s[8:9]
	v_add_f32_e32 v50, 0x40051340, v4
	s_mov_b32 s6, 0
	v_mov_b32_e32 v15, s6
	v_add_f32_e32 v52, 0x40051340, v5
	v_cmp_gt_u32_e64 s[4:5], s18, v51
	v_add_f32_e32 v53, 0x40051340, v6
	v_cmp_gt_u32_e64 s[16:17], s18, v24
	v_add_f32_e32 v55, 0x40051340, v7
	v_cmp_gt_u32_e32 vcc, s18, v54
	v_cndmask_b32_e64 v19, v36, v45, s[0:1]
	s_mov_b32 s22, 0x3fb8aa3b
	s_mov_b32 s21, 0xc2ce8ed0
	;; [unrolled: 1-line block ×3, first 2 shown]
	v_mov_b32_e32 v56, 0x7f800000
	s_mov_b32 s19, 0xc1a00000
	v_or_b32_e32 v27, 3, v83
	s_movk_i32 s3, 0x220
	v_mul_u32_u24_e32 v14, 0x220, v82
	v_mul_u32_u24_e32 v27, 0x110, v27
	v_mad_u32_u24 v58, v82, s3, 0
	v_add3_u32 v59, 0, 32, v14
	v_add3_u32 v16, v58, v27, v81
	;; [unrolled: 1-line block ×3, first 2 shown]
	s_mov_b32 s2, 0x5040100
	v_add3_u32 v14, 0, 64, v14
	s_waitcnt vmcnt(0) lgkmcnt(0)
	ds_write_b128 v22, v[8:11]
	flat_load_dwordx4 v[38:41], v[12:13]
	v_mul_u32_u24_e32 v22, 0x88, v26
	v_or_b32_e32 v22, v22, v79
	v_lshlrev_b32_e32 v33, 1, v22
	v_max_f32_e32 v22, v23, v23
	v_max_f32_e32 v18, v22, v18
	v_cndmask_b32_e64 v17, v23, v18, s[12:13]
	v_max_f32_e32 v2, v17, v17
	v_max_f32_e32 v2, v2, v47
	v_cndmask_b32_e64 v17, v17, v2, s[10:11]
	v_max_f32_e32 v18, v17, v17
	v_cndmask_b32_e64 v2, v46, v42, s[8:9]
	v_max_f32_e32 v18, v18, v49
	v_cmp_gt_u32_e64 s[8:9], s18, v48
	v_mov_b32_e32 v8, s6
	v_mov_b32_e32 v9, s6
	v_cndmask_b32_e64 v17, v17, v18, s[8:9]
	v_max_f32_e32 v18, v17, v17
	v_mov_b32_e32 v12, s6
	v_mov_b32_e32 v11, s6
	;; [unrolled: 1-line block ×4, first 2 shown]
	v_max_f32_e32 v18, v18, v50
	v_cmp_gt_u32_e64 s[6:7], s18, v25
	v_mul_u32_u24_e32 v26, 0x110, v26
	v_add3_u32 v61, v58, v26, v81
	v_cndmask_b32_e64 v17, v17, v18, s[6:7]
	v_max_f32_e32 v18, v17, v17
	v_max_f32_e32 v18, v18, v52
	v_cndmask_b32_e64 v17, v17, v18, s[4:5]
	v_max_f32_e32 v18, v17, v17
	v_max_f32_e32 v18, v18, v53
	;; [unrolled: 3-line block ×3, first 2 shown]
	v_cndmask_b32_e32 v17, v17, v18, vcc
	ds_bpermute_b32 v22, v32, v17
	v_max_f32_e32 v17, v17, v17
	v_cndmask_b32_e64 v18, v46, v44, s[0:1]
	v_cndmask_b32_e64 v6, v6, v6, s[6:7]
	;; [unrolled: 1-line block ×3, first 2 shown]
	s_waitcnt lgkmcnt(0)
	v_max_f32_e32 v22, v22, v22
	v_max_f32_e32 v17, v17, v22
	ds_bpermute_b32 v36, v37, v17
	v_add3_u32 v62, v59, v26, v81
	v_add_u32_e32 v58, v58, v33
	v_add_u32_e32 v59, v59, v33
	s_waitcnt vmcnt(0)
	ds_write_b128 v30, v[38:41]
	flat_load_dwordx4 v[22:25], v[2:3]
	s_waitcnt lgkmcnt(0)
	v_max_f32_e32 v3, v36, v36
	v_cndmask_b32_e64 v2, v5, v5, s[6:7]
	v_max_f32_e32 v5, v17, v3
	v_sub_f32_e32 v0, v0, v5
	v_sub_f32_e32 v1, v1, v5
	v_sub_f32_e32 v30, v31, v5
	v_mul_f32_e32 v31, 0x3fb8aa3b, v0
	v_sub_f32_e32 v3, v60, v5
	v_mul_f32_e32 v36, 0x3fb8aa3b, v1
	v_fma_f32 v45, v0, s22, -v31
	v_rndne_f32_e32 v46, v31
	v_sub_f32_e32 v17, v57, v5
	v_mul_f32_e32 v38, 0x3fb8aa3b, v3
	v_fma_f32 v47, v1, s22, -v36
	v_rndne_f32_e32 v48, v36
	v_fmac_f32_e32 v45, 0x32a5705f, v0
	v_sub_f32_e32 v31, v31, v46
	v_sub_f32_e32 v4, v4, v5
	v_mul_f32_e32 v39, 0x3fb8aa3b, v17
	v_fma_f32 v49, v3, s22, -v38
	v_rndne_f32_e32 v50, v38
	v_fmac_f32_e32 v47, 0x32a5705f, v1
	v_sub_f32_e32 v36, v36, v48
	v_add_f32_e32 v31, v31, v45
	v_sub_f32_e32 v2, v2, v5
	v_mul_f32_e32 v40, 0x3fb8aa3b, v4
	v_fma_f32 v51, v17, s22, -v39
	v_rndne_f32_e32 v52, v39
	v_cvt_i32_f32_e32 v46, v46
	v_fmac_f32_e32 v49, 0x32a5705f, v3
	v_sub_f32_e32 v38, v38, v50
	v_add_f32_e32 v36, v36, v47
	v_exp_f32_e32 v31, v31
	v_sub_f32_e32 v6, v6, v5
	v_mul_f32_e32 v41, 0x3fb8aa3b, v2
	v_fma_f32 v53, v4, s22, -v40
	v_rndne_f32_e32 v54, v40
	v_cvt_i32_f32_e32 v48, v48
	v_fmac_f32_e32 v51, 0x32a5705f, v17
	v_sub_f32_e32 v39, v39, v52
	v_add_f32_e32 v38, v38, v49
	v_exp_f32_e32 v36, v36
	;; [unrolled: 9-line block ×3, first 2 shown]
	v_mul_f32_e32 v43, 0x3fb8aa3b, v7
	v_fma_f32 v60, v6, s22, -v42
	v_rndne_f32_e32 v64, v42
	v_cvt_i32_f32_e32 v52, v52
	v_fmac_f32_e32 v55, 0x32a5705f, v2
	v_sub_f32_e32 v41, v41, v57
	v_add_f32_e32 v40, v40, v53
	v_exp_f32_e32 v39, v39
	v_mul_f32_e32 v44, 0x3fb8aa3b, v30
	v_fma_f32 v65, v7, s22, -v43
	v_rndne_f32_e32 v66, v43
	v_cvt_i32_f32_e32 v54, v54
	v_fmac_f32_e32 v60, 0x32a5705f, v6
	v_sub_f32_e32 v42, v42, v64
	v_add_f32_e32 v41, v41, v55
	v_ldexp_f32 v31, v31, v46
	v_cmp_ngt_f32_e64 s[0:1], s21, v0
	v_fma_f32 v67, v30, s22, -v44
	v_rndne_f32_e32 v68, v44
	v_cvt_i32_f32_e32 v57, v57
	v_fmac_f32_e32 v65, 0x32a5705f, v7
	v_sub_f32_e32 v43, v43, v66
	v_add_f32_e32 v42, v42, v60
	v_ldexp_f32 v36, v36, v48
	v_cndmask_b32_e64 v31, 0, v31, s[0:1]
	v_cmp_ngt_f32_e64 s[0:1], s21, v1
	v_cvt_i32_f32_e32 v64, v64
	v_fmac_f32_e32 v67, 0x32a5705f, v30
	s_waitcnt vmcnt(0)
	ds_write_b128 v21, v[22:25]
	flat_load_dwordx4 v[22:25], v[18:19]
	v_exp_f32_e32 v18, v40
	v_exp_f32_e32 v19, v41
	v_sub_f32_e32 v44, v44, v68
	v_add_f32_e32 v43, v43, v65
	v_exp_f32_e32 v21, v42
	v_ldexp_f32 v38, v38, v50
	v_cndmask_b32_e64 v36, 0, v36, s[0:1]
	v_cmp_ngt_f32_e64 s[0:1], s21, v3
	v_cvt_i32_f32_e32 v66, v66
	v_add_f32_e32 v44, v44, v67
	v_exp_f32_e32 v40, v43
	v_ldexp_f32 v39, v39, v52
	v_cndmask_b32_e64 v38, 0, v38, s[0:1]
	v_cmp_ngt_f32_e64 s[0:1], s21, v17
	v_cvt_i32_f32_e32 v68, v68
	v_exp_f32_e32 v41, v44
	v_ldexp_f32 v18, v18, v54
	v_cndmask_b32_e64 v39, 0, v39, s[0:1]
	v_cmp_ngt_f32_e64 s[0:1], s21, v4
	v_ldexp_f32 v19, v19, v57
	v_ldexp_f32 v21, v21, v64
	v_cndmask_b32_e64 v18, 0, v18, s[0:1]
	v_cmp_ngt_f32_e64 s[0:1], s21, v2
	v_ldexp_f32 v40, v40, v66
	v_ldexp_f32 v41, v41, v68
	v_cndmask_b32_e64 v19, 0, v19, s[0:1]
	v_cmp_ngt_f32_e64 s[0:1], s21, v6
	s_waitcnt vmcnt(0) lgkmcnt(0)
	ds_write_b128 v20, v[22:25]
	v_cndmask_b32_e64 v21, 0, v21, s[0:1]
	v_cmp_ngt_f32_e64 s[0:1], s21, v7
	s_waitcnt lgkmcnt(0)
	s_barrier
	v_cndmask_b32_e64 v40, 0, v40, s[0:1]
	v_cmp_ngt_f32_e64 s[0:1], s21, v30
	s_nop 1
	v_cndmask_b32_e64 v41, 0, v41, s[0:1]
	v_cmp_nlt_f32_e64 s[0:1], s20, v0
	s_nop 1
	v_cndmask_b32_e64 v0, v56, v31, s[0:1]
	v_cmp_nlt_f32_e64 s[0:1], s20, v1
	;; [unrolled: 3-line block ×5, first 2 shown]
	v_cndmask_b32_e64 v4, 0, v0, s[14:15]
	v_cndmask_b32_e64 v0, v15, v42, s[12:13]
	;; [unrolled: 1-line block ×3, first 2 shown]
	v_cmp_nlt_f32_e64 s[0:1], s20, v2
	v_cndmask_b32_e64 v2, v8, v43, s[10:11]
	v_cndmask_b32_e64 v3, v9, v46, s[8:9]
	;; [unrolled: 1-line block ×3, first 2 shown]
	v_cmp_nlt_f32_e64 s[0:1], s20, v6
	v_cvt_f16_f32_e32 v0, v0
	v_cvt_f16_f32_e32 v2, v2
	v_cndmask_b32_e64 v49, v56, v21, s[0:1]
	v_cmp_nlt_f32_e64 s[0:1], s20, v7
	v_cvt_f16_f32_e32 v3, v3
	v_cndmask_b32_e64 v6, v12, v47, s[6:7]
	v_cndmask_b32_e64 v36, v56, v40, s[0:1]
	v_cmp_nlt_f32_e64 s[0:1], s20, v30
	v_cndmask_b32_e64 v7, v11, v48, s[4:5]
	v_cndmask_b32_e64 v8, v10, v49, s[16:17]
	;; [unrolled: 1-line block ×3, first 2 shown]
	v_cmp_le_f32_e64 s[0:1], s19, v30
	v_cndmask_b32_e32 v9, v13, v36, vcc
	v_cvt_f16_f32_e32 v10, v6
	v_cndmask_b32_e64 v38, 0, v1, s[0:1]
	v_cvt_f16_f32_e32 v39, v38
	v_cvt_f16_f32_e32 v1, v4
	;; [unrolled: 1-line block ×4, first 2 shown]
	v_pk_mul_f16 v6, v39, v94 op_sel_hi:[0,1]
	v_pk_mul_f16 v7, v39, v93 op_sel_hi:[0,1]
	v_cvt_f16_f32_e32 v13, v9
	v_pack_b32_f16 v30, v1, v0
	v_pack_b32_f16 v31, v2, v3
	v_cvt_f32_f16_e32 v0, v6
	v_cvt_f32_f16_sdwa v1, v6 dst_sel:DWORD dst_unused:UNUSED_PAD src0_sel:WORD_1
	v_cvt_f32_f16_e32 v2, v7
	v_cvt_f32_f16_sdwa v3, v7 dst_sel:DWORD dst_unused:UNUSED_PAD src0_sel:WORD_1
	ds_read_u16 v18, v61 offset:304
	ds_read_u16 v20, v61 offset:336
	ds_read_u16 v21, v61 offset:368
	ds_read_u16 v22, v61 offset:400
	ds_read_u16 v25, v61 offset:432
	ds_read_u16 v50, v61 offset:464
	ds_read_u16 v6, v61 offset:272
	ds_read_u16 v8, v58 offset:8704
	ds_read_u16 v19, v16 offset:32
	ds_read_u16 v23, v16 offset:64
	ds_read_u16 v24, v16 offset:96
	ds_read_u16 v40, v16 offset:128
	ds_read_u16 v7, v16
	ds_read_u16 v9, v61 offset:9248
	ds_read_u16 v41, v16 offset:8704
	;; [unrolled: 1-line block ×13, first 2 shown]
	ds_read_u16 v45, v58
	ds_read_u16 v63, v58 offset:32
	ds_read_u16 v64, v58 offset:64
	;; [unrolled: 1-line block ×8, first 2 shown]
	s_waitcnt lgkmcnt(14)
	v_perm_b32 v7, v7, v44, s2
	s_waitcnt lgkmcnt(8)
	v_perm_b32 v6, v6, v45, s2
	ds_read_u16 v44, v61 offset:8976
	v_perm_b32 v9, v41, v9, s2
	v_mfma_f32_16x16x16_f16 v[0:3], v[6:7], v[30:31], v[0:3]
	s_waitcnt lgkmcnt(0)
	v_perm_b32 v8, v44, v8, s2
	v_pk_mul_f16 v15, v39, v96 op_sel_hi:[0,1]
	v_pk_mul_f16 v17, v39, v95 op_sel_hi:[0,1]
	s_nop 2
	v_cvt_f16_f32_e32 v0, v0
	v_cvt_f16_f32_e32 v1, v1
	;; [unrolled: 1-line block ×4, first 2 shown]
	v_cvt_f32_f16_e32 v0, v0
	v_cvt_f32_f16_e32 v1, v1
	;; [unrolled: 1-line block ×4, first 2 shown]
	v_pack_b32_f16 v44, v10, v11
	v_pack_b32_f16 v45, v12, v13
	v_perm_b32 v11, v19, v55, s2
	v_perm_b32 v10, v18, v63, s2
	v_cvt_f32_f16_e32 v6, v15
	v_mfma_f32_16x16x16_f16 v[0:3], v[8:9], v[44:45], v[0:3]
	v_cvt_f32_f16_sdwa v7, v15 dst_sel:DWORD dst_unused:UNUSED_PAD src0_sel:WORD_1
	v_cvt_f32_f16_e32 v8, v17
	v_cvt_f32_f16_sdwa v9, v17 dst_sel:DWORD dst_unused:UNUSED_PAD src0_sel:WORD_1
	v_pk_mul_f16 v12, v39, v92 op_sel_hi:[0,1]
	v_pk_mul_f16 v13, v39, v91 op_sel_hi:[0,1]
	v_mfma_f32_16x16x16_f16 v[6:9], v[10:11], v[30:31], v[6:9]
	v_perm_b32 v11, v54, v53, s2
	v_perm_b32 v10, v52, v51, s2
	;; [unrolled: 1-line block ×4, first 2 shown]
	s_nop 2
	v_cvt_f16_f32_e32 v6, v6
	v_cvt_f16_f32_e32 v7, v7
	;; [unrolled: 1-line block ×4, first 2 shown]
	v_cvt_f32_f16_e32 v6, v6
	v_cvt_f32_f16_e32 v7, v7
	;; [unrolled: 1-line block ×4, first 2 shown]
	s_add_i32 s0, 0, 0x60
	v_add_u32_e32 v15, v14, v33
	v_mfma_f32_16x16x16_f16 v[6:9], v[10:11], v[44:45], v[6:9]
	v_cvt_f32_f16_e32 v10, v12
	v_cvt_f32_f16_sdwa v11, v12 dst_sel:DWORD dst_unused:UNUSED_PAD src0_sel:WORD_1
	v_cvt_f32_f16_e32 v12, v13
	v_cvt_f32_f16_sdwa v13, v13 dst_sel:DWORD dst_unused:UNUSED_PAD src0_sel:WORD_1
	v_add3_u32 v17, v14, v26, v81
	v_add3_u32 v14, v14, v27, v81
	v_mfma_f32_16x16x16_f16 v[10:13], v[18:19], v[30:31], v[10:13]
	v_mov_b32_e32 v18, s0
	v_mad_u32_u24 v18, v82, s3, v18
	ds_read_u16 v61, v61 offset:768
	ds_read_u16 v70, v16 offset:224
	s_nop 2
	v_cvt_f16_f32_e32 v10, v10
	v_cvt_f16_f32_e32 v11, v11
	;; [unrolled: 1-line block ×4, first 2 shown]
	v_add_u32_e32 v19, v18, v33
	v_add3_u32 v20, v18, v26, v81
	v_add3_u32 v18, v18, v27, v81
	ds_read_u16 v23, v15 offset:8704
	ds_read_u16 v41, v17 offset:8976
	;; [unrolled: 1-line block ×8, first 2 shown]
	s_waitcnt lgkmcnt(4)
	v_perm_b32 v15, v14, v15, s2
	v_perm_b32 v14, v41, v23, s2
	v_cvt_f32_f16_e32 v10, v10
	v_cvt_f32_f16_e32 v11, v11
	;; [unrolled: 1-line block ×4, first 2 shown]
	v_pk_mul_f16 v19, v39, v86 op_sel_hi:[0,1]
	v_pk_mul_f16 v23, v39, v85 op_sel_hi:[0,1]
	v_mfma_f32_16x16x16_f16 v[10:13], v[14:15], v[44:45], v[10:13]
	v_perm_b32 v15, v24, v57, s2
	v_perm_b32 v14, v21, v65, s2
	v_cvt_f32_f16_e32 v18, v19
	v_cvt_f32_f16_sdwa v19, v19 dst_sel:DWORD dst_unused:UNUSED_PAD src0_sel:WORD_1
	v_cvt_f32_f16_e32 v20, v23
	v_cvt_f32_f16_sdwa v21, v23 dst_sel:DWORD dst_unused:UNUSED_PAD src0_sel:WORD_1
	v_pk_mul_f16 v23, v39, v88 op_sel_hi:[0,1]
	v_pk_mul_f16 v24, v39, v87 op_sel_hi:[0,1]
	v_mfma_f32_16x16x16_f16 v[18:21], v[14:15], v[30:31], v[18:21]
	v_perm_b32 v22, v22, v66, s2
	s_add_i32 s0, 0, 0x80
	s_nop 4
	v_cvt_f16_f32_e32 v14, v18
	v_cvt_f16_f32_e32 v15, v19
	;; [unrolled: 1-line block ×4, first 2 shown]
	v_cvt_f32_f16_e32 v18, v14
	v_cvt_f32_f16_e32 v19, v15
	s_waitcnt lgkmcnt(0)
	v_perm_b32 v15, v53, v52, s2
	v_perm_b32 v14, v51, v17, s2
	v_cvt_f32_f16_e32 v20, v20
	v_cvt_f32_f16_e32 v21, v21
	ds_read_u16 v41, v16 offset:160
	ds_read_u16 v51, v16 offset:192
	v_mfma_f32_16x16x16_f16 v[14:17], v[14:15], v[44:45], v[18:21]
	s_waitcnt lgkmcnt(1)
	v_perm_b32 v41, v41, v60, s2
	s_nop 0
	v_cvt_f32_f16_e32 v18, v23
	v_cvt_f32_f16_sdwa v19, v23 dst_sel:DWORD dst_unused:UNUSED_PAD src0_sel:WORD_1
	v_perm_b32 v23, v40, v59, s2
	v_cvt_f32_f16_e32 v20, v24
	v_cvt_f32_f16_sdwa v21, v24 dst_sel:DWORD dst_unused:UNUSED_PAD src0_sel:WORD_1
	v_add_f32_e32 v24, v42, v4
	v_cndmask_b32_e64 v4, v4, v24, s[12:13]
	v_mfma_f32_16x16x16_f16 v[18:21], v[22:23], v[30:31], v[18:21]
	v_mov_b32_e32 v22, s0
	s_add_i32 s0, 0, 0xa0
	v_mov_b32_e32 v42, s0
	v_mad_u32_u24 v22, v82, s3, v22
	s_nop 2
	v_cvt_f16_f32_e32 v18, v18
	v_cvt_f16_f32_e32 v19, v19
	;; [unrolled: 1-line block ×4, first 2 shown]
	v_mad_u32_u24 v42, v82, s3, v42
	v_add_f32_e32 v24, v4, v43
	v_add_u32_e32 v23, v22, v33
	v_add3_u32 v40, v22, v26, v81
	v_add3_u32 v22, v22, v27, v81
	v_add_u32_e32 v43, v42, v33
	v_add3_u32 v52, v42, v26, v81
	v_add3_u32 v42, v42, v27, v81
	ds_read_u16 v53, v23 offset:8704
	ds_read_u16 v54, v40 offset:8976
	;; [unrolled: 1-line block ×8, first 2 shown]
	s_waitcnt lgkmcnt(4)
	v_perm_b32 v23, v22, v23, s2
	v_perm_b32 v22, v54, v53, s2
	v_cvt_f32_f16_e32 v18, v18
	v_cvt_f32_f16_e32 v19, v19
	;; [unrolled: 1-line block ×4, first 2 shown]
	v_cndmask_b32_e64 v4, v4, v24, s[10:11]
	v_pk_mul_f16 v24, v39, v90 op_sel_hi:[0,1]
	v_pk_mul_f16 v53, v39, v89 op_sel_hi:[0,1]
	v_perm_b32 v40, v25, v67, s2
	v_mfma_f32_16x16x16_f16 v[18:21], v[22:23], v[44:45], v[18:21]
	v_cvt_f32_f16_e32 v22, v24
	v_cvt_f32_f16_sdwa v23, v24 dst_sel:DWORD dst_unused:UNUSED_PAD src0_sel:WORD_1
	v_cvt_f32_f16_e32 v24, v53
	v_cvt_f32_f16_sdwa v25, v53 dst_sel:DWORD dst_unused:UNUSED_PAD src0_sel:WORD_1
	v_add_f32_e32 v46, v4, v46
	v_cndmask_b32_e64 v4, v4, v46, s[8:9]
	v_mfma_f32_16x16x16_f16 v[22:25], v[40:41], v[30:31], v[22:25]
	s_waitcnt lgkmcnt(0)
	v_perm_b32 v41, v42, v52, s2
	v_perm_b32 v40, v55, v43, s2
	v_add_f32_e32 v46, v47, v4
	v_cndmask_b32_e64 v4, v4, v46, s[6:7]
	s_nop 1
	v_cvt_f16_f32_e32 v22, v22
	v_cvt_f16_f32_e32 v23, v23
	;; [unrolled: 1-line block ×4, first 2 shown]
	v_cvt_f32_f16_e32 v22, v22
	v_cvt_f32_f16_e32 v23, v23
	;; [unrolled: 1-line block ×4, first 2 shown]
	v_pk_mul_f16 v42, v39, v75 op_sel_hi:[0,1]
	v_pk_mul_f16 v43, v39, v74 op_sel_hi:[0,1]
	v_perm_b32 v47, v51, v62, s2
	v_perm_b32 v46, v50, v68, s2
	v_mfma_f32_16x16x16_f16 v[22:25], v[40:41], v[44:45], v[22:25]
	v_cvt_f32_f16_e32 v40, v42
	v_cvt_f32_f16_sdwa v41, v42 dst_sel:DWORD dst_unused:UNUSED_PAD src0_sel:WORD_1
	v_cvt_f32_f16_e32 v42, v43
	v_cvt_f32_f16_sdwa v43, v43 dst_sel:DWORD dst_unused:UNUSED_PAD src0_sel:WORD_1
	s_add_i32 s0, 0, 0xc0
	v_add_f32_e32 v48, v48, v4
	v_mfma_f32_16x16x16_f16 v[40:43], v[46:47], v[30:31], v[40:43]
	v_mov_b32_e32 v46, s0
	s_add_i32 s0, 0, 0xe0
	v_mov_b32_e32 v50, s0
	v_cndmask_b32_e64 v4, v4, v48, s[4:5]
	s_nop 2
	v_cvt_f16_f32_e32 v40, v40
	v_cvt_f16_f32_e32 v41, v41
	v_cvt_f16_f32_e32 v42, v42
	v_cvt_f16_f32_e32 v43, v43
	v_mad_u32_u24 v46, v82, s3, v46
	v_mad_u32_u24 v50, v82, s3, v50
	v_add_f32_e32 v48, v49, v4
	v_add_u32_e32 v47, v46, v33
	v_add3_u32 v49, v46, v26, v81
	v_add3_u32 v46, v46, v27, v81
	v_add_u32_e32 v33, v50, v33
	v_add3_u32 v26, v50, v26, v81
	v_add3_u32 v27, v50, v27, v81
	ds_read_u16 v47, v47 offset:8704
	ds_read_u16 v50, v49 offset:8976
	;; [unrolled: 1-line block ×8, first 2 shown]
	s_waitcnt lgkmcnt(4)
	v_perm_b32 v27, v46, v49, s2
	v_perm_b32 v26, v50, v47, s2
	v_cvt_f32_f16_e32 v40, v40
	v_cvt_f32_f16_e32 v41, v41
	;; [unrolled: 1-line block ×4, first 2 shown]
	v_pk_mul_f16 v46, v39, v29 op_sel_hi:[0,1]
	v_pk_mul_f16 v39, v39, v28 op_sel_hi:[0,1]
	v_mfma_f32_16x16x16_f16 v[26:29], v[26:27], v[44:45], v[40:43]
	v_perm_b32 v47, v70, v61, s2
	v_cndmask_b32_e64 v4, v4, v48, s[16:17]
	s_nop 0
	v_cvt_f32_f16_e32 v40, v46
	v_cvt_f32_f16_sdwa v41, v46 dst_sel:DWORD dst_unused:UNUSED_PAD src0_sel:WORD_1
	v_perm_b32 v46, v69, v58, s2
	v_cvt_f32_f16_e32 v42, v39
	v_cvt_f32_f16_sdwa v43, v39 dst_sel:DWORD dst_unused:UNUSED_PAD src0_sel:WORD_1
	v_add_f32_e32 v36, v36, v4
	v_cndmask_b32_e32 v36, v4, v36, vcc
	v_fmac_f32_e32 v36, v73, v38
	v_mfma_f32_16x16x16_f16 v[38:41], v[46:47], v[30:31], v[40:43]
	ds_bpermute_b32 v46, v32, v36
	s_movk_i32 s4, 0x110
	v_cmp_gt_u32_e64 s[0:1], 16, v34
	s_waitcnt lgkmcnt(1)
	v_perm_b32 v43, v53, v52, s2
	v_perm_b32 v42, v51, v33, s2
	s_nop 0
	v_cvt_f16_f32_e32 v4, v38
	v_cvt_f16_f32_e32 v30, v39
	;; [unrolled: 1-line block ×4, first 2 shown]
	v_cvt_f32_f16_e32 v38, v4
	v_cvt_f32_f16_e32 v39, v30
	;; [unrolled: 1-line block ×4, first 2 shown]
	s_waitcnt lgkmcnt(0)
	v_add_f32_e32 v4, v36, v46
	ds_bpermute_b32 v36, v37, v4
	v_mfma_f32_16x16x16_f16 v[30:33], v[42:43], v[44:45], v[38:41]
	s_waitcnt lgkmcnt(0)
	s_barrier
	s_and_saveexec_b64 s[2:3], s[0:1]
	s_cbranch_execz .LBB24_393
; %bb.392:
	v_add_f32_e32 v4, v4, v36
	v_or_b32_e32 v36, v112, v34
	v_mad_u32_u24 v36, v36, s4, 0
	ds_write2_b32 v36, v5, v4 offset0:64 offset1:65
.LBB24_393:
	s_or_b64 exec, exec, s[2:3]
	v_cmp_eq_u32_e32 vcc, 0, v114
	v_cmp_eq_u32_e64 s[4:5], 1, v114
	s_waitcnt lgkmcnt(0)
	s_barrier
	s_and_saveexec_b64 s[2:3], s[4:5]
	v_readlane_b32 s8, v254, 22
	v_readlane_b32 s14, v254, 28
	;; [unrolled: 1-line block ×5, first 2 shown]
	s_xor_b64 s[2:3], exec, s[2:3]
	s_mov_b64 s[14:15], s[22:23]
	v_readlane_b32 s9, v254, 23
	v_readlane_b32 s10, v254, 24
	;; [unrolled: 1-line block ×11, first 2 shown]
	s_cbranch_execz .LBB24_395
; %bb.394:
	s_barrier
	s_waitcnt lgkmcnt(0)
                                        ; implicit-def: $vgpr113
                                        ; implicit-def: $vgpr37
.LBB24_395:
	s_andn2_saveexec_b64 s[2:3], s[2:3]
	s_cbranch_execz .LBB24_401
; %bb.396:
	v_and_or_b32 v5, v34, 31, v112
	s_movk_i32 s4, 0x110
	v_mad_u32_u24 v4, v5, s4, 0
	ds_read_b64 v[38:39], v4 offset:256
	s_mov_b32 s4, 0x3fb8aa3b
	s_mov_b32 s6, 0x42b17218
	s_waitcnt lgkmcnt(0)
	s_barrier
	ds_bpermute_b32 v4, v37, v38
	v_max_f32_e32 v36, v38, v38
	s_waitcnt lgkmcnt(0)
	v_max_f32_e32 v4, v4, v4
	v_max_f32_e32 v4, v36, v4
	v_sub_f32_e32 v36, v38, v4
	v_mul_f32_e32 v38, 0x3fb8aa3b, v36
	v_fma_f32 v40, v36, s4, -v38
	v_rndne_f32_e32 v41, v38
	v_fmamk_f32 v40, v36, 0x32a5705f, v40
	v_sub_f32_e32 v38, v38, v41
	v_add_f32_e32 v38, v38, v40
	v_cvt_i32_f32_e32 v41, v41
	v_exp_f32_e32 v38, v38
	s_mov_b32 s4, 0xc2ce8ed0
	v_cmp_ngt_f32_e64 s[4:5], s4, v36
	v_mov_b32_e32 v40, 0x7f800000
	v_ldexp_f32 v38, v38, v41
	v_cndmask_b32_e64 v38, 0, v38, s[4:5]
	v_cmp_nlt_f32_e64 s[4:5], s6, v36
	s_nop 1
	v_cndmask_b32_e64 v36, v40, v38, s[4:5]
	v_mul_f32_e32 v38, v39, v36
	ds_bpermute_b32 v37, v37, v38
	v_cmp_gt_u32_e64 s[4:5], 32, v34
	s_waitcnt lgkmcnt(0)
	v_fmac_f32_e32 v37, v39, v36
	s_and_saveexec_b64 s[6:7], s[4:5]
	s_cbranch_execz .LBB24_398
; %bb.397:
	v_mul_u32_u24_e32 v5, 0x110, v5
	v_add_u32_e32 v5, 0, v5
	ds_write_b64 v5, v[36:37] offset:256
.LBB24_398:
	s_or_b64 exec, exec, s[6:7]
	s_and_saveexec_b64 s[4:5], s[0:1]
	s_cbranch_execz .LBB24_400
; %bb.399:
	s_add_i32 s0, s51, s56
	s_lshl_b32 s0, s0, 5
	s_mov_b32 s1, 0
	s_lshl_b64 s[0:1], s[0:1], 3
	s_add_u32 s0, s14, s0
	v_or_b32_e32 v5, v113, v34
	s_addc_u32 s1, s15, s1
	v_lshlrev_b32_e32 v36, 3, v5
	v_mov_b32_e32 v5, v37
	global_store_dwordx2 v36, v[4:5], s[0:1]
.LBB24_400:
	s_or_b64 exec, exec, s[4:5]
.LBB24_401:
	s_or_b64 exec, exec, s[2:3]
	v_cvt_f16_f32_e32 v0, v0
	v_cvt_f16_f32_e32 v1, v1
	v_cvt_f16_f32_e32 v2, v2
	v_cvt_f16_f32_e32 v3, v3
	v_cvt_f16_f32_e32 v4, v6
	v_cvt_f16_f32_e32 v5, v8
	v_cvt_f16_f32_e32 v6, v9
	v_cvt_f16_f32_e32 v7, v7
	v_pack_b32_f16 v2, v2, v3
	v_pack_b32_f16 v0, v0, v1
	v_pack_b32_f16 v1, v5, v6
	v_pack_b32_f16 v3, v4, v7
	v_cvt_f16_f32_e32 v4, v10
	v_cvt_f16_f32_e32 v5, v11
	v_cvt_f16_f32_e32 v6, v12
	v_cvt_f16_f32_e32 v7, v13
	v_cvt_f16_f32_e32 v8, v14
	v_cvt_f16_f32_e32 v9, v16
	v_cvt_f16_f32_e32 v10, v17
	v_cvt_f16_f32_e32 v11, v15
	v_pack_b32_f16 v6, v6, v7
	v_pack_b32_f16 v4, v4, v5
	v_pack_b32_f16 v5, v9, v10
	v_pack_b32_f16 v7, v8, v11
	;; [unrolled: 12-line block ×3, first 2 shown]
	v_cvt_f16_f32_e32 v14, v28
	v_cvt_f16_f32_e32 v15, v29
	;; [unrolled: 1-line block ×8, first 2 shown]
	v_pack_b32_f16 v14, v14, v15
	v_pack_b32_f16 v15, v16, v19
	v_or_b32_e32 v16, v112, v79
	s_movk_i32 s0, 0x44
	v_mad_u32_u24 v16, v16, s0, v80
	s_mov_b32 s3, 0
	v_lshl_add_u32 v16, v16, 2, 0
	v_pack_b32_f16 v12, v12, v13
	v_pack_b32_f16 v13, v17, v18
	ds_write2_b32 v16, v0, v2 offset1:1
	ds_write2_b32 v16, v3, v1 offset0:8 offset1:9
	ds_write2_b32 v16, v4, v6 offset0:16 offset1:17
	;; [unrolled: 1-line block ×7, first 2 shown]
	s_waitcnt lgkmcnt(0)
	s_barrier
	s_and_saveexec_b64 s[0:1], vcc
	s_cbranch_execz .LBB24_403
; %bb.402:
	s_lshl_b32 s2, s51, 6
	s_lshl_b64 s[4:5], s[2:3], 3
	s_add_u32 s4, s14, s4
	s_addc_u32 s5, s15, s5
	s_lshl_b32 s2, s56, 11
	s_lshl_b64 s[2:3], s[2:3], 3
	s_add_u32 s2, s4, s2
	v_bfe_u32 v8, v35, 1, 4
	s_movk_i32 s4, 0x3e0
	v_and_or_b32 v0, v35, s4, v8
	s_movk_i32 s4, 0x110
	v_mad_u32_u24 v2, v0, s4, 0
	v_add_u32_e32 v0, v2, v78
	ds_read2st64_b32 v[0:1], v0 offset1:17
	ds_read2st64_b32 v[2:3], v2 offset0:1 offset1:18
	v_lshrrev_b32_e32 v9, 1, v35
	s_addc_u32 s3, s5, s3
	s_movk_i32 s5, 0x7e0
	s_waitcnt lgkmcnt(1)
	v_cvt_f32_f16_e32 v4, v0
	v_cvt_f32_f16_sdwa v5, v0 dst_sel:DWORD dst_unused:UNUSED_PAD src0_sel:WORD_1
	v_cvt_f32_f16_e32 v0, v1
	v_cvt_f32_f16_sdwa v1, v1 dst_sel:DWORD dst_unused:UNUSED_PAD src0_sel:WORD_1
	v_lshlrev_b32_e32 v6, 5, v35
	s_waitcnt lgkmcnt(0)
	v_pk_fma_f32 v[4:5], v[2:3], v[4:5], 0 op_sel_hi:[0,1,0]
	v_mov_b32_e32 v2, v3
	v_pk_fma_f32 v[0:1], v[2:3], v[0:1], v[4:5] op_sel_hi:[0,1,1]
	v_add_u32_e32 v4, 2, v9
	v_lshlrev_b32_e32 v2, 1, v4
	v_and_b32_e32 v3, 15, v4
	v_and_or_b32 v2, v2, s5, v3
	v_mad_u32_u24 v5, v2, s4, 0
	v_add_u32_e32 v2, v5, v78
	ds_read2st64_b32 v[2:3], v2 offset1:17
	v_add_lshl_u32 v6, v6, v34, 3
	v_add_u32_e32 v11, 4, v9
	global_store_dwordx2 v6, v[0:1], s[2:3]
	v_lshlrev_b32_e32 v6, 1, v11
	v_and_b32_e32 v7, 15, v11
	v_and_or_b32 v6, v6, s5, v7
	v_lshlrev_b32_e32 v4, 6, v4
	ds_read2st64_b32 v[0:1], v5 offset0:1 offset1:18
	v_mad_u32_u24 v12, v6, s4, 0
	v_add_lshl_u32 v10, v4, v34, 3
	s_waitcnt lgkmcnt(1)
	v_cvt_f32_f16_e32 v4, v2
	v_cvt_f32_f16_sdwa v5, v2 dst_sel:DWORD dst_unused:UNUSED_PAD src0_sel:WORD_1
	v_add_u32_e32 v6, v12, v78
	v_cvt_f32_f16_e32 v2, v3
	v_cvt_f32_f16_sdwa v3, v3 dst_sel:DWORD dst_unused:UNUSED_PAD src0_sel:WORD_1
	ds_read2st64_b32 v[6:7], v6 offset1:17
	s_waitcnt lgkmcnt(1)
	v_pk_fma_f32 v[4:5], v[0:1], v[4:5], 0 op_sel_hi:[0,1,0]
	v_mov_b32_e32 v0, v1
	v_pk_fma_f32 v[0:1], v[0:1], v[2:3], v[4:5] op_sel_hi:[0,1,1]
	ds_read2st64_b32 v[2:3], v12 offset0:1 offset1:18
	s_waitcnt lgkmcnt(1)
	v_cvt_f32_f16_e32 v4, v6
	v_cvt_f32_f16_sdwa v5, v6 dst_sel:DWORD dst_unused:UNUSED_PAD src0_sel:WORD_1
	global_store_dwordx2 v10, v[0:1], s[2:3]
	v_lshlrev_b32_e32 v0, 6, v11
	v_add_lshl_u32 v10, v0, v34, 3
	s_waitcnt lgkmcnt(0)
	v_pk_fma_f32 v[0:1], v[2:3], v[4:5], 0 op_sel_hi:[0,1,0]
	v_mov_b32_e32 v2, v3
	v_add_u32_e32 v3, 6, v9
	v_cvt_f32_f16_e32 v4, v7
	v_cvt_f32_f16_sdwa v5, v7 dst_sel:DWORD dst_unused:UNUSED_PAD src0_sel:WORD_1
	v_lshlrev_b32_e32 v6, 1, v3
	v_and_b32_e32 v7, 15, v3
	v_and_or_b32 v6, v6, s5, v7
	v_mad_u32_u24 v11, v6, s4, 0
	v_add_u32_e32 v6, v11, v78
	ds_read2st64_b32 v[6:7], v6 offset1:17
	v_pk_fma_f32 v[0:1], v[2:3], v[4:5], v[0:1] op_sel_hi:[0,1,1]
	global_store_dwordx2 v10, v[0:1], s[2:3]
	ds_read2st64_b32 v[0:1], v11 offset0:1 offset1:18
	v_lshlrev_b32_e32 v10, 6, v3
	s_waitcnt lgkmcnt(1)
	v_cvt_f32_f16_e32 v2, v6
	v_cvt_f32_f16_sdwa v3, v6 dst_sel:DWORD dst_unused:UNUSED_PAD src0_sel:WORD_1
	v_cvt_f32_f16_e32 v4, v7
	v_cvt_f32_f16_sdwa v5, v7 dst_sel:DWORD dst_unused:UNUSED_PAD src0_sel:WORD_1
	v_add_lshl_u32 v6, v10, v34, 3
	s_waitcnt lgkmcnt(0)
	v_pk_fma_f32 v[2:3], v[0:1], v[2:3], 0 op_sel_hi:[0,1,0]
	v_mov_b32_e32 v0, v1
	v_pk_fma_f32 v[0:1], v[0:1], v[4:5], v[2:3] op_sel_hi:[0,1,1]
	v_add_u32_e32 v4, 8, v9
	v_lshlrev_b32_e32 v2, 1, v4
	v_and_b32_e32 v3, 15, v4
	v_and_or_b32 v2, v2, s5, v3
	v_mad_u32_u24 v5, v2, s4, 0
	v_add_u32_e32 v2, v5, v78
	ds_read2st64_b32 v[2:3], v2 offset1:17
	v_add_u32_e32 v11, 10, v9
	global_store_dwordx2 v6, v[0:1], s[2:3]
	v_lshlrev_b32_e32 v6, 1, v11
	v_and_b32_e32 v7, 15, v11
	v_and_or_b32 v6, v6, s5, v7
	v_lshlrev_b32_e32 v4, 6, v4
	ds_read2st64_b32 v[0:1], v5 offset0:1 offset1:18
	v_mad_u32_u24 v12, v6, s4, 0
	v_add_lshl_u32 v10, v4, v34, 3
	s_waitcnt lgkmcnt(1)
	v_cvt_f32_f16_e32 v4, v2
	v_cvt_f32_f16_sdwa v5, v2 dst_sel:DWORD dst_unused:UNUSED_PAD src0_sel:WORD_1
	v_add_u32_e32 v6, v12, v78
	v_cvt_f32_f16_e32 v2, v3
	v_cvt_f32_f16_sdwa v3, v3 dst_sel:DWORD dst_unused:UNUSED_PAD src0_sel:WORD_1
	ds_read2st64_b32 v[6:7], v6 offset1:17
	s_waitcnt lgkmcnt(1)
	v_pk_fma_f32 v[4:5], v[0:1], v[4:5], 0 op_sel_hi:[0,1,0]
	v_mov_b32_e32 v0, v1
	v_pk_fma_f32 v[0:1], v[0:1], v[2:3], v[4:5] op_sel_hi:[0,1,1]
	ds_read2st64_b32 v[2:3], v12 offset0:1 offset1:18
	s_waitcnt lgkmcnt(1)
	v_cvt_f32_f16_e32 v4, v6
	v_cvt_f32_f16_sdwa v5, v6 dst_sel:DWORD dst_unused:UNUSED_PAD src0_sel:WORD_1
	global_store_dwordx2 v10, v[0:1], s[2:3]
	v_lshlrev_b32_e32 v0, 6, v11
	v_add_lshl_u32 v10, v0, v34, 3
	s_waitcnt lgkmcnt(0)
	v_pk_fma_f32 v[0:1], v[2:3], v[4:5], 0 op_sel_hi:[0,1,0]
	v_mov_b32_e32 v2, v3
	v_add_u32_e32 v3, 12, v9
	v_cvt_f32_f16_e32 v4, v7
	v_cvt_f32_f16_sdwa v5, v7 dst_sel:DWORD dst_unused:UNUSED_PAD src0_sel:WORD_1
	v_lshlrev_b32_e32 v6, 1, v3
	v_and_b32_e32 v7, 15, v3
	v_and_or_b32 v6, v6, s5, v7
	v_mad_u32_u24 v11, v6, s4, 0
	v_add_u32_e32 v6, v11, v78
	ds_read2st64_b32 v[6:7], v6 offset1:17
	v_pk_fma_f32 v[0:1], v[2:3], v[4:5], v[0:1] op_sel_hi:[0,1,1]
	global_store_dwordx2 v10, v[0:1], s[2:3]
	ds_read2st64_b32 v[0:1], v11 offset0:1 offset1:18
	v_lshlrev_b32_e32 v10, 6, v3
	s_waitcnt lgkmcnt(1)
	v_cvt_f32_f16_e32 v2, v6
	v_cvt_f32_f16_sdwa v3, v6 dst_sel:DWORD dst_unused:UNUSED_PAD src0_sel:WORD_1
	v_cvt_f32_f16_e32 v4, v7
	v_cvt_f32_f16_sdwa v5, v7 dst_sel:DWORD dst_unused:UNUSED_PAD src0_sel:WORD_1
	v_add_lshl_u32 v6, v10, v34, 3
	s_waitcnt lgkmcnt(0)
	v_pk_fma_f32 v[2:3], v[0:1], v[2:3], 0 op_sel_hi:[0,1,0]
	v_mov_b32_e32 v0, v1
	v_pk_fma_f32 v[0:1], v[0:1], v[4:5], v[2:3] op_sel_hi:[0,1,1]
	v_add_u32_e32 v4, 14, v9
	v_lshlrev_b32_e32 v2, 1, v4
	v_and_b32_e32 v3, 15, v4
	v_and_or_b32 v2, v2, s5, v3
	v_mad_u32_u24 v5, v2, s4, 0
	v_add_u32_e32 v2, v5, v78
	ds_read2st64_b32 v[2:3], v2 offset1:17
	v_add_u32_e32 v11, 16, v9
	global_store_dwordx2 v6, v[0:1], s[2:3]
	v_lshlrev_b32_e32 v6, 1, v11
	v_and_or_b32 v6, v6, s5, v8
	v_lshlrev_b32_e32 v4, 6, v4
	ds_read2st64_b32 v[0:1], v5 offset0:1 offset1:18
	v_mad_u32_u24 v8, v6, s4, 0
	v_add_lshl_u32 v10, v4, v34, 3
	s_waitcnt lgkmcnt(1)
	v_cvt_f32_f16_e32 v4, v2
	v_cvt_f32_f16_sdwa v5, v2 dst_sel:DWORD dst_unused:UNUSED_PAD src0_sel:WORD_1
	v_add_u32_e32 v6, v8, v78
	v_cvt_f32_f16_e32 v2, v3
	v_cvt_f32_f16_sdwa v3, v3 dst_sel:DWORD dst_unused:UNUSED_PAD src0_sel:WORD_1
	ds_read2st64_b32 v[6:7], v6 offset1:17
	s_waitcnt lgkmcnt(1)
	v_pk_fma_f32 v[4:5], v[0:1], v[4:5], 0 op_sel_hi:[0,1,0]
	v_mov_b32_e32 v0, v1
	v_pk_fma_f32 v[0:1], v[0:1], v[2:3], v[4:5] op_sel_hi:[0,1,1]
	ds_read2st64_b32 v[2:3], v8 offset0:1 offset1:18
	s_waitcnt lgkmcnt(1)
	v_cvt_f32_f16_e32 v4, v6
	v_cvt_f32_f16_sdwa v5, v6 dst_sel:DWORD dst_unused:UNUSED_PAD src0_sel:WORD_1
	global_store_dwordx2 v10, v[0:1], s[2:3]
	v_lshlrev_b32_e32 v0, 6, v11
	v_add_lshl_u32 v8, v0, v34, 3
	s_waitcnt lgkmcnt(0)
	v_pk_fma_f32 v[0:1], v[2:3], v[4:5], 0 op_sel_hi:[0,1,0]
	v_mov_b32_e32 v2, v3
	v_add_u32_e32 v3, 18, v9
	v_cvt_f32_f16_e32 v4, v7
	v_cvt_f32_f16_sdwa v5, v7 dst_sel:DWORD dst_unused:UNUSED_PAD src0_sel:WORD_1
	v_lshlrev_b32_e32 v6, 1, v3
	v_and_b32_e32 v7, 15, v3
	v_and_or_b32 v6, v6, s5, v7
	v_mad_u32_u24 v10, v6, s4, 0
	v_add_u32_e32 v6, v10, v78
	ds_read2st64_b32 v[6:7], v6 offset1:17
	v_pk_fma_f32 v[0:1], v[2:3], v[4:5], v[0:1] op_sel_hi:[0,1,1]
	global_store_dwordx2 v8, v[0:1], s[2:3]
	ds_read2st64_b32 v[0:1], v10 offset0:1 offset1:18
	v_lshlrev_b32_e32 v8, 6, v3
	s_waitcnt lgkmcnt(1)
	v_cvt_f32_f16_e32 v2, v6
	v_cvt_f32_f16_sdwa v3, v6 dst_sel:DWORD dst_unused:UNUSED_PAD src0_sel:WORD_1
	v_cvt_f32_f16_e32 v4, v7
	v_cvt_f32_f16_sdwa v5, v7 dst_sel:DWORD dst_unused:UNUSED_PAD src0_sel:WORD_1
	v_add_lshl_u32 v6, v8, v34, 3
	s_waitcnt lgkmcnt(0)
	v_pk_fma_f32 v[2:3], v[0:1], v[2:3], 0 op_sel_hi:[0,1,0]
	v_mov_b32_e32 v0, v1
	v_pk_fma_f32 v[0:1], v[0:1], v[4:5], v[2:3] op_sel_hi:[0,1,1]
	v_add_u32_e32 v4, 20, v9
	v_lshlrev_b32_e32 v2, 1, v4
	v_and_b32_e32 v3, 15, v4
	v_and_or_b32 v2, v2, s5, v3
	v_mad_u32_u24 v5, v2, s4, 0
	v_add_u32_e32 v2, v5, v78
	ds_read2st64_b32 v[2:3], v2 offset1:17
	v_add_u32_e32 v10, 22, v9
	global_store_dwordx2 v6, v[0:1], s[2:3]
	v_lshlrev_b32_e32 v6, 1, v10
	v_and_b32_e32 v7, 15, v10
	v_and_or_b32 v6, v6, s5, v7
	v_lshlrev_b32_e32 v4, 6, v4
	ds_read2st64_b32 v[0:1], v5 offset0:1 offset1:18
	v_mad_u32_u24 v11, v6, s4, 0
	v_add_lshl_u32 v8, v4, v34, 3
	s_waitcnt lgkmcnt(1)
	v_cvt_f32_f16_e32 v4, v2
	v_cvt_f32_f16_sdwa v5, v2 dst_sel:DWORD dst_unused:UNUSED_PAD src0_sel:WORD_1
	v_add_u32_e32 v6, v11, v78
	v_cvt_f32_f16_e32 v2, v3
	v_cvt_f32_f16_sdwa v3, v3 dst_sel:DWORD dst_unused:UNUSED_PAD src0_sel:WORD_1
	ds_read2st64_b32 v[6:7], v6 offset1:17
	s_waitcnt lgkmcnt(1)
	v_pk_fma_f32 v[4:5], v[0:1], v[4:5], 0 op_sel_hi:[0,1,0]
	v_mov_b32_e32 v0, v1
	v_pk_fma_f32 v[0:1], v[0:1], v[2:3], v[4:5] op_sel_hi:[0,1,1]
	ds_read2st64_b32 v[2:3], v11 offset0:1 offset1:18
	s_waitcnt lgkmcnt(1)
	v_cvt_f32_f16_e32 v4, v6
	v_cvt_f32_f16_sdwa v5, v6 dst_sel:DWORD dst_unused:UNUSED_PAD src0_sel:WORD_1
	global_store_dwordx2 v8, v[0:1], s[2:3]
	v_lshlrev_b32_e32 v0, 6, v10
	v_add_lshl_u32 v8, v0, v34, 3
	s_waitcnt lgkmcnt(0)
	v_pk_fma_f32 v[0:1], v[2:3], v[4:5], 0 op_sel_hi:[0,1,0]
	v_mov_b32_e32 v2, v3
	v_add_u32_e32 v3, 24, v9
	v_cvt_f32_f16_e32 v4, v7
	v_cvt_f32_f16_sdwa v5, v7 dst_sel:DWORD dst_unused:UNUSED_PAD src0_sel:WORD_1
	v_lshlrev_b32_e32 v6, 1, v3
	v_and_b32_e32 v7, 15, v3
	v_and_or_b32 v6, v6, s5, v7
	v_mad_u32_u24 v10, v6, s4, 0
	v_add_u32_e32 v6, v10, v78
	ds_read2st64_b32 v[6:7], v6 offset1:17
	v_pk_fma_f32 v[0:1], v[2:3], v[4:5], v[0:1] op_sel_hi:[0,1,1]
	global_store_dwordx2 v8, v[0:1], s[2:3]
	ds_read2st64_b32 v[0:1], v10 offset0:1 offset1:18
	v_lshlrev_b32_e32 v8, 6, v3
	s_waitcnt lgkmcnt(1)
	v_cvt_f32_f16_e32 v2, v6
	v_cvt_f32_f16_sdwa v3, v6 dst_sel:DWORD dst_unused:UNUSED_PAD src0_sel:WORD_1
	v_cvt_f32_f16_e32 v4, v7
	v_cvt_f32_f16_sdwa v5, v7 dst_sel:DWORD dst_unused:UNUSED_PAD src0_sel:WORD_1
	v_add_lshl_u32 v6, v8, v34, 3
	s_waitcnt lgkmcnt(0)
	v_pk_fma_f32 v[2:3], v[0:1], v[2:3], 0 op_sel_hi:[0,1,0]
	v_mov_b32_e32 v0, v1
	v_pk_fma_f32 v[0:1], v[0:1], v[4:5], v[2:3] op_sel_hi:[0,1,1]
	v_add_u32_e32 v4, 26, v9
	v_lshlrev_b32_e32 v2, 1, v4
	v_and_b32_e32 v3, 15, v4
	v_and_or_b32 v2, v2, s5, v3
	v_mad_u32_u24 v5, v2, s4, 0
	v_add_u32_e32 v2, v5, v78
	ds_read2st64_b32 v[2:3], v2 offset1:17
	v_add_u32_e32 v10, 28, v9
	global_store_dwordx2 v6, v[0:1], s[2:3]
	v_lshlrev_b32_e32 v6, 1, v10
	v_and_b32_e32 v7, 15, v10
	v_and_or_b32 v6, v6, s5, v7
	v_lshlrev_b32_e32 v4, 6, v4
	ds_read2st64_b32 v[0:1], v5 offset0:1 offset1:18
	v_mad_u32_u24 v11, v6, s4, 0
	v_add_lshl_u32 v8, v4, v34, 3
	s_waitcnt lgkmcnt(1)
	v_cvt_f32_f16_e32 v4, v2
	v_cvt_f32_f16_sdwa v5, v2 dst_sel:DWORD dst_unused:UNUSED_PAD src0_sel:WORD_1
	v_add_u32_e32 v6, v11, v78
	v_cvt_f32_f16_e32 v2, v3
	v_cvt_f32_f16_sdwa v3, v3 dst_sel:DWORD dst_unused:UNUSED_PAD src0_sel:WORD_1
	ds_read2st64_b32 v[6:7], v6 offset1:17
	s_waitcnt lgkmcnt(1)
	v_pk_fma_f32 v[4:5], v[0:1], v[4:5], 0 op_sel_hi:[0,1,0]
	v_mov_b32_e32 v0, v1
	v_pk_fma_f32 v[0:1], v[0:1], v[2:3], v[4:5] op_sel_hi:[0,1,1]
	ds_read2st64_b32 v[2:3], v11 offset0:1 offset1:18
	s_waitcnt lgkmcnt(1)
	v_cvt_f32_f16_e32 v4, v6
	v_cvt_f32_f16_sdwa v5, v6 dst_sel:DWORD dst_unused:UNUSED_PAD src0_sel:WORD_1
	global_store_dwordx2 v8, v[0:1], s[2:3]
	v_lshlrev_b32_e32 v0, 6, v10
	v_add_lshl_u32 v8, v0, v34, 3
	s_waitcnt lgkmcnt(0)
	v_pk_fma_f32 v[0:1], v[2:3], v[4:5], 0 op_sel_hi:[0,1,0]
	v_mov_b32_e32 v2, v3
	v_add_u32_e32 v3, 30, v9
	v_cvt_f32_f16_e32 v4, v7
	v_cvt_f32_f16_sdwa v5, v7 dst_sel:DWORD dst_unused:UNUSED_PAD src0_sel:WORD_1
	v_lshlrev_b32_e32 v6, 1, v3
	v_and_b32_e32 v7, 15, v3
	v_and_or_b32 v6, v6, s5, v7
	v_mad_u32_u24 v9, v6, s4, 0
	v_add_u32_e32 v6, v9, v78
	ds_read2st64_b32 v[6:7], v6 offset1:17
	v_pk_fma_f32 v[0:1], v[2:3], v[4:5], v[0:1] op_sel_hi:[0,1,1]
	global_store_dwordx2 v8, v[0:1], s[2:3]
	ds_read2st64_b32 v[0:1], v9 offset0:1 offset1:18
	v_lshlrev_b32_e32 v8, 6, v3
	s_waitcnt lgkmcnt(1)
	v_cvt_f32_f16_e32 v2, v6
	v_cvt_f32_f16_sdwa v3, v6 dst_sel:DWORD dst_unused:UNUSED_PAD src0_sel:WORD_1
	v_cvt_f32_f16_e32 v4, v7
	v_cvt_f32_f16_sdwa v5, v7 dst_sel:DWORD dst_unused:UNUSED_PAD src0_sel:WORD_1
	v_add_lshl_u32 v6, v8, v34, 3
	s_waitcnt lgkmcnt(0)
	v_pk_fma_f32 v[2:3], v[0:1], v[2:3], 0 op_sel_hi:[0,1,0]
	v_mov_b32_e32 v0, v1
	v_pk_fma_f32 v[0:1], v[0:1], v[4:5], v[2:3] op_sel_hi:[0,1,1]
	global_store_dwordx2 v6, v[0:1], s[2:3]
.LBB24_403:
	s_or_b64 exec, exec, s[0:1]
	s_barrier
	s_endpgm
	.section	.rodata,"a",@progbits
	.p2align	6, 0x0
	.amdhsa_kernel _ZL18flash_attn_ext_f16ILi128ELi128ELi32ELi1ELb0ELb0EEvPKcS1_S1_S1_S1_PKiPfP15HIP_vector_typeIfLj2EEffffjfiS5_IjLj3EEiiiiiiiiiiiliiliiiiil
		.amdhsa_group_segment_fixed_size 0
		.amdhsa_private_segment_fixed_size 128
		.amdhsa_kernarg_size 464
		.amdhsa_user_sgpr_count 2
		.amdhsa_user_sgpr_dispatch_ptr 0
		.amdhsa_user_sgpr_queue_ptr 0
		.amdhsa_user_sgpr_kernarg_segment_ptr 1
		.amdhsa_user_sgpr_dispatch_id 0
		.amdhsa_user_sgpr_kernarg_preload_length 0
		.amdhsa_user_sgpr_kernarg_preload_offset 0
		.amdhsa_user_sgpr_private_segment_size 0
		.amdhsa_uses_dynamic_stack 0
		.amdhsa_enable_private_segment 1
		.amdhsa_system_sgpr_workgroup_id_x 1
		.amdhsa_system_sgpr_workgroup_id_y 0
		.amdhsa_system_sgpr_workgroup_id_z 0
		.amdhsa_system_sgpr_workgroup_info 0
		.amdhsa_system_vgpr_workitem_id 1
		.amdhsa_next_free_vgpr 256
		.amdhsa_next_free_sgpr 100
		.amdhsa_accum_offset 256
		.amdhsa_reserve_vcc 1
		.amdhsa_float_round_mode_32 0
		.amdhsa_float_round_mode_16_64 0
		.amdhsa_float_denorm_mode_32 3
		.amdhsa_float_denorm_mode_16_64 3
		.amdhsa_dx10_clamp 1
		.amdhsa_ieee_mode 1
		.amdhsa_fp16_overflow 0
		.amdhsa_tg_split 0
		.amdhsa_exception_fp_ieee_invalid_op 0
		.amdhsa_exception_fp_denorm_src 0
		.amdhsa_exception_fp_ieee_div_zero 0
		.amdhsa_exception_fp_ieee_overflow 0
		.amdhsa_exception_fp_ieee_underflow 0
		.amdhsa_exception_fp_ieee_inexact 0
		.amdhsa_exception_int_div_zero 0
	.end_amdhsa_kernel
	.section	.text._ZL18flash_attn_ext_f16ILi128ELi128ELi32ELi1ELb0ELb0EEvPKcS1_S1_S1_S1_PKiPfP15HIP_vector_typeIfLj2EEffffjfiS5_IjLj3EEiiiiiiiiiiiliiliiiiil,"axG",@progbits,_ZL18flash_attn_ext_f16ILi128ELi128ELi32ELi1ELb0ELb0EEvPKcS1_S1_S1_S1_PKiPfP15HIP_vector_typeIfLj2EEffffjfiS5_IjLj3EEiiiiiiiiiiiliiliiiiil,comdat
.Lfunc_end24:
	.size	_ZL18flash_attn_ext_f16ILi128ELi128ELi32ELi1ELb0ELb0EEvPKcS1_S1_S1_S1_PKiPfP15HIP_vector_typeIfLj2EEffffjfiS5_IjLj3EEiiiiiiiiiiiliiliiiiil, .Lfunc_end24-_ZL18flash_attn_ext_f16ILi128ELi128ELi32ELi1ELb0ELb0EEvPKcS1_S1_S1_S1_PKiPfP15HIP_vector_typeIfLj2EEffffjfiS5_IjLj3EEiiiiiiiiiiiliiliiiiil
                                        ; -- End function
	.section	.AMDGPU.csdata,"",@progbits
; Kernel info:
; codeLenInByte = 57412
; NumSgprs: 106
; NumVgprs: 256
; NumAgprs: 0
; TotalNumVgprs: 256
; ScratchSize: 128
; MemoryBound: 0
; FloatMode: 240
; IeeeMode: 1
; LDSByteSize: 0 bytes/workgroup (compile time only)
; SGPRBlocks: 13
; VGPRBlocks: 31
; NumSGPRsForWavesPerEU: 106
; NumVGPRsForWavesPerEU: 256
; AccumOffset: 256
; Occupancy: 2
; WaveLimiterHint : 0
; COMPUTE_PGM_RSRC2:SCRATCH_EN: 1
; COMPUTE_PGM_RSRC2:USER_SGPR: 2
; COMPUTE_PGM_RSRC2:TRAP_HANDLER: 0
; COMPUTE_PGM_RSRC2:TGID_X_EN: 1
; COMPUTE_PGM_RSRC2:TGID_Y_EN: 0
; COMPUTE_PGM_RSRC2:TGID_Z_EN: 0
; COMPUTE_PGM_RSRC2:TIDIG_COMP_CNT: 1
; COMPUTE_PGM_RSRC3_GFX90A:ACCUM_OFFSET: 63
; COMPUTE_PGM_RSRC3_GFX90A:TG_SPLIT: 0
	.section	.text._ZL18flash_attn_ext_f16ILi128ELi128ELi32ELi1ELb1ELb0EEvPKcS1_S1_S1_S1_PKiPfP15HIP_vector_typeIfLj2EEffffjfiS5_IjLj3EEiiiiiiiiiiiliiliiiiil,"axG",@progbits,_ZL18flash_attn_ext_f16ILi128ELi128ELi32ELi1ELb1ELb0EEvPKcS1_S1_S1_S1_PKiPfP15HIP_vector_typeIfLj2EEffffjfiS5_IjLj3EEiiiiiiiiiiiliiliiiiil,comdat
	.globl	_ZL18flash_attn_ext_f16ILi128ELi128ELi32ELi1ELb1ELb0EEvPKcS1_S1_S1_S1_PKiPfP15HIP_vector_typeIfLj2EEffffjfiS5_IjLj3EEiiiiiiiiiiiliiliiiiil ; -- Begin function _ZL18flash_attn_ext_f16ILi128ELi128ELi32ELi1ELb1ELb0EEvPKcS1_S1_S1_S1_PKiPfP15HIP_vector_typeIfLj2EEffffjfiS5_IjLj3EEiiiiiiiiiiiliiliiiiil
	.p2align	8
	.type	_ZL18flash_attn_ext_f16ILi128ELi128ELi32ELi1ELb1ELb0EEvPKcS1_S1_S1_S1_PKiPfP15HIP_vector_typeIfLj2EEffffjfiS5_IjLj3EEiiiiiiiiiiiliiliiiiil,@function
_ZL18flash_attn_ext_f16ILi128ELi128ELi32ELi1ELb1ELb0EEvPKcS1_S1_S1_S1_PKiPfP15HIP_vector_typeIfLj2EEffffjfiS5_IjLj3EEiiiiiiiiiiiliiliiiiil: ; @_ZL18flash_attn_ext_f16ILi128ELi128ELi32ELi1ELb1ELb0EEvPKcS1_S1_S1_S1_PKiPfP15HIP_vector_typeIfLj2EEffffjfiS5_IjLj3EEiiiiiiiiiiiliiliiiiil
; %bb.0:
	s_load_dwordx2 s[10:11], s[0:1], 0x80
	s_load_dwordx4 s[80:83], s[0:1], 0x64
	s_mov_b32 s72, s2
                                        ; implicit-def: $vgpr254 : SGPR spill to VGPR lane
	s_load_dword s55, s[0:1], 0xd0
	s_mov_b32 s4, 0
	s_waitcnt lgkmcnt(0)
	s_abs_i32 s2, s11
	v_cvt_f32_u32_e32 v1, s2
	s_sub_i32 s6, 0, s2
	s_abs_i32 s5, s81
	s_xor_b32 s3, s81, s11
	v_rcp_iflag_f32_e32 v1, v1
	s_ashr_i32 s3, s3, 31
	v_cvt_f32_u32_e32 v2, s55
	v_cvt_f32_ubyte0_e32 v3, 0
	v_mul_f32_e32 v1, 0x4f7ffffe, v1
	v_cvt_u32_f32_e32 v1, v1
	s_nop 0
	v_readfirstlane_b32 s7, v1
	s_mul_i32 s6, s6, s7
	s_mul_hi_u32 s6, s7, s6
	s_add_i32 s7, s7, s6
	s_mul_hi_u32 s6, s5, s7
	s_mul_i32 s7, s6, s2
	s_sub_i32 s5, s5, s7
	s_add_i32 s8, s6, 1
	s_sub_i32 s7, s5, s2
	s_cmp_ge_u32 s5, s2
	s_cselect_b32 s6, s8, s6
	s_cselect_b32 s5, s7, s5
	s_add_i32 s7, s6, 1
	s_cmp_ge_u32 s5, s2
	s_cselect_b32 s2, s7, s6
	s_add_i32 s5, s10, 63
	s_xor_b32 s2, s2, s3
	s_ashr_i32 s6, s5, 31
	s_sub_i32 s3, s2, s3
	s_lshr_b32 s2, s6, 26
	s_add_i32 s5, s5, s2
	s_add_i32 s2, s80, 31
	s_lshr_b32 s2, s2, 5
	s_ashr_i32 s5, s5, 6
	v_writelane_b32 v254, s2, 0
	v_writelane_b32 v254, s5, 1
	s_mul_i32 s2, s2, s5
	v_writelane_b32 v254, s3, 2
	v_writelane_b32 v254, s2, 3
	s_mul_i32 s3, s2, s3
	s_mov_b32 s2, s10
	v_writelane_b32 v254, s2, 4
	s_nop 1
	v_writelane_b32 v254, s3, 5
	s_mul_i32 s2, s3, s11
	s_mul_i32 s6, s2, s82
	v_writelane_b32 v254, s3, 6
	s_ashr_i32 s7, s6, 31
	v_writelane_b32 v254, s2, 7
	s_mul_i32 s2, s7, s72
	s_mul_hi_u32 s3, s6, s72
	s_add_i32 s5, s3, s2
	s_mul_i32 s8, s6, s72
	s_cmp_lg_u64 s[4:5], 0
	s_cbranch_scc0 .LBB25_2
; %bb.1:
	v_fmamk_f32 v1, v3, 0x4f800000, v2
	v_rcp_f32_e32 v1, v1
	s_sub_u32 s4, 0, s55
	s_subb_u32 s9, 0, 0
	s_mov_b64 s[2:3], 0
	v_mul_f32_e32 v1, 0x5f7ffffc, v1
	v_mul_f32_e32 v4, 0x2f800000, v1
	v_trunc_f32_e32 v4, v4
	v_fmamk_f32 v1, v4, 0xcf800000, v1
	v_cvt_u32_f32_e32 v4, v4
	v_cvt_u32_f32_e32 v1, v1
	v_readfirstlane_b32 s10, v4
	v_readfirstlane_b32 s11, v1
	s_mul_hi_u32 s13, s4, s11
	s_mul_i32 s14, s4, s10
	s_mul_i32 s12, s9, s11
	s_add_i32 s13, s13, s14
	s_add_i32 s13, s13, s12
	s_mul_i32 s15, s4, s11
	s_mul_hi_u32 s12, s11, s13
	s_mul_i32 s14, s11, s13
	s_mul_hi_u32 s11, s11, s15
	s_add_u32 s11, s11, s14
	s_addc_u32 s12, 0, s12
	s_mul_hi_u32 s16, s10, s15
	s_mul_i32 s15, s10, s15
	s_add_u32 s11, s11, s15
	s_mul_hi_u32 s14, s10, s13
	s_addc_u32 s11, s12, s16
	s_addc_u32 s12, s14, 0
	s_mul_i32 s13, s10, s13
	s_add_u32 s11, s11, s13
	s_addc_u32 s12, 0, s12
	v_add_co_u32_e32 v1, vcc, s11, v1
	s_cmp_lg_u64 vcc, 0
	s_addc_u32 s10, s10, s12
	v_readfirstlane_b32 s12, v1
	s_mul_i32 s11, s4, s10
	s_mul_hi_u32 s13, s4, s12
	s_add_i32 s11, s13, s11
	s_mul_i32 s9, s9, s12
	s_add_i32 s11, s11, s9
	s_mul_i32 s4, s4, s12
	s_mul_hi_u32 s13, s10, s4
	s_mul_i32 s14, s10, s4
	s_mul_i32 s16, s12, s11
	s_mul_hi_u32 s4, s12, s4
	s_mul_hi_u32 s15, s12, s11
	s_add_u32 s4, s4, s16
	s_addc_u32 s12, 0, s15
	s_add_u32 s4, s4, s14
	s_mul_hi_u32 s9, s10, s11
	s_addc_u32 s4, s12, s13
	s_addc_u32 s9, s9, 0
	s_mul_i32 s11, s10, s11
	s_add_u32 s4, s4, s11
	s_addc_u32 s9, 0, s9
	v_add_co_u32_e32 v1, vcc, s4, v1
	s_cmp_lg_u64 vcc, 0
	s_addc_u32 s9, s10, s9
	s_ashr_i32 s10, s5, 31
	s_add_u32 s4, s8, s10
	s_mov_b32 s11, s10
	s_addc_u32 s5, s5, s10
	s_xor_b64 s[4:5], s[4:5], s[10:11]
	v_readfirstlane_b32 s14, v1
	s_mul_i32 s13, s4, s9
	s_mul_hi_u32 s15, s4, s14
	s_mul_hi_u32 s12, s4, s9
	s_add_u32 s13, s15, s13
	s_addc_u32 s12, 0, s12
	s_mul_hi_u32 s16, s5, s14
	s_mul_i32 s14, s5, s14
	s_add_u32 s13, s13, s14
	s_mul_hi_u32 s15, s5, s9
	s_addc_u32 s12, s12, s16
	s_addc_u32 s13, s15, 0
	s_mul_i32 s9, s5, s9
	s_add_u32 s9, s12, s9
	s_addc_u32 s12, 0, s13
	s_add_u32 s13, s9, 1
	s_addc_u32 s14, s12, 0
	s_add_u32 s15, s9, 2
	s_mul_i32 s17, s55, s12
	s_mul_hi_u32 s18, s55, s9
	s_addc_u32 s16, s12, 0
	s_add_i32 s18, s18, s17
	s_mul_i32 s17, s55, s9
	v_mov_b32_e32 v1, s17
	v_sub_co_u32_e32 v1, vcc, s4, v1
	s_cmp_lg_u64 vcc, 0
	s_subb_u32 s4, s5, s18
	v_subrev_co_u32_e32 v4, vcc, s55, v1
	s_cmp_lg_u64 vcc, 0
	s_subb_u32 s5, s4, 0
	v_readfirstlane_b32 s17, v4
	s_cmp_ge_u32 s17, s55
	s_cselect_b32 s17, -1, 0
	s_cmp_eq_u32 s5, 0
	s_cselect_b32 s5, s17, -1
	s_cmp_lg_u32 s5, 0
	s_cselect_b32 s5, s16, s14
	v_readfirstlane_b32 s14, v1
	s_cselect_b32 s13, s15, s13
	s_cmp_ge_u32 s14, s55
	s_cselect_b32 s14, -1, 0
	s_cmp_eq_u32 s4, 0
	s_cselect_b32 s4, s14, -1
	s_cmp_lg_u32 s4, 0
	s_cselect_b32 s5, s5, s12
	s_cselect_b32 s4, s13, s9
	s_xor_b64 s[4:5], s[4:5], s[10:11]
	s_sub_u32 s90, s4, s10
	s_branch .LBB25_3
.LBB25_2:
	s_mov_b64 s[2:3], -1
                                        ; implicit-def: $sgpr90_sgpr91
.LBB25_3:
	s_load_dwordx2 s[4:5], s[0:1], 0x74
	v_cvt_f32_u32_e32 v1, s55
	s_andn2_b64 vcc, exec, s[2:3]
	s_waitcnt lgkmcnt(0)
	v_writelane_b32 v254, s4, 8
	s_nop 1
	v_writelane_b32 v254, s5, 9
	s_cbranch_vccnz .LBB25_5
; %bb.4:
	v_rcp_iflag_f32_e32 v4, v1
	s_sub_i32 s2, 0, s55
	v_mul_f32_e32 v4, 0x4f7ffffe, v4
	v_cvt_u32_f32_e32 v4, v4
	s_nop 0
	v_readfirstlane_b32 s3, v4
	s_mul_i32 s2, s2, s3
	s_mul_hi_u32 s2, s3, s2
	s_add_i32 s3, s3, s2
	s_mul_hi_u32 s2, s8, s3
	s_mul_i32 s4, s2, s55
	s_sub_i32 s4, s8, s4
	s_add_i32 s3, s2, 1
	s_sub_i32 s5, s4, s55
	s_cmp_ge_u32 s4, s55
	s_cselect_b32 s2, s3, s2
	s_cselect_b32 s4, s5, s4
	s_add_i32 s3, s2, 1
	s_cmp_ge_u32 s4, s55
	s_cselect_b32 s90, s3, s2
.LBB25_5:
	s_add_i32 s2, s72, 1
	s_mul_i32 s3, s7, s2
	s_mul_hi_u32 s4, s6, s2
	s_add_i32 s5, s4, s3
	s_mov_b32 s4, 0
	s_cmp_lg_u64 s[4:5], 0
	s_mul_i32 s4, s6, s2
	s_cbranch_scc0 .LBB25_533
; %bb.6:
	v_fmamk_f32 v2, v3, 0x4f800000, v2
	v_rcp_f32_e32 v2, v2
	s_sub_u32 s6, 0, s55
	s_subb_u32 s7, 0, 0
	v_mul_f32_e32 v2, 0x5f7ffffc, v2
	v_mul_f32_e32 v3, 0x2f800000, v2
	v_trunc_f32_e32 v3, v3
	v_fmamk_f32 v2, v3, 0xcf800000, v2
	v_cvt_u32_f32_e32 v3, v3
	v_cvt_u32_f32_e32 v2, v2
	v_readfirstlane_b32 s8, v3
	v_readfirstlane_b32 s9, v2
	s_mul_hi_u32 s11, s6, s9
	s_mul_i32 s12, s6, s8
	s_mul_i32 s10, s7, s9
	s_add_i32 s11, s11, s12
	s_add_i32 s11, s11, s10
	s_mul_i32 s13, s6, s9
	s_mul_hi_u32 s10, s9, s11
	s_mul_i32 s12, s9, s11
	s_mul_hi_u32 s9, s9, s13
	s_add_u32 s9, s9, s12
	s_addc_u32 s10, 0, s10
	s_mul_hi_u32 s14, s8, s13
	s_mul_i32 s13, s8, s13
	s_add_u32 s9, s9, s13
	s_mul_hi_u32 s12, s8, s11
	s_addc_u32 s9, s10, s14
	s_addc_u32 s10, s12, 0
	s_mul_i32 s11, s8, s11
	s_add_u32 s9, s9, s11
	s_addc_u32 s10, 0, s10
	v_add_co_u32_e32 v2, vcc, s9, v2
	s_cmp_lg_u64 vcc, 0
	s_addc_u32 s8, s8, s10
	v_readfirstlane_b32 s10, v2
	s_mul_i32 s9, s6, s8
	s_mul_hi_u32 s11, s6, s10
	s_add_i32 s9, s11, s9
	s_mul_i32 s7, s7, s10
	s_add_i32 s9, s9, s7
	s_mul_i32 s6, s6, s10
	s_mul_hi_u32 s11, s8, s6
	s_mul_i32 s12, s8, s6
	s_mul_i32 s14, s10, s9
	s_mul_hi_u32 s6, s10, s6
	s_mul_hi_u32 s13, s10, s9
	s_add_u32 s6, s6, s14
	s_addc_u32 s10, 0, s13
	s_add_u32 s6, s6, s12
	s_mul_hi_u32 s7, s8, s9
	s_addc_u32 s6, s10, s11
	s_addc_u32 s7, s7, 0
	s_mul_i32 s9, s8, s9
	s_add_u32 s6, s6, s9
	s_addc_u32 s7, 0, s7
	v_add_co_u32_e32 v2, vcc, s6, v2
	s_cmp_lg_u64 vcc, 0
	s_addc_u32 s10, s8, s7
	s_ashr_i32 s6, s5, 31
	s_add_u32 s8, s4, s6
	s_mov_b32 s7, s6
	s_addc_u32 s9, s5, s6
	s_xor_b64 s[8:9], s[8:9], s[6:7]
	v_readfirstlane_b32 s12, v2
	s_mul_i32 s11, s8, s10
	s_mul_hi_u32 s13, s8, s12
	s_mul_hi_u32 s5, s8, s10
	s_add_u32 s11, s13, s11
	s_addc_u32 s5, 0, s5
	s_mul_hi_u32 s14, s9, s12
	s_mul_i32 s12, s9, s12
	s_add_u32 s11, s11, s12
	s_mul_hi_u32 s13, s9, s10
	s_addc_u32 s5, s5, s14
	s_addc_u32 s11, s13, 0
	s_mul_i32 s10, s9, s10
	s_add_u32 s5, s5, s10
	s_addc_u32 s10, 0, s11
	s_add_u32 s11, s5, 1
	s_addc_u32 s12, s10, 0
	s_add_u32 s13, s5, 2
	s_mul_i32 s15, s55, s10
	s_mul_hi_u32 s16, s55, s5
	s_addc_u32 s14, s10, 0
	s_add_i32 s16, s16, s15
	s_mul_i32 s15, s55, s5
	v_mov_b32_e32 v2, s15
	v_sub_co_u32_e32 v2, vcc, s8, v2
	s_cmp_lg_u64 vcc, 0
	s_subb_u32 s8, s9, s16
	v_subrev_co_u32_e32 v3, vcc, s55, v2
	s_cmp_lg_u64 vcc, 0
	s_subb_u32 s9, s8, 0
	v_readfirstlane_b32 s15, v3
	s_cmp_ge_u32 s15, s55
	s_cselect_b32 s15, -1, 0
	s_cmp_eq_u32 s9, 0
	s_cselect_b32 s9, s15, -1
	s_cmp_lg_u32 s9, 0
	s_cselect_b32 s9, s14, s12
	v_readfirstlane_b32 s12, v2
	s_cselect_b32 s11, s13, s11
	s_cmp_ge_u32 s12, s55
	s_cselect_b32 s12, -1, 0
	s_cmp_eq_u32 s8, 0
	s_cselect_b32 s8, s12, -1
	s_cmp_lg_u32 s8, 0
	s_cselect_b32 s9, s9, s10
	s_cselect_b32 s8, s11, s5
	s_xor_b64 s[8:9], s[8:9], s[6:7]
	s_sub_u32 s6, s8, s6
	v_writelane_b32 v254, s6, 10
	s_nop 1
	v_writelane_b32 v254, s7, 11
	s_load_dwordx2 s[96:97], s[0:1], 0x5c
	s_cbranch_execnz .LBB25_8
.LBB25_7:
	v_rcp_iflag_f32_e32 v1, v1
	s_sub_i32 s2, 0, s55
	v_mul_f32_e32 v1, 0x4f7ffffe, v1
	v_cvt_u32_f32_e32 v1, v1
	s_nop 0
	v_readfirstlane_b32 s3, v1
	s_mul_i32 s2, s2, s3
	s_mul_hi_u32 s2, s3, s2
	s_add_i32 s3, s3, s2
	s_mul_hi_u32 s2, s4, s3
	s_mul_i32 s5, s2, s55
	s_sub_i32 s4, s4, s5
	s_add_i32 s3, s2, 1
	s_sub_i32 s5, s4, s55
	s_cmp_ge_u32 s4, s55
	s_cselect_b32 s2, s3, s2
	s_cselect_b32 s4, s5, s4
	s_add_i32 s3, s2, 1
	s_cmp_ge_u32 s4, s55
	s_cselect_b32 s2, s3, s2
	v_writelane_b32 v254, s2, 10
	s_nop 1
	v_writelane_b32 v254, s3, 11
.LBB25_8:
	s_load_dwordx16 s[56:71], s[0:1], 0x0
	s_load_dwordx4 s[36:39], s[0:1], 0x40
	s_load_dwordx2 s[92:93], s[0:1], 0x50
	s_load_dwordx2 s[2:3], s[0:1], 0x8c
	s_load_dwordx4 s[4:7], s[0:1], 0x98
	s_load_dwordx2 s[8:9], s[0:1], 0xa8
	s_load_dwordx2 s[42:43], s[0:1], 0xb8
	s_nop 0
	s_load_dwordx2 s[0:1], s[0:1], 0xc8
	v_bfe_u32 v116, v0, 10, 10
	s_waitcnt lgkmcnt(0)
	s_ashr_i32 s82, s2, 2
	s_ashr_i32 s76, s6, 2
	v_writelane_b32 v254, s8, 12
	s_ashr_i32 s74, s43, 1
	s_mov_b32 s89, 0
	v_writelane_b32 v254, s9, 13
	v_writelane_b32 v254, s0, 14
	v_lshlrev_b32_e32 v118, 3, v116
	v_add_u32_e32 v125, 4, v116
	v_writelane_b32 v254, s1, 15
	s_ashr_i32 s0, s83, 3
	v_readlane_b32 s8, v254, 1
	s_abs_i32 s73, s8
	v_cvt_f32_u32_e32 v1, s73
	v_writelane_b32 v254, s0, 16
	s_mov_b32 s1, s3
	v_writelane_b32 v254, s0, 17
	v_rcp_iflag_f32_e32 v1, v1
	s_mov_b32 s3, s7
	v_writelane_b32 v254, s1, 18
	s_mov_b64 s[0:1], s[4:5]
	v_mul_f32_e32 v1, 0x4f7ffffe, v1
	v_cvt_u32_f32_e32 v1, v1
	v_writelane_b32 v254, s0, 19
	v_add_u32_e32 v124, 8, v116
	v_add_u32_e32 v123, 12, v116
	v_writelane_b32 v254, s1, 20
	v_writelane_b32 v254, s2, 21
	;; [unrolled: 1-line block ×3, first 2 shown]
	s_sub_i32 s2, 0, s73
	v_readfirstlane_b32 s3, v1
	s_mul_i32 s2, s2, s3
	s_ashr_i32 s1, s8, 31
	s_mul_hi_u32 s2, s3, s2
	v_writelane_b32 v254, s1, 23
	s_abs_i32 s1, s90
	s_add_i32 s2, s3, s2
	v_writelane_b32 v254, s2, 24
	s_mul_hi_u32 s2, s1, s2
	s_mul_i32 s2, s2, s73
	s_sub_i32 s1, s1, s2
	s_ashr_i32 s0, s90, 31
	s_sub_i32 s2, s1, s73
	s_cmp_ge_u32 s1, s73
	s_cselect_b32 s1, s2, s1
	s_sub_i32 s2, s1, s73
	s_cmp_ge_u32 s1, s73
	s_cselect_b32 s1, s2, s1
	s_xor_b32 s1, s1, s0
	s_sub_i32 s44, s1, s0
	v_readlane_b32 s0, v254, 10
	s_mov_b32 s4, s0
	s_sub_i32 s0, s0, s90
	s_add_i32 s2, s0, s44
	s_min_i32 s43, s8, s2
	s_cmp_gt_i32 s4, s90
	v_readlane_b32 s1, v254, 11
	s_cselect_b64 s[26:27], -1, 0
	s_cmp_le_i32 s4, s90
	s_cselect_b64 s[0:1], -1, 0
	s_cmp_gt_i32 s8, s2
	s_cselect_b64 s[2:3], -1, 0
	s_or_b64 s[0:1], s[2:3], s[0:1]
	s_and_b64 vcc, exec, s[0:1]
	s_mov_b64 s[0:1], s[56:57]
	s_mov_b64 s[2:3], s[58:59]
	;; [unrolled: 1-line block ×8, first 2 shown]
	v_writelane_b32 v254, s56, 25
	v_cvt_f16_f32_e32 v1, s36
	v_add_u32_e32 v122, 16, v116
	v_writelane_b32 v254, s57, 26
	v_writelane_b32 v254, s58, 27
	;; [unrolled: 1-line block ×14, first 2 shown]
	v_pack_b32_f16 v39, v1, v1
	v_add_u32_e32 v121, 20, v116
	v_add_u32_e32 v120, 24, v116
	;; [unrolled: 1-line block ×3, first 2 shown]
	v_lshlrev_b32_e32 v117, 4, v116
	v_and_b32_e32 v119, 1, v116
	v_writelane_b32 v254, s71, 40
	s_cbranch_vccz .LBB25_11
; %bb.9:
	s_andn2_b64 vcc, exec, s[26:27]
	s_cbranch_vccz .LBB25_450
.LBB25_10:
	s_endpgm
.LBB25_11:
	v_writelane_b32 v254, s55, 41
	s_mov_b64 s[62:63], s[14:15]
	s_mov_b64 s[54:55], s[6:7]
	s_cmp_lg_u64 s[54:55], 0
	s_mov_b64 s[60:61], s[12:13]
	s_mov_b64 s[58:59], s[10:11]
	s_mov_b64 s[56:57], s[8:9]
	s_mov_b64 s[52:53], s[4:5]
	s_mov_b64 s[50:51], s[2:3]
	s_mov_b64 s[48:49], s[0:1]
	s_cselect_b64 s[0:1], -1, 0
	v_writelane_b32 v254, s0, 42
	s_cmp_eq_u64 s[56:57], 0
	v_and_b32_e32 v38, 0x3ff, v0
	v_writelane_b32 v254, s1, 43
	s_cselect_b64 s[0:1], -1, 0
	v_writelane_b32 v254, s0, 44
	s_cmp_lg_u64 s[58:59], 0
	v_lshrrev_b32_e32 v3, 3, v38
	v_writelane_b32 v254, s1, 45
	s_cselect_b64 s[0:1], -1, 0
	v_writelane_b32 v254, s0, 46
	v_and_b32_e32 v1, 15, v38
	v_and_b32_e32 v3, 30, v3
	v_writelane_b32 v254, s1, 47
	s_add_i32 s1, 0, 0x60
	v_mov_b32_e32 v12, s1
	s_add_i32 s1, 0, 0x80
	v_mul_u32_u24_e32 v2, 0x110, v1
	v_lshlrev_b32_e32 v4, 2, v3
	v_mov_b32_e32 v14, s1
	s_add_i32 s1, 0, 0xa0
	v_add3_u32 v126, 0, v2, v4
	v_lshrrev_b32_e32 v2, 4, v38
	v_lshlrev_b32_e32 v4, 2, v38
	v_mov_b32_e32 v16, s1
	s_add_i32 s1, 0, 0xc0
	v_lshl_add_u32 v127, v116, 2, v2
	v_and_b32_e32 v40, 60, v4
	v_and_b32_e32 v5, 8, v118
	v_mov_b32_e32 v18, s1
	s_add_i32 s1, 0, 0xe0
	v_mul_u32_u24_e32 v2, 0x110, v127
	v_lshlrev_b32_e32 v4, 2, v40
	s_movk_i32 s0, 0x220
	v_mul_u32_u24_e32 v6, 0x220, v5
	v_mov_b32_e32 v20, s1
	v_add3_u32 v128, 0, v2, v4
	v_lshrrev_b32_e32 v2, 2, v38
	v_mad_u32_u24 v7, v5, s0, 0
	v_add3_u32 v9, 0, 32, v6
	v_add3_u32 v6, 0, 64, v6
	v_mad_u32_u24 v12, v5, s0, v12
	v_mad_u32_u24 v14, v5, s0, v14
	;; [unrolled: 1-line block ×5, first 2 shown]
	v_and_b32_e32 v4, 60, v2
	v_lshlrev_b32_e32 v8, 1, v1
	v_add_u32_e32 v10, 0x2200, v9
	v_add_u32_e32 v11, 0x2200, v6
	;; [unrolled: 1-line block ×15, first 2 shown]
	v_mul_u32_u24_e32 v8, 0x88, v4
	v_or_b32_e32 v21, v8, v1
	v_lshlrev_b32_e32 v21, 1, v21
	v_lshrrev_b32_e32 v152, 1, v116
	v_add_u32_e32 v150, v5, v21
	v_or_b32_e32 v5, v117, v1
	s_movk_i32 s22, 0x44
	v_add_u32_e32 v153, 2, v152
	v_add_u32_e32 v140, v6, v21
	v_mad_u32_u24 v3, v5, s22, v3
	v_lshlrev_b32_e32 v5, 1, v153
	v_and_b32_e32 v6, 15, v153
	s_movk_i32 s23, 0x1e0
	v_add_u32_e32 v154, 4, v152
	v_add_u32_e32 v137, v7, v21
	v_and_or_b32 v6, v5, s23, v6
	v_lshlrev_b32_e32 v5, 1, v154
	v_and_b32_e32 v7, 15, v154
	v_add_u32_e32 v155, 6, v152
	v_add_u32_e32 v138, v9, v21
	v_and_or_b32 v7, v5, s23, v7
	v_lshlrev_b32_e32 v5, 1, v155
	v_and_b32_e32 v9, 15, v155
	v_add_u32_e32 v156, 8, v152
	s_lshl_b32 s88, s72, 5
	v_add_u32_e32 v139, v10, v21
	v_and_or_b32 v9, v5, s23, v9
	v_lshlrev_b32_e32 v5, 1, v156
	v_and_b32_e32 v10, 15, v156
	v_add_u32_e32 v157, 10, v152
	s_ashr_i32 s75, s74, 31
	s_ashr_i32 s83, s82, 31
	;; [unrolled: 1-line block ×3, first 2 shown]
	s_lshl_b32 s10, s82, 4
	s_lshl_b32 s11, s76, 4
	v_writelane_b32 v254, s72, 48
	s_lshl_b64 s[0:1], s[88:89], 3
	v_add_u32_e32 v141, v11, v21
	v_add_u32_e32 v142, v12, v21
	v_and_or_b32 v10, v5, s23, v10
	v_lshlrev_b32_e32 v5, 1, v157
	v_and_b32_e32 v11, 15, v157
	v_add_u32_e32 v12, 12, v152
	s_add_u32 s2, s62, s0
	v_readlane_b32 s34, v254, 7
	v_add_u32_e32 v143, v13, v21
	v_and_or_b32 v11, v5, s23, v11
	v_lshlrev_b32_e32 v5, 1, v12
	v_and_b32_e32 v12, 15, v12
	v_add_u32_e32 v13, 14, v152
	s_addc_u32 s3, s63, s1
	s_abs_i32 s35, s34
	v_add_u32_e32 v144, v14, v21
	v_add_u32_e32 v151, v20, v21
	v_and_or_b32 v12, v5, s23, v12
	v_lshlrev_b32_e32 v5, 1, v13
	v_and_b32_e32 v13, 15, v13
	v_add_u32_e32 v14, 18, v152
	v_cvt_f32_u32_e32 v20, s35
	v_add_u32_e32 v145, v15, v21
	v_and_or_b32 v13, v5, s23, v13
	v_lshlrev_b32_e32 v5, 1, v14
	v_and_b32_e32 v14, 15, v14
	v_add_u32_e32 v15, 20, v152
	v_add_u32_e32 v146, v16, v21
	v_and_or_b32 v14, v5, s23, v14
	v_lshlrev_b32_e32 v5, 1, v15
	v_and_b32_e32 v15, 15, v15
	v_add_u32_e32 v16, 22, v152
	v_readlane_b32 s33, v254, 6
	v_add_u32_e32 v147, v17, v21
	v_and_or_b32 v15, v5, s23, v15
	v_lshlrev_b32_e32 v5, 1, v16
	v_and_b32_e32 v16, 15, v16
	v_add_u32_e32 v17, 24, v152
	s_abs_i32 s36, s33
	v_add_u32_e32 v148, v18, v21
	v_add_u32_e32 v149, v19, v21
	v_and_or_b32 v16, v5, s23, v16
	v_lshlrev_b32_e32 v5, 1, v17
	v_and_b32_e32 v17, 15, v17
	v_add_u32_e32 v18, 26, v152
	v_rcp_iflag_f32_e32 v20, v20
	v_cvt_f32_u32_e32 v21, s36
	v_and_or_b32 v17, v5, s23, v17
	v_lshlrev_b32_e32 v5, 1, v18
	v_and_b32_e32 v18, 15, v18
	v_add_u32_e32 v19, 28, v152
	v_and_or_b32 v18, v5, s23, v18
	v_lshlrev_b32_e32 v5, 1, v19
	v_and_b32_e32 v19, 15, v19
	v_add_u32_e32 v22, 30, v152
	v_and_or_b32 v19, v5, s23, v19
	v_lshlrev_b32_e32 v5, 1, v22
	v_and_b32_e32 v22, 15, v22
	v_and_or_b32 v22, v5, s23, v22
	v_mul_f32_e32 v5, 0x4f7ffffe, v20
	v_rcp_iflag_f32_e32 v20, v21
	v_cvt_u32_f32_e32 v5, v5
	v_or_b32_e32 v2, 3, v2
	v_mul_u32_u24_e32 v177, 0x110, v2
	v_mul_f32_e32 v20, 0x4f7ffffe, v20
	v_cvt_u32_f32_e32 v20, v20
	v_lshlrev_b32_e32 v2, 1, v8
	v_add_u32_e32 v178, 0x2200, v129
	v_add_u32_e32 v179, 32, v129
	;; [unrolled: 1-line block ×18, first 2 shown]
	v_readfirstlane_b32 s24, v5
	v_mul_u32_u24_e32 v5, 0x90, v116
	v_lshlrev_b32_e32 v42, 1, v38
	v_mul_u32_u24_e32 v195, 0x110, v2
	v_and_b32_e32 v2, 31, v38
	v_readfirstlane_b32 s25, v20
	s_movk_i32 s12, 0x110
	v_add3_u32 v167, 0, v5, v42
	v_and_b32_e32 v5, 0x7f0, v118
	v_and_b32_e32 v20, 16, v117
	v_add_u32_e32 v2, v117, v2
	s_movk_i32 s13, 0x90
	v_mad_u32_u24 v168, v5, s12, v126
	v_or_b32_e32 v5, v5, v1
	v_mul_u32_u24_e32 v169, 0x110, v20
	v_add_u32_e32 v170, v20, v4
	v_add_u16_e32 v20, v20, v4
	v_mul_u32_u24_e32 v196, 0x110, v2
	v_or_b32_e32 v2, v118, v38
	v_mad_u32_u24 v5, v5, s13, 0
	v_lshrrev_b16_e32 v20, 1, v20
	v_add_u32_e32 v172, 32, v170
	v_add_u32_e32 v174, 34, v170
	v_mul_u32_u24_e32 v176, 0x110, v4
	v_lshlrev_b32_e32 v4, 3, v2
	v_mov_b32_e32 v2, 0
	v_lshl_add_u32 v171, v20, 2, v5
	v_lshl_add_u32 v173, v172, 1, v5
	;; [unrolled: 1-line block ×3, first 2 shown]
	v_mov_b32_e32 v5, v2
	v_lshl_add_u64 v[60:61], s[2:3], 0, v[4:5]
	v_lshl_add_u32 v197, v3, 2, 0
	v_mad_u32_u24 v3, v116, s22, v38
	v_add_u32_e32 v4, 16, v152
	s_movk_i32 s30, 0xe0
	v_lshl_add_u32 v198, v3, 2, 0
	v_bfe_u32 v3, v116, 1, 4
	v_lshlrev_b32_e32 v4, 1, v4
	v_and_or_b32 v4, v4, s23, v3
	v_and_or_b32 v3, v116, s30, v3
	s_mov_b32 s0, s42
	v_mul_u32_u24_e32 v200, 0x110, v3
	v_mad_u32_u24 v3, v3, s22, v38
	v_readlane_b32 s31, v254, 3
	v_writelane_b32 v254, s0, 49
	v_lshl_add_u32 v201, v3, 2, 0
	v_mad_u32_u24 v3, v6, s22, v38
	v_writelane_b32 v254, s1, 50
	s_mul_i32 s0, s80, s81
	v_lshl_add_u32 v203, v3, 2, 0
	v_mad_u32_u24 v3, v7, s22, v38
	v_writelane_b32 v254, s0, 51
	s_mov_b64 s[6:7], s[38:39]
	s_mov_b32 s5, s37
	v_lshl_add_u32 v205, v3, 2, 0
	v_mul_u32_u24_e32 v3, 0x110, v9
	v_writelane_b32 v254, s4, 52
	scratch_store_dword off, v3, off offset:16 ; 4-byte Folded Spill
	v_mad_u32_u24 v3, v9, s22, v38
	v_writelane_b32 v254, s5, 53
	v_lshl_add_u32 v3, v3, 2, 0
	v_writelane_b32 v254, s6, 54
	scratch_store_dword off, v3, off offset:20 ; 4-byte Folded Spill
	v_mul_u32_u24_e32 v3, 0x110, v10
	s_abs_i32 s40, s31
	v_writelane_b32 v254, s7, 55
	v_cmp_nle_f32_e64 s[0:1], s37, 0
	scratch_store_dword off, v3, off offset:24 ; 4-byte Folded Spill
	v_mad_u32_u24 v3, v10, s22, v38
	v_cvt_f32_u32_e32 v21, s40
	v_writelane_b32 v254, s0, 56
	v_lshl_add_u32 v3, v3, 2, 0
	s_lshl_b32 s2, s81, 6
	v_writelane_b32 v254, s1, 57
	scratch_store_dword off, v3, off offset:28 ; 4-byte Folded Spill
	v_mul_u32_u24_e32 v3, 0x110, v11
	v_writelane_b32 v254, s2, 58
	scratch_store_dword off, v3, off offset:32 ; 4-byte Folded Spill
	v_mad_u32_u24 v3, v11, s22, v38
	s_ashr_i32 s2, s34, 31
	s_abs_i32 s41, s42
	v_lshl_add_u32 v3, v3, 2, 0
	v_writelane_b32 v254, s2, 59
	s_sub_i32 s2, 0, s35
	v_cvt_f32_u32_e32 v23, s41
	v_rcp_iflag_f32_e32 v21, v21
	scratch_store_dword off, v3, off offset:36 ; 4-byte Folded Spill
	v_mul_u32_u24_e32 v3, 0x110, v12
	s_mul_i32 s2, s2, s24
	scratch_store_dword off, v3, off offset:40 ; 4-byte Folded Spill
	v_mad_u32_u24 v3, v12, s22, v38
	s_mul_hi_u32 s2, s24, s2
	v_lshl_add_u32 v3, v3, 2, 0
	v_writelane_b32 v254, s35, 60
	s_add_i32 s2, s24, s2
	scratch_store_dword off, v3, off offset:44 ; 4-byte Folded Spill
	v_mul_u32_u24_e32 v3, 0x110, v13
	v_writelane_b32 v254, s2, 61
	s_ashr_i32 s2, s33, 31
	v_rcp_iflag_f32_e32 v23, v23
	v_mul_f32_e32 v21, 0x4f7ffffe, v21
	scratch_store_dword off, v3, off offset:48 ; 4-byte Folded Spill
	v_mad_u32_u24 v3, v13, s22, v38
	v_writelane_b32 v254, s2, 62
	s_sub_i32 s2, 0, s36
	v_cvt_u32_f32_e32 v21, v21
	v_lshl_add_u32 v3, v3, 2, 0
	s_mul_i32 s2, s2, s25
	scratch_store_dword off, v3, off offset:52 ; 4-byte Folded Spill
	v_mul_u32_u24_e32 v3, 0x110, v4
	s_mul_hi_u32 s2, s25, s2
	scratch_store_dword off, v3, off offset:56 ; 4-byte Folded Spill
	v_mad_u32_u24 v3, v4, s22, v38
	s_add_i32 s2, s25, s2
                                        ; implicit-def: $vgpr255 : SGPR spill to VGPR lane
	v_mul_f32_e32 v23, 0x4f7ffffe, v23
	v_lshl_add_u32 v3, v3, 2, 0
	v_writelane_b32 v255, s2, 0
	s_ashr_i32 s2, s31, 31
	v_cvt_u32_f32_e32 v23, v23
	v_readfirstlane_b32 s26, v21
	scratch_store_dword off, v3, off offset:60 ; 4-byte Folded Spill
	v_mul_u32_u24_e32 v3, 0x110, v14
	v_writelane_b32 v255, s2, 1
	s_sub_i32 s2, 0, s40
	scratch_store_dword off, v3, off offset:64 ; 4-byte Folded Spill
	v_mad_u32_u24 v3, v14, s22, v38
	s_mul_i32 s2, s2, s26
	v_lshl_add_u32 v3, v3, 2, 0
	s_mul_hi_u32 s2, s26, s2
	scratch_store_dword off, v3, off offset:68 ; 4-byte Folded Spill
	v_mul_u32_u24_e32 v3, 0x110, v15
	v_writelane_b32 v255, s40, 2
	s_add_i32 s2, s26, s2
	v_readfirstlane_b32 s27, v23
	scratch_store_dword off, v3, off offset:72 ; 4-byte Folded Spill
	v_mad_u32_u24 v3, v15, s22, v38
	v_writelane_b32 v255, s2, 3
	s_sub_i32 s2, 0, s41
	v_lshl_add_u32 v3, v3, 2, 0
	s_mul_i32 s2, s2, s27
	scratch_store_dword off, v3, off offset:76 ; 4-byte Folded Spill
	v_mul_u32_u24_e32 v3, 0x110, v16
	s_mul_hi_u32 s2, s27, s2
	scratch_store_dword off, v3, off offset:80 ; 4-byte Folded Spill
	v_mad_u32_u24 v3, v16, s22, v38
	v_writelane_b32 v255, s41, 4
	s_add_i32 s2, s27, s2
	v_lshl_add_u32 v3, v3, 2, 0
	v_writelane_b32 v255, s2, 5
	v_cmp_eq_u32_e64 s[2:3], 0, v119
	scratch_store_dword off, v3, off offset:84 ; 4-byte Folded Spill
	v_mul_u32_u24_e32 v3, 0x110, v17
	v_writelane_b32 v255, s2, 6
	scratch_store_dword off, v3, off offset:88 ; 4-byte Folded Spill
	v_mad_u32_u24 v3, v17, s22, v38
	v_writelane_b32 v255, s3, 7
	v_cmp_eq_u32_e64 s[2:3], 1, v119
	v_lshl_add_u32 v3, v3, 2, 0
	scratch_store_dword off, v3, off offset:92 ; 4-byte Folded Spill
	v_writelane_b32 v255, s2, 8
	v_mul_u32_u24_e32 v3, 0x110, v18
	scratch_store_dword off, v3, off offset:96 ; 4-byte Folded Spill
	v_writelane_b32 v255, s3, 9
	v_cmp_gt_u32_e64 s[2:3], 16, v38
	v_mad_u32_u24 v3, v18, s22, v38
	v_lshl_add_u32 v3, v3, 2, 0
	v_writelane_b32 v255, s2, 10
	v_mul_lo_u32 v44, s82, v127
	v_mul_lo_u32 v52, s76, v127
	v_writelane_b32 v255, s3, 11
	v_cmp_gt_u32_e64 s[2:3], 32, v38
	scratch_store_dword off, v3, off offset:100 ; 4-byte Folded Spill
	v_mul_u32_u24_e32 v3, 0x110, v19
	v_writelane_b32 v255, s2, 12
	v_add_u32_e32 v46, s10, v44
	v_add_u32_e32 v54, s11, v52
	scratch_store_dword off, v3, off offset:104 ; 4-byte Folded Spill
	v_mad_u32_u24 v3, v19, s22, v38
	v_writelane_b32 v255, s3, 13
	s_mov_b32 s2, s74
	v_add_u32_e32 v48, s10, v46
	v_add_u32_e32 v56, s11, v54
	v_lshl_add_u32 v3, v3, 2, 0
	v_writelane_b32 v255, s2, 14
	v_add_u32_e32 v50, s10, v48
	v_add_u32_e32 v58, s11, v56
	scratch_store_dword off, v3, off offset:108 ; 4-byte Folded Spill
	v_mul_u32_u24_e32 v3, 0x110, v22
	v_lshlrev_b32_e32 v62, 4, v1
                                        ; implicit-def: $vgpr1
                                        ; implicit-def: $vgpr1
	;; [unrolled: 1-line block ×4, first 2 shown]
	v_writelane_b32 v255, s3, 15
	s_lshl_b64 s[2:3], s[74:75], 1
	s_mov_b64 s[28:29], src_private_base
	v_ashrrev_i32_e32 v45, 31, v44
	v_ashrrev_i32_e32 v47, 31, v46
	;; [unrolled: 1-line block ×8, first 2 shown]
	scratch_store_dword off, v3, off offset:112 ; 4-byte Folded Spill
	v_mad_u32_u24 v3, v22, s22, v38
	v_mbcnt_lo_u32_b32 v1, -1, 0
	v_writelane_b32 v255, s2, 16
	v_cmp_lt_u32_e64 s[0:1], 63, v38
	s_mov_b32 s28, 0
	v_cmp_gt_u32_e64 s[78:79], 64, v127
	v_cmp_gt_u32_e64 s[4:5], 48, v127
	;; [unrolled: 1-line block ×10, first 2 shown]
	v_mul_u32_u24_e32 v202, 0x110, v6
	v_mul_u32_u24_e32 v204, 0x110, v7
	v_lshl_add_u32 v3, v3, 2, 0
	v_writelane_b32 v254, s36, 63
	v_mov_b32_e32 v63, v2
	v_mov_b32_e32 v43, v2
	s_mov_b32 s67, 0x42b17218
	s_mov_b32 s66, 0x3fb8aa3b
	;; [unrolled: 1-line block ×3, first 2 shown]
	s_brev_b32 s81, -2
	s_mov_b32 s70, 0x3f200000
	s_mov_b32 s71, 0xc1a00000
	;; [unrolled: 1-line block ×3, first 2 shown]
	v_mbcnt_hi_u32_b32 v232, -1, v1
	v_add_u32_e32 v233, 0x240, v167
	v_add_u32_e32 v234, 0x480, v167
	;; [unrolled: 1-line block ×13, first 2 shown]
	v_or_b32_e32 v246, 1, v170
	v_or_b32_e32 v247, 2, v170
	v_or_b32_e32 v248, 3, v170
	v_add_u32_e32 v249, 33, v170
	v_add_u32_e32 v250, 35, v170
	v_mov_b32_e32 v251, 0x3e91f4c4
	v_mov_b32_e32 v252, 0x3ca908c9
	;; [unrolled: 1-line block ×5, first 2 shown]
	v_lshl_add_u64 v[64:65], v[52:53], 2, s[52:53]
	v_lshl_add_u64 v[66:67], v[54:55], 2, s[52:53]
	;; [unrolled: 1-line block ×8, first 2 shown]
	v_cmp_gt_u32_e64 s[22:23], 30, v170
	v_cmp_gt_u32_e64 s[24:25], 29, v170
	s_lshl_b64 s[34:35], s[76:77], 8
	s_lshl_b64 s[30:31], s[82:83], 8
	v_writelane_b32 v255, s3, 17
	s_mov_b64 s[2:3], 0x80
	scratch_store_dword off, v3, off offset:116 ; 4-byte Folded Spill
	s_branch .LBB25_14
.LBB25_12:                              ;   in Loop: Header=BB25_14 Depth=1
	s_or_b64 exec, exec, s[26:27]
	s_barrier
.LBB25_13:                              ;   in Loop: Header=BB25_14 Depth=1
	v_readlane_b32 s38, v254, 1
	s_add_i32 s26, s90, s38
	s_abs_i32 s36, s26
	v_readlane_b32 s37, v254, 24
	s_mul_hi_u32 s37, s36, s37
	s_mul_i32 s37, s37, s73
	s_sub_i32 s36, s36, s37
	s_ashr_i32 s27, s26, 31
	s_sub_i32 s37, s36, s73
	s_cmp_ge_u32 s36, s73
	s_cselect_b32 s36, s37, s36
	s_sub_i32 s37, s36, s73
	s_cmp_ge_u32 s36, s73
	s_cselect_b32 s36, s37, s36
	s_xor_b32 s36, s36, s27
	s_sub_i32 s27, s27, s36
	s_add_i32 s90, s26, s27
	v_readlane_b32 s26, v254, 10
	s_sub_i32 s36, s26, s90
	s_min_i32 s43, s38, s36
	v_readlane_b32 s27, v254, 11
	s_cmp_gt_i32 s26, s90
	s_cselect_b64 s[26:27], -1, 0
	s_cmp_le_i32 s38, s36
	s_cselect_b64 s[36:37], -1, 0
	s_and_b64 s[36:37], s[36:37], s[26:27]
	s_mov_b32 s44, 0
	s_and_b64 vcc, exec, s[36:37]
	s_cbranch_vccz .LBB25_449
.LBB25_14:                              ; =>This Loop Header: Depth=1
                                        ;     Child Loop BB25_275 Depth 2
                                        ;     Child Loop BB25_60 Depth 2
	s_ashr_i32 s26, s90, 31
	v_readlane_b32 s27, v254, 59
	s_xor_b32 s26, s26, s27
	s_abs_i32 s27, s90
	v_readlane_b32 s36, v254, 61
	s_mul_hi_u32 s36, s27, s36
	v_readlane_b32 s39, v254, 60
	s_mul_i32 s37, s36, s39
	s_sub_i32 s27, s27, s37
	s_add_i32 s37, s36, 1
	s_sub_i32 s38, s27, s39
	s_cmp_ge_u32 s27, s39
	s_cselect_b32 s36, s37, s36
	s_cselect_b32 s27, s38, s27
	s_add_i32 s37, s36, 1
	s_cmp_ge_u32 s27, s39
	s_cselect_b32 s27, s37, s36
	s_xor_b32 s27, s27, s26
	s_sub_i32 s45, s27, s26
	v_readlane_b32 s26, v254, 42
	v_readlane_b32 s27, v254, 43
	s_ashr_i32 s46, s45, 31
	s_andn2_b64 vcc, exec, s[26:27]
	s_mov_b64 s[86:87], 0
	s_cbranch_vccnz .LBB25_16
; %bb.15:                               ;   in Loop: Header=BB25_14 Depth=1
	s_abs_i32 s26, s45
	v_readlane_b32 s27, v255, 5
	s_mul_hi_u32 s27, s26, s27
	v_readlane_b32 s36, v255, 4
	s_mul_i32 s27, s27, s36
	s_sub_i32 s26, s26, s27
	s_sub_i32 s27, s26, s36
	s_cmp_ge_u32 s26, s36
	s_cselect_b32 s26, s27, s26
	s_sub_i32 s27, s26, s36
	s_cmp_ge_u32 s26, s36
	s_cselect_b32 s26, s27, s26
	s_xor_b32 s26, s26, s46
	v_readlane_b32 s38, v254, 14
	s_sub_i32 s26, s26, s46
	v_readlane_b32 s39, v254, 15
	s_ashr_i32 s27, s26, 31
	s_mul_i32 s36, s26, s39
	s_mul_hi_u32 s37, s26, s38
	s_add_i32 s36, s37, s36
	s_mul_i32 s27, s27, s38
	v_readlane_b32 s48, v254, 25
	s_add_i32 s36, s36, s27
	s_mul_i32 s26, s26, s38
	v_readlane_b32 s54, v254, 31
	v_readlane_b32 s55, v254, 32
	s_add_u32 s86, s54, s26
	s_addc_u32 s87, s55, s36
	v_readlane_b32 s49, v254, 26
	v_readlane_b32 s50, v254, 27
	;; [unrolled: 1-line block ×13, first 2 shown]
.LBB25_16:                              ;   in Loop: Header=BB25_14 Depth=1
	v_readlane_b32 s26, v254, 7
	s_mul_i32 s26, s45, s26
	s_sub_i32 s26, s90, s26
	s_ashr_i32 s27, s26, 31
	v_readlane_b32 s36, v254, 62
	s_xor_b32 s27, s27, s36
	s_abs_i32 s36, s26
	v_readlane_b32 s37, v255, 0
	s_mul_hi_u32 s37, s36, s37
	v_readlane_b32 s40, v254, 63
	s_mul_i32 s38, s37, s40
	s_sub_i32 s36, s36, s38
	s_add_i32 s38, s37, 1
	s_sub_i32 s39, s36, s40
	s_cmp_ge_u32 s36, s40
	s_cselect_b32 s37, s38, s37
	s_cselect_b32 s36, s39, s36
	s_add_i32 s38, s37, 1
	s_cmp_ge_u32 s36, s40
	s_cselect_b32 s36, s38, s37
	s_xor_b32 s36, s36, s27
	s_sub_i32 s47, s36, s27
	v_readlane_b32 s27, v254, 6
	s_mul_i32 s27, s47, s27
	s_sub_i32 s26, s26, s27
	s_ashr_i32 s27, s26, 31
	v_readlane_b32 s36, v255, 1
	s_xor_b32 s27, s27, s36
	s_abs_i32 s36, s26
	v_readlane_b32 s37, v255, 3
	s_mul_hi_u32 s37, s36, s37
	v_readlane_b32 s40, v255, 2
	s_mul_i32 s38, s37, s40
	s_sub_i32 s36, s36, s38
	s_add_i32 s38, s37, 1
	s_sub_i32 s39, s36, s40
	s_cmp_ge_u32 s36, s40
	s_cselect_b32 s37, s38, s37
	s_cselect_b32 s36, s39, s36
	s_add_i32 s38, s37, 1
	s_cmp_ge_u32 s36, s40
	s_cselect_b32 s36, s38, s37
	s_xor_b32 s36, s36, s27
	s_sub_i32 s27, s36, s27
	v_readlane_b32 s36, v254, 2
	s_mul_i32 s36, s47, s36
	s_add_i32 s42, s36, s27
	v_readlane_b32 s36, v254, 56
	v_readlane_b32 s37, v254, 57
	s_andn2_b64 vcc, exec, s[36:37]
	v_mov_b32_e32 v80, 1.0
	s_cbranch_vccnz .LBB25_18
; %bb.17:                               ;   in Loop: Header=BB25_14 Depth=1
	s_sub_i32 s36, s42, s92
	s_lshl_b32 s36, s36, 1
	s_add_i32 s38, s42, 1
	s_or_b32 s39, s36, 1
	s_cmp_lt_u32 s42, s92
	v_readlane_b32 s48, v254, 52
	s_cselect_b64 vcc, -1, 0
	v_readlane_b32 s50, v254, 54
	v_readlane_b32 s51, v254, 55
	s_and_b64 s[36:37], vcc, exec
	v_mov_b32_e32 v3, s50
	v_mov_b32_e32 v1, s51
	s_cselect_b32 s36, s38, s39
	v_cndmask_b32_e32 v3, v1, v3, vcc
	v_cvt_f32_i32_e32 v1, s36
	v_cmp_neq_f32_e32 vcc, 1.0, v3
	s_mov_b32 s36, 0x3f2aaaab
	s_movk_i32 s38, 0x204
	v_cndmask_b32_e32 v20, 1.0, v1, vcc
	v_cmp_eq_f32_e32 vcc, 0, v20
	s_mov_b32 s39, 0x7f800000
	v_cmp_gt_f32_e64 s[40:41], 0, v20
	v_cndmask_b32_e64 v21, |v3|, 1.0, vcc
	v_frexp_mant_f32_e32 v1, v21
	v_cmp_gt_f32_e64 s[36:37], s36, v1
	v_cndmask_b32_e64 v3, v3, 1.0, vcc
	v_readlane_b32 s49, v254, 53
	v_cndmask_b32_e64 v4, 1.0, 2.0, s[36:37]
	v_mul_f32_e32 v1, v1, v4
	v_add_f32_e32 v4, 1.0, v1
	v_rcp_f32_e32 v12, v4
	v_add_f32_e32 v5, -1.0, v4
	v_sub_f32_e32 v7, v1, v5
	v_add_f32_e32 v5, -1.0, v1
	v_mul_f32_e32 v1, v5, v12
	v_mul_f32_e32 v6, v4, v1
	v_fma_f32 v8, v1, v4, -v6
	v_fmac_f32_e32 v8, v1, v7
	v_add_f32_e32 v4, v6, v8
	v_sub_f32_e32 v7, v5, v4
	v_pk_add_f32 v[10:11], v[4:5], v[6:7] neg_lo:[0,1] neg_hi:[0,1]
	v_mov_b32_e32 v9, v4
	v_pk_add_f32 v[4:5], v[10:11], v[8:9] neg_lo:[0,1] neg_hi:[0,1]
	s_nop 0
	v_add_f32_e32 v4, v4, v5
	v_add_f32_e32 v4, v7, v4
	v_mul_f32_e32 v5, v12, v4
	v_add_f32_e32 v4, v1, v5
	v_sub_f32_e32 v1, v4, v1
	v_sub_f32_e32 v1, v5, v1
	v_mul_f32_e32 v5, v4, v4
	v_fma_f32 v7, v4, v4, -v5
	v_add_f32_e32 v6, v1, v1
	v_fmac_f32_e32 v7, v4, v6
	v_add_f32_e32 v6, v5, v7
	v_fmamk_f32 v8, v6, 0x3e76c4e1, v251
	v_fmaak_f32 v8, v6, v8, 0x3ecccdef
	v_sub_f32_e32 v5, v6, v5
	v_sub_f32_e32 v14, v7, v5
	v_mul_f32_e32 v5, v6, v8
	v_fma_f32 v7, v6, v8, -v5
	v_fmac_f32_e32 v7, v14, v8
	v_add_f32_e32 v8, v5, v7
	v_add_f32_e32 v9, 0x3f2aaaaa, v8
	v_sub_f32_e32 v5, v8, v5
	v_sub_f32_e32 v5, v7, v5
	v_add_f32_e32 v7, 0xbf2aaaaa, v9
	v_add_f32_e32 v5, 0x31739010, v5
	v_sub_f32_e32 v7, v8, v7
	v_pk_mul_f32 v[10:11], v[4:5], v[6:7]
	v_pk_add_f32 v[12:13], v[4:5], v[6:7]
	v_fma_f32 v8, v6, v4, -v10
	v_fmac_f32_e32 v8, v6, v1
	v_mov_b32_e32 v11, v13
	v_fmac_f32_e32 v8, v14, v4
	v_pk_add_f32 v[6:7], v[10:11], v[8:9]
	v_ldexp_f32 v1, v1, 1
	v_sub_f32_e32 v5, v6, v10
	v_sub_f32_e32 v5, v8, v5
	;; [unrolled: 1-line block ×3, first 2 shown]
	v_add_f32_e32 v12, v13, v8
	v_mov_b32_e32 v8, v7
	v_pk_mul_f32 v[8:9], v[6:7], v[8:9]
	v_cvt_f64_f32_e32 v[10:11], v21
	v_frexp_exp_i32_f64_e32 v9, v[10:11]
	v_subbrev_co_u32_e64 v9, s[36:37], 0, v9, s[36:37]
	v_cvt_f32_i32_e32 v9, v9
	v_fma_f32 v10, v6, v7, -v8
	v_fmac_f32_e32 v10, v6, v12
	s_mov_b32 s36, 0x3f317218
	v_mul_f32_e32 v6, 0x3f317218, v9
	v_fmac_f32_e32 v10, v5, v7
	v_fma_f32 v12, v9, s36, -v6
	v_fmac_f32_e32 v12, 0xb102e308, v9
	v_ldexp_f32 v13, v4, 1
	v_add_f32_e32 v7, v8, v10
	v_pk_add_f32 v[4:5], v[6:7], v[12:13]
	v_mov_b32_e32 v14, v7
	v_mov_b32_e32 v15, v5
	;; [unrolled: 1-line block ×3, first 2 shown]
	v_pk_add_f32 v[8:9], v[14:15], v[8:9] neg_lo:[0,1] neg_hi:[0,1]
	v_mov_b32_e32 v11, v7
	v_pk_add_f32 v[8:9], v[10:11], v[8:9] neg_lo:[0,1] neg_hi:[0,1]
	v_mov_b32_e32 v13, v4
	v_add_f32_e32 v1, v1, v8
	v_add_f32_e32 v7, v1, v9
	v_pk_add_f32 v[8:9], v[4:5], v[6:7] neg_lo:[0,1] neg_hi:[0,1]
	v_pk_add_f32 v[10:11], v[4:5], v[6:7]
	v_mov_b32_e32 v14, v8
	v_mov_b32_e32 v15, v11
	v_pk_add_f32 v[14:15], v[12:13], v[14:15]
	v_pk_add_f32 v[8:9], v[12:13], v[8:9] neg_lo:[0,1] neg_hi:[0,1]
	v_mov_b32_e32 v6, v15
	v_pk_add_f32 v[16:17], v[6:7], v[4:5] neg_lo:[0,1] neg_hi:[0,1]
	v_mov_b32_e32 v14, v11
	v_mov_b32_e32 v1, v16
	;; [unrolled: 1-line block ×4, first 2 shown]
	v_pk_add_f32 v[18:19], v[10:11], v[0:1] neg_lo:[0,1] neg_hi:[0,1]
	v_pk_add_f32 v[4:5], v[14:15], v[4:5] neg_lo:[0,1] neg_hi:[0,1]
	v_mov_b32_e32 v12, v7
	v_pk_add_f32 v[4:5], v[12:13], v[4:5] neg_lo:[0,1] neg_hi:[0,1]
	v_mov_b32_e32 v18, v8
	v_pk_add_f32 v[10:11], v[18:19], v[4:5]
	v_mov_b32_e32 v9, v15
	v_mov_b32_e32 v12, v11
	v_pk_add_f32 v[12:13], v[10:11], v[12:13]
	s_nop 0
	v_pk_add_f32 v[6:7], v[6:7], v[12:13]
	v_mov_b32_e32 v5, v12
	v_mov_b32_e32 v11, v6
	v_pk_add_f32 v[14:15], v[10:11], v[8:9] neg_lo:[0,1] neg_hi:[0,1]
	s_nop 0
	v_sub_f32_e32 v1, v10, v14
	v_pk_add_f32 v[4:5], v[4:5], v[14:15] neg_lo:[0,1] neg_hi:[0,1]
	v_sub_f32_e32 v1, v8, v1
	v_add_f32_e32 v1, v4, v1
	v_add_f32_e32 v1, v1, v5
	v_add_f32_e32 v4, v6, v1
	v_sub_f32_e32 v5, v4, v6
	v_sub_f32_e32 v1, v1, v5
	v_mul_f32_e32 v5, v20, v4
	v_fma_f32 v4, v20, v4, -v5
	v_fmac_f32_e32 v4, v20, v1
	v_add_f32_e32 v1, v5, v4
	v_cmp_class_f32_e64 s[36:37], v5, s38
	v_sub_f32_e32 v6, v1, v5
	v_sub_f32_e32 v4, v4, v6
	v_cndmask_b32_e64 v1, v1, v5, s[36:37]
	v_cmp_eq_f32_e64 s[36:37], s67, v1
	s_nop 1
	v_cndmask_b32_e64 v5, 0, v253, s[36:37]
	v_sub_f32_e32 v6, v1, v5
	v_mul_f32_e32 v7, 0x3fb8aa3b, v6
	v_fma_f32 v8, v6, s66, -v7
	v_rndne_f32_e32 v9, v7
	v_fmac_f32_e32 v8, 0x32a5705f, v6
	v_sub_f32_e32 v7, v7, v9
	v_add_f32_e32 v7, v7, v8
	v_exp_f32_e32 v7, v7
	v_cvt_i32_f32_e32 v8, v9
	v_cmp_neq_f32_e64 s[36:37], |v1|, s39
	s_nop 1
	v_cndmask_b32_e64 v1, 0, v4, s[36:37]
	v_ldexp_f32 v4, v7, v8
	v_cmp_ngt_f32_e64 s[36:37], s33, v6
	v_add_f32_e32 v1, v5, v1
	s_nop 0
	v_cndmask_b32_e64 v4, 0, v4, s[36:37]
	v_cmp_nlt_f32_e64 s[36:37], s67, v6
	s_nop 1
	v_cndmask_b32_e64 v4, v230, v4, s[36:37]
	v_fma_f32 v1, v4, v1, v4
	v_cmp_class_f32_e64 s[36:37], v4, s38
	s_nop 1
	v_cndmask_b32_e64 v1, v1, v4, s[36:37]
	v_trunc_f32_e32 v4, v20
	v_cmp_eq_f32_e32 vcc, v4, v20
	v_mul_f32_e32 v4, 0.5, v20
	v_trunc_f32_e32 v5, v4
	v_cmp_neq_f32_e64 s[36:37], v5, v4
	s_and_b64 s[36:37], vcc, s[36:37]
	s_nop 0
	v_cndmask_b32_e64 v4, 1.0, v3, s[36:37]
	v_bfi_b32 v1, s81, v1, v4
	v_cndmask_b32_e32 v4, v231, v1, vcc
	v_cmp_gt_f32_e32 vcc, 0, v3
	v_cndmask_b32_e64 v5, 0, v3, s[36:37]
	s_nop 0
	v_cndmask_b32_e32 v1, v1, v4, vcc
	v_cmp_eq_f32_e32 vcc, s39, v21
	v_cmp_eq_f32_e64 s[38:39], 0, v3
	s_xor_b64 s[40:41], s[40:41], s[38:39]
	v_cndmask_b32_e64 v4, v230, 0, s[40:41]
	v_bfi_b32 v4, s81, v4, v5
	s_or_b64 vcc, vcc, s[38:39]
	v_cndmask_b32_e32 v1, v1, v4, vcc
	v_cmp_o_f32_e32 vcc, v3, v3
	s_nop 1
	v_cndmask_b32_e32 v80, v231, v1, vcc
.LBB25_18:                              ;   in Loop: Header=BB25_14 Depth=1
	v_readlane_b32 s36, v254, 3
	s_mul_i32 s27, s27, s36
	s_sub_i32 s26, s26, s27
	s_ashr_i32 s27, s26, 31
	v_readlane_b32 s36, v254, 23
	s_xor_b32 s27, s27, s36
	s_abs_i32 s26, s26
	v_readlane_b32 s36, v254, 24
	s_mul_hi_u32 s36, s26, s36
	s_mul_i32 s37, s36, s73
	s_sub_i32 s26, s26, s37
	s_add_i32 s37, s36, 1
	s_sub_i32 s38, s26, s73
	s_cmp_ge_u32 s26, s73
	s_cselect_b32 s36, s37, s36
	s_cselect_b32 s26, s38, s26
	s_add_i32 s37, s36, 1
	s_cmp_ge_u32 s26, s73
	s_cselect_b32 s26, s37, s36
	s_xor_b32 s26, s26, s27
	s_sub_i32 s69, s26, s27
	v_readlane_b32 s26, v254, 46
	v_readlane_b32 s27, v254, 47
	v_readlane_b32 s48, v254, 25
	s_andn2_b64 vcc, exec, s[26:27]
	v_mov_b32_e32 v102, s43
	v_readlane_b32 s49, v254, 26
	v_readlane_b32 s50, v254, 27
	;; [unrolled: 1-line block ×15, first 2 shown]
	s_cbranch_vccnz .LBB25_20
; %bb.19:                               ;   in Loop: Header=BB25_14 Depth=1
	v_readlane_b32 s26, v254, 0
	s_mul_i32 s26, s45, s26
	s_add_i32 s26, s69, s26
	s_ashr_i32 s27, s26, 31
	s_lshl_b64 s[26:27], s[26:27], 2
	s_add_u32 s26, s58, s26
	s_addc_u32 s27, s59, s27
	global_load_dword v1, v2, s[26:27]
	s_waitcnt vmcnt(0)
	v_ashrrev_i32_e32 v3, 31, v1
	v_lshrrev_b32_e32 v3, 26, v3
	v_add_u32_e32 v1, v1, v3
	v_ashrrev_i32_e32 v1, 6, v1
	v_min_i32_e32 v102, s43, v1
.LBB25_20:                              ;   in Loop: Header=BB25_14 Depth=1
	v_readlane_b32 s26, v254, 51
	s_mul_i32 s26, s26, s45
	s_add_i32 s26, s42, s26
	s_lshl_b32 s88, s26, 6
	s_lshl_b64 s[26:27], s[88:89], 3
	s_add_u32 s26, s60, s26
	s_addc_u32 s27, s61, s27
	v_readlane_b32 s36, v254, 12
	v_writelane_b32 v255, s26, 18
	v_readlane_b32 s37, v254, 13
	s_nop 0
	v_writelane_b32 v255, s27, 19
	s_mul_i32 s26, s45, s37
	s_mul_hi_u32 s27, s45, s36
	s_add_i32 s26, s27, s26
	s_mul_i32 s27, s46, s36
	s_add_i32 s88, s26, s27
	s_mul_i32 s26, s45, s36
	v_readlane_b32 s36, v254, 19
	v_readlane_b32 s37, v254, 20
	;; [unrolled: 1-line block ×3, first 2 shown]
	v_writelane_b32 v255, s26, 20
	s_add_u32 s26, s52, s26
	s_mov_b64 s[40:41], s[36:37]
	s_mul_i32 s36, s47, s39
	s_addc_u32 s27, s53, s88
	s_ashr_i32 s52, s36, 31
	s_add_u32 s84, s26, s36
	s_addc_u32 s85, s27, s52
	s_ashr_i32 s43, s42, 31
	s_lshl_b64 s[26:27], s[42:43], 2
	v_writelane_b32 v255, s36, 21
	s_add_u32 s36, s56, s26
	v_readlane_b32 s38, v254, 21
	s_addc_u32 s37, s57, s27
	v_readlane_b32 s26, v254, 44
	v_readlane_b32 s27, v254, 45
	;; [unrolled: 1-line block ×3, first 2 shown]
	s_and_b64 s[26:27], s[26:27], exec
	v_readlane_b32 s39, v254, 9
	s_cselect_b32 s26, 0, s36
	s_mul_i32 s36, s45, s39
	s_cselect_b32 s27, 0, s37
	s_ashr_i32 s37, s36, 31
	s_add_u32 s36, s48, s36
	s_mul_i32 s38, s42, s38
	s_addc_u32 s37, s49, s37
	s_ashr_i32 s39, s38, 31
	s_add_u32 s98, s36, s38
	s_addc_u32 s99, s37, s39
	s_mul_i32 s36, s45, s41
	s_mul_hi_u32 s37, s45, s40
	s_add_i32 s36, s37, s36
	s_mul_i32 s46, s46, s40
	v_readlane_b32 s38, v254, 17
	s_add_i32 s68, s36, s46
	s_mul_i32 s36, s45, s40
	v_readlane_b32 s39, v254, 18
	v_writelane_b32 v255, s36, 22
	s_add_u32 s36, s50, s36
	s_mul_i32 s38, s47, s39
	s_addc_u32 s37, s51, s68
	s_ashr_i32 s75, s38, 31
	s_add_u32 s94, s36, s38
	s_addc_u32 s95, s37, s75
	v_writelane_b32 v255, s38, 23
	s_cmp_lg_u32 s44, 0
	s_cbranch_scc0 .LBB25_98
; %bb.21:                               ;   in Loop: Header=BB25_14 Depth=1
	s_lshl_b32 s91, s69, 5
	v_add_u32_e32 v103, s91, v116
	v_cmp_le_i32_e32 vcc, s80, v103
	s_and_saveexec_b64 s[36:37], vcc
	v_readlane_b32 s62, v255, 14
	s_xor_b64 s[36:37], exec, s[36:37]
	s_mov_b32 s74, s62
	v_readlane_b32 s63, v255, 15
	s_cbranch_execz .LBB25_23
; %bb.22:                               ;   in Loop: Header=BB25_14 Depth=1
	ds_write_b32 v198, v2
.LBB25_23:                              ;   in Loop: Header=BB25_14 Depth=1
	s_andn2_saveexec_b64 s[36:37], s[36:37]
	s_cbranch_execz .LBB25_25
; %bb.24:                               ;   in Loop: Header=BB25_14 Depth=1
	v_readlane_b32 s38, v254, 16
	s_nop 1
	v_mad_u64_u32 v[4:5], s[38:39], v103, s38, v[38:39]
	v_ashrrev_i32_e32 v5, 31, v4
	v_lshl_add_u64 v[4:5], v[4:5], 3, s[98:99]
	global_load_dwordx2 v[4:5], v[4:5], off
	s_waitcnt vmcnt(0)
	v_cvt_f16_f32_e32 v1, v4
	v_cvt_f16_f32_e32 v3, v5
	v_pack_b32_f16 v1, v1, v3
	v_pk_mul_f16 v1, v39, v1
	ds_write_b32 v198, v1
.LBB25_25:                              ;   in Loop: Header=BB25_14 Depth=1
	s_or_b64 exec, exec, s[36:37]
	v_add_u32_e32 v106, s91, v125
	v_cmp_le_i32_e32 vcc, s80, v106
	s_and_saveexec_b64 s[36:37], vcc
	s_xor_b64 s[36:37], exec, s[36:37]
	s_cbranch_execz .LBB25_27
; %bb.26:                               ;   in Loop: Header=BB25_14 Depth=1
	ds_write_b32 v198, v2 offset:1088
.LBB25_27:                              ;   in Loop: Header=BB25_14 Depth=1
	s_andn2_saveexec_b64 s[36:37], s[36:37]
	s_cbranch_execz .LBB25_29
; %bb.28:                               ;   in Loop: Header=BB25_14 Depth=1
	v_readlane_b32 s38, v254, 16
	s_nop 1
	v_mad_u64_u32 v[4:5], s[38:39], v106, s38, v[38:39]
	v_ashrrev_i32_e32 v5, 31, v4
	v_lshl_add_u64 v[4:5], v[4:5], 3, s[98:99]
	global_load_dwordx2 v[4:5], v[4:5], off
	s_waitcnt vmcnt(0)
	v_cvt_f16_f32_e32 v1, v4
	v_cvt_f16_f32_e32 v3, v5
	v_pack_b32_f16 v1, v1, v3
	v_pk_mul_f16 v1, v39, v1
	ds_write_b32 v198, v1 offset:1088
.LBB25_29:                              ;   in Loop: Header=BB25_14 Depth=1
	s_or_b64 exec, exec, s[36:37]
	v_add_u32_e32 v108, s91, v124
	v_cmp_le_i32_e32 vcc, s80, v108
	s_and_saveexec_b64 s[36:37], vcc
	s_xor_b64 s[36:37], exec, s[36:37]
	s_cbranch_execz .LBB25_31
; %bb.30:                               ;   in Loop: Header=BB25_14 Depth=1
	ds_write_b32 v198, v2 offset:2176
.LBB25_31:                              ;   in Loop: Header=BB25_14 Depth=1
	s_andn2_saveexec_b64 s[36:37], s[36:37]
	s_cbranch_execz .LBB25_33
; %bb.32:                               ;   in Loop: Header=BB25_14 Depth=1
	v_readlane_b32 s38, v254, 16
	s_nop 1
	v_mad_u64_u32 v[4:5], s[38:39], v108, s38, v[38:39]
	v_ashrrev_i32_e32 v5, 31, v4
	v_lshl_add_u64 v[4:5], v[4:5], 3, s[98:99]
	global_load_dwordx2 v[4:5], v[4:5], off
	s_waitcnt vmcnt(0)
	v_cvt_f16_f32_e32 v1, v4
	v_cvt_f16_f32_e32 v3, v5
	v_pack_b32_f16 v1, v1, v3
	v_pk_mul_f16 v1, v39, v1
	ds_write_b32 v198, v1 offset:2176
.LBB25_33:                              ;   in Loop: Header=BB25_14 Depth=1
	;; [unrolled: 25-line block ×7, first 2 shown]
	s_or_b64 exec, exec, s[36:37]
	s_waitcnt lgkmcnt(0)
	s_barrier
	ds_read2_b64 v[18:21], v168 offset1:4
	ds_read2_b64 v[14:17], v168 offset0:8 offset1:12
	ds_read2_b64 v[10:13], v168 offset0:16 offset1:20
	;; [unrolled: 1-line block ×3, first 2 shown]
	v_add_u32_e32 v114, -1, v102
	v_cmp_ge_i32_e32 vcc, s44, v114
	v_mov_b32_e32 v110, 0
	s_waitcnt lgkmcnt(0)
	s_barrier
	s_cbranch_vccnz .LBB25_99
; %bb.54:                               ;   in Loop: Header=BB25_14 Depth=1
	v_mul_hi_u32 v3, s96, v103
	v_add_u32_e32 v3, v103, v3
	v_lshrrev_b32_e32 v3, s97, v3
	v_mul_lo_u32 v3, v3, s80
	v_sub_u32_e32 v3, v103, v3
	v_mad_i64_i32 v[84:85], s[38:39], v3, s74, 0
	v_mul_hi_u32 v3, s96, v106
	v_add_u32_e32 v3, v106, v3
	v_lshrrev_b32_e32 v3, s97, v3
	v_mul_lo_u32 v3, v3, s80
	v_sub_u32_e32 v3, v106, v3
	v_mad_i64_i32 v[86:87], s[38:39], v3, s74, 0
	;; [unrolled: 6-line block ×7, first 2 shown]
	v_mul_hi_u32 v3, s96, v109
	v_add_u32_e32 v3, v109, v3
	v_lshrrev_b32_e32 v3, s97, v3
	v_mul_lo_u32 v3, v3, s80
	v_sub_u32_e32 v3, v109, v3
	v_lshlrev_b32_e32 v4, 1, v38
	v_mov_b32_e32 v5, v2
	v_mad_i64_i32 v[98:99], s[38:39], v3, s74, 0
	v_and_b32_e32 v3, 64, v232
	v_lshl_add_u64 v[82:83], s[86:87], 0, v[4:5]
	v_add_u32_e32 v3, 64, v3
	v_xor_b32_e32 v4, 32, v232
	v_cmp_lt_i32_e32 vcc, v4, v3
	s_cmp_lg_u64 s[86:87], 0
	s_cselect_b64 s[36:37], -1, 0
	v_cndmask_b32_e32 v4, v232, v4, vcc
	v_lshlrev_b32_e32 v115, 2, v4
	v_xor_b32_e32 v4, 16, v232
	v_cmp_lt_i32_e32 vcc, v4, v3
	v_mov_b32_e32 v165, 0
	v_mov_b32_e32 v100, v80
	v_cndmask_b32_e32 v3, v232, v4, vcc
	v_lshlrev_b32_e32 v216, 2, v3
	v_mov_b32_e32 v101, v80
	s_lshl_b32 s38, s44, 6
	v_mov_b32_e32 v213, 0
	v_mov_b32_e32 v163, 0xfeffffff
	;; [unrolled: 1-line block ×17, first 2 shown]
	s_andn2_b64 vcc, exec, s[36:37]
	s_ashr_i32 s39, s38, 31
	s_cbranch_vccnz .LBB25_60
.LBB25_55:                              ;   in Loop: Header=BB25_14 Depth=1
                                        ; implicit-def: $sgpr42
	s_and_saveexec_b64 s[40:41], s[0:1]
	s_xor_b64 s[40:41], exec, s[40:41]
	s_cbranch_execz .LBB25_57
; %bb.56:                               ;   in Loop: Header=BB25_14 Depth=1
	ds_write_b16 v167, v2 offset:17408
	ds_write_b16 v233, v2 offset:17408
	;; [unrolled: 1-line block ×4, first 2 shown]
	s_mov_b32 s42, 0
.LBB25_57:                              ;   in Loop: Header=BB25_14 Depth=1
	s_or_saveexec_b64 s[40:41], s[40:41]
	v_mov_b32_e32 v3, s42
	v_mov_b32_e32 v4, s42
	;; [unrolled: 1-line block ×4, first 2 shown]
	s_xor_b64 exec, exec, s[40:41]
	s_cbranch_execz .LBB25_59
; %bb.58:                               ;   in Loop: Header=BB25_14 Depth=1
	v_lshl_add_u64 v[22:23], s[38:39], 1, v[82:83]
	v_lshl_add_u64 v[4:5], v[84:85], 1, v[22:23]
	flat_load_ushort v3, v[4:5]
	v_lshl_add_u64 v[4:5], v[86:87], 1, v[22:23]
	flat_load_ushort v24, v[4:5]
	;; [unrolled: 2-line block ×4, first 2 shown]
	s_waitcnt vmcnt(0) lgkmcnt(0)
	ds_write_b16 v167, v3 offset:17408
	ds_write_b16 v233, v24 offset:17408
	;; [unrolled: 1-line block ×4, first 2 shown]
	v_lshl_add_u64 v[4:5], v[92:93], 1, v[22:23]
	flat_load_ushort v3, v[4:5]
	v_lshl_add_u64 v[4:5], v[94:95], 1, v[22:23]
	v_lshl_add_u64 v[24:25], v[96:97], 1, v[22:23]
	;; [unrolled: 1-line block ×3, first 2 shown]
	flat_load_ushort v4, v[4:5]
	s_nop 0
	flat_load_ushort v22, v[22:23]
	s_nop 0
	flat_load_ushort v5, v[24:25]
.LBB25_59:                              ;   in Loop: Header=BB25_14 Depth=1
	s_or_b64 exec, exec, s[40:41]
	s_waitcnt vmcnt(0) lgkmcnt(0)
	ds_write_b16 v236, v3 offset:17408
	ds_write_b16 v237, v4 offset:17408
	;; [unrolled: 1-line block ×4, first 2 shown]
.LBB25_60:                              ;   Parent Loop BB25_14 Depth=1
                                        ; =>  This Inner Loop Header: Depth=2
	s_mul_hi_i32 s41, s38, s82
	s_mul_i32 s40, s38, s82
	s_lshl_b64 s[40:41], s[40:41], 2
	s_add_u32 s40, s94, s40
	s_addc_u32 s41, s95, s41
	v_mov_b32_e32 v3, v2
	v_mov_b32_e32 v4, v2
	v_mov_b32_e32 v5, v2
	scratch_store_dwordx4 off, v[2:5], off
	v_lshl_add_u64 v[22:23], v[44:45], 2, s[40:41]
	v_mov_b32_e32 v26, s28
	v_lshlrev_b32_e32 v4, 2, v40
	v_lshl_add_u64 v[22:23], v[22:23], 0, v[4:5]
	v_mov_b32_e32 v3, s29
	v_cndmask_b32_e64 v23, v3, v23, s[78:79]
	v_cndmask_b32_e64 v22, v26, v22, s[78:79]
	flat_load_dwordx4 v[22:25], v[22:23]
	s_waitcnt vmcnt(0) lgkmcnt(0)
	ds_write_b128 v128, v[22:25]
	v_lshl_add_u64 v[22:23], v[46:47], 2, s[40:41]
	v_lshl_add_u64 v[22:23], v[22:23], 0, v[4:5]
	v_cndmask_b32_e64 v23, v3, v23, s[4:5]
	v_cndmask_b32_e64 v22, v26, v22, s[4:5]
	flat_load_dwordx4 v[22:25], v[22:23]
	s_waitcnt vmcnt(0) lgkmcnt(0)
	ds_write_b128 v241, v[22:25]
	v_lshl_add_u64 v[22:23], v[48:49], 2, s[40:41]
	v_lshl_add_u64 v[22:23], v[22:23], 0, v[4:5]
	;; [unrolled: 7-line block ×3, first 2 shown]
	v_cndmask_b32_e64 v23, v3, v23, s[8:9]
	v_cndmask_b32_e64 v22, v26, v22, s[8:9]
	flat_load_dwordx4 v[22:25], v[22:23]
	v_add_u32_e32 v3, v126, v169
	s_waitcnt vmcnt(0) lgkmcnt(0)
	ds_write_b128 v245, v[22:25]
	s_waitcnt lgkmcnt(0)
	s_barrier
	ds_read2_b64 v[22:25], v3 offset1:4
	s_waitcnt lgkmcnt(0)
	v_mfma_f32_16x16x16_f16 v[26:29], v[22:23], v[18:19], 0
	v_mfma_f32_16x16x16_f16 v[22:25], v[24:25], v[20:21], v[26:29]
	s_nop 5
	ds_read2_b64 v[26:29], v3 offset0:8 offset1:12
	s_waitcnt lgkmcnt(0)
	v_mfma_f32_16x16x16_f16 v[22:25], v[26:27], v[14:15], v[22:25]
	v_mfma_f32_16x16x16_f16 v[22:25], v[28:29], v[16:17], v[22:25]
	ds_read2_b64 v[26:29], v3 offset0:16 offset1:20
	s_waitcnt lgkmcnt(0)
	v_mfma_f32_16x16x16_f16 v[22:25], v[26:27], v[10:11], v[22:25]
	v_mfma_f32_16x16x16_f16 v[22:25], v[28:29], v[12:13], v[22:25]
	ds_read2_b64 v[26:29], v3 offset0:24 offset1:28
	v_add_u32_e32 v3, 0x2000, v3
	s_waitcnt lgkmcnt(0)
	v_mfma_f32_16x16x16_f16 v[22:25], v[26:27], v[6:7], v[22:25]
	v_mfma_f32_16x16x16_f16 v[22:25], v[28:29], v[8:9], v[22:25]
	ds_read2_b64 v[26:29], v3 offset0:64 offset1:68
	s_waitcnt lgkmcnt(0)
	v_mfma_f32_16x16x16_f16 v[30:33], v[26:27], v[18:19], 0
	s_nop 3
	v_cmp_nlt_f32_e64 s[40:41], |v22|, s70
	v_mfma_f32_16x16x16_f16 v[26:29], v[28:29], v[20:21], v[30:33]
	s_nop 2
	ds_read2_b64 v[30:33], v3 offset0:72 offset1:76
	s_waitcnt lgkmcnt(0)
	v_mfma_f32_16x16x16_f16 v[26:29], v[30:31], v[14:15], v[26:29]
	v_mfma_f32_16x16x16_f16 v[26:29], v[32:33], v[16:17], v[26:29]
	ds_read2_b64 v[30:33], v3 offset0:80 offset1:84
	s_waitcnt lgkmcnt(0)
	v_mfma_f32_16x16x16_f16 v[26:29], v[30:31], v[10:11], v[26:29]
	v_mfma_f32_16x16x16_f16 v[26:29], v[32:33], v[12:13], v[26:29]
	ds_read2_b64 v[30:33], v3 offset0:88 offset1:92
	s_waitcnt lgkmcnt(0)
	s_barrier
	v_mfma_f32_16x16x16_f16 v[26:29], v[30:31], v[6:7], v[26:29]
	s_waitcnt lgkmcnt(0)
                                        ; implicit-def: $vgpr3
	v_mfma_f32_16x16x16_f16 v[26:29], v[32:33], v[8:9], v[26:29]
	s_and_saveexec_b64 s[42:43], s[40:41]
	s_xor_b64 s[40:41], exec, s[42:43]
	s_cbranch_execz .LBB25_62
; %bb.61:                               ;   in Loop: Header=BB25_60 Depth=2
	v_add_f32_e64 v3, |v22|, |v22|
	v_mul_f32_e32 v5, 0x3fb8aa3b, v3
	v_rndne_f32_e32 v30, v5
	v_sub_f32_e32 v31, v5, v30
	v_fma_f32 v5, v3, s66, -v5
	v_fmac_f32_e32 v5, 0x32a5705f, v3
	v_add_f32_e32 v5, v31, v5
	v_cvt_i32_f32_e32 v30, v30
	v_exp_f32_e32 v5, v5
	v_cmp_ngt_f32_e32 vcc, s33, v3
	v_ldexp_f32 v5, v5, v30
	s_nop 0
	v_cndmask_b32_e32 v5, 0, v5, vcc
	v_cmp_nlt_f32_e32 vcc, s67, v3
	s_nop 1
	v_cndmask_b32_e32 v3, v230, v5, vcc
	v_add_f32_e32 v3, 1.0, v3
	v_rcp_f32_e32 v3, v3
	s_nop 0
	v_fma_f32 v3, v3, -2.0, 1.0
.LBB25_62:                              ;   in Loop: Header=BB25_60 Depth=2
	s_andn2_saveexec_b64 s[40:41], s[40:41]
; %bb.63:                               ;   in Loop: Header=BB25_60 Depth=2
	v_mul_f32_e32 v3, v22, v22
	v_fmamk_f32 v5, v3, 0xbbbac73d, v252
	v_fmaak_f32 v5, v3, v5, 0xbd5c1c4e
	v_fmaak_f32 v5, v3, v5, 0x3e088382
	;; [unrolled: 1-line block ×3, first 2 shown]
	v_mul_f32_e64 v5, |v22|, v5
	v_fma_f32 v3, v3, v5, |v22|
; %bb.64:                               ;   in Loop: Header=BB25_60 Depth=2
	s_or_b64 exec, exec, s[40:41]
	v_cmp_nlt_f32_e64 s[40:41], |v23|, s70
                                        ; implicit-def: $vgpr5
	s_and_saveexec_b64 s[42:43], s[40:41]
	s_xor_b64 s[40:41], exec, s[42:43]
	s_cbranch_execz .LBB25_66
; %bb.65:                               ;   in Loop: Header=BB25_60 Depth=2
	v_add_f32_e64 v5, |v23|, |v23|
	v_mul_f32_e32 v30, 0x3fb8aa3b, v5
	v_rndne_f32_e32 v31, v30
	v_sub_f32_e32 v32, v30, v31
	v_fma_f32 v30, v5, s66, -v30
	v_fmac_f32_e32 v30, 0x32a5705f, v5
	v_add_f32_e32 v30, v32, v30
	v_cvt_i32_f32_e32 v31, v31
	v_exp_f32_e32 v30, v30
	v_cmp_ngt_f32_e32 vcc, s33, v5
	v_ldexp_f32 v30, v30, v31
	s_nop 0
	v_cndmask_b32_e32 v30, 0, v30, vcc
	v_cmp_nlt_f32_e32 vcc, s67, v5
	s_nop 1
	v_cndmask_b32_e32 v5, v230, v30, vcc
	v_add_f32_e32 v5, 1.0, v5
	v_rcp_f32_e32 v5, v5
	s_nop 0
	v_fma_f32 v5, v5, -2.0, 1.0
.LBB25_66:                              ;   in Loop: Header=BB25_60 Depth=2
	s_andn2_saveexec_b64 s[40:41], s[40:41]
; %bb.67:                               ;   in Loop: Header=BB25_60 Depth=2
	v_mul_f32_e32 v5, v23, v23
	v_fmamk_f32 v30, v5, 0xbbbac73d, v252
	v_fmaak_f32 v30, v5, v30, 0xbd5c1c4e
	v_fmaak_f32 v30, v5, v30, 0x3e088382
	;; [unrolled: 1-line block ×3, first 2 shown]
	v_mul_f32_e64 v30, |v23|, v30
	v_fma_f32 v5, v5, v30, |v23|
; %bb.68:                               ;   in Loop: Header=BB25_60 Depth=2
	s_or_b64 exec, exec, s[40:41]
	v_cmp_nlt_f32_e64 s[40:41], |v24|, s70
                                        ; implicit-def: $vgpr30
	s_and_saveexec_b64 s[42:43], s[40:41]
	s_xor_b64 s[40:41], exec, s[42:43]
	s_cbranch_execz .LBB25_70
; %bb.69:                               ;   in Loop: Header=BB25_60 Depth=2
	v_add_f32_e64 v30, |v24|, |v24|
	v_mul_f32_e32 v31, 0x3fb8aa3b, v30
	v_rndne_f32_e32 v32, v31
	v_sub_f32_e32 v33, v31, v32
	v_fma_f32 v31, v30, s66, -v31
	v_fmac_f32_e32 v31, 0x32a5705f, v30
	v_add_f32_e32 v31, v33, v31
	v_cvt_i32_f32_e32 v32, v32
	v_exp_f32_e32 v31, v31
	v_cmp_ngt_f32_e32 vcc, s33, v30
	v_ldexp_f32 v31, v31, v32
	s_nop 0
	v_cndmask_b32_e32 v31, 0, v31, vcc
	v_cmp_nlt_f32_e32 vcc, s67, v30
	s_nop 1
	v_cndmask_b32_e32 v30, v230, v31, vcc
	v_add_f32_e32 v30, 1.0, v30
	v_rcp_f32_e32 v30, v30
	s_nop 0
	v_fma_f32 v30, v30, -2.0, 1.0
.LBB25_70:                              ;   in Loop: Header=BB25_60 Depth=2
	s_andn2_saveexec_b64 s[40:41], s[40:41]
; %bb.71:                               ;   in Loop: Header=BB25_60 Depth=2
	v_mul_f32_e32 v30, v24, v24
	v_fmamk_f32 v31, v30, 0xbbbac73d, v252
	v_fmaak_f32 v31, v30, v31, 0xbd5c1c4e
	v_fmaak_f32 v31, v30, v31, 0x3e088382
	;; [unrolled: 1-line block ×3, first 2 shown]
	v_mul_f32_e64 v31, |v24|, v31
	v_fma_f32 v30, v30, v31, |v24|
; %bb.72:                               ;   in Loop: Header=BB25_60 Depth=2
	s_or_b64 exec, exec, s[40:41]
	v_cmp_nlt_f32_e64 s[40:41], |v25|, s70
                                        ; implicit-def: $vgpr31
	s_and_saveexec_b64 s[42:43], s[40:41]
	s_xor_b64 s[40:41], exec, s[42:43]
	s_cbranch_execz .LBB25_74
; %bb.73:                               ;   in Loop: Header=BB25_60 Depth=2
	v_add_f32_e64 v31, |v25|, |v25|
	v_mul_f32_e32 v32, 0x3fb8aa3b, v31
	v_rndne_f32_e32 v33, v32
	v_sub_f32_e32 v34, v32, v33
	v_fma_f32 v32, v31, s66, -v32
	v_fmac_f32_e32 v32, 0x32a5705f, v31
	v_add_f32_e32 v32, v34, v32
	v_cvt_i32_f32_e32 v33, v33
	v_exp_f32_e32 v32, v32
	v_cmp_ngt_f32_e32 vcc, s33, v31
	v_ldexp_f32 v32, v32, v33
	s_nop 0
	v_cndmask_b32_e32 v32, 0, v32, vcc
	v_cmp_nlt_f32_e32 vcc, s67, v31
	s_nop 1
	v_cndmask_b32_e32 v31, v230, v32, vcc
	v_add_f32_e32 v31, 1.0, v31
	v_rcp_f32_e32 v31, v31
	s_nop 0
	v_fma_f32 v31, v31, -2.0, 1.0
.LBB25_74:                              ;   in Loop: Header=BB25_60 Depth=2
	s_andn2_saveexec_b64 s[40:41], s[40:41]
; %bb.75:                               ;   in Loop: Header=BB25_60 Depth=2
	v_mul_f32_e32 v31, v25, v25
	v_fmamk_f32 v32, v31, 0xbbbac73d, v252
	v_fmaak_f32 v32, v31, v32, 0xbd5c1c4e
	v_fmaak_f32 v32, v31, v32, 0x3e088382
	;; [unrolled: 1-line block ×3, first 2 shown]
	v_mul_f32_e64 v32, |v25|, v32
	v_fma_f32 v31, v31, v32, |v25|
; %bb.76:                               ;   in Loop: Header=BB25_60 Depth=2
	s_or_b64 exec, exec, s[40:41]
	v_cmp_nlt_f32_e64 s[40:41], |v26|, s70
                                        ; implicit-def: $vgpr32
	s_and_saveexec_b64 s[42:43], s[40:41]
	s_xor_b64 s[40:41], exec, s[42:43]
	s_cbranch_execz .LBB25_78
; %bb.77:                               ;   in Loop: Header=BB25_60 Depth=2
	v_add_f32_e64 v32, |v26|, |v26|
	v_mul_f32_e32 v33, 0x3fb8aa3b, v32
	v_rndne_f32_e32 v34, v33
	v_sub_f32_e32 v35, v33, v34
	v_fma_f32 v33, v32, s66, -v33
	v_fmac_f32_e32 v33, 0x32a5705f, v32
	v_add_f32_e32 v33, v35, v33
	v_cvt_i32_f32_e32 v34, v34
	v_exp_f32_e32 v33, v33
	v_cmp_ngt_f32_e32 vcc, s33, v32
	v_ldexp_f32 v33, v33, v34
	s_nop 0
	v_cndmask_b32_e32 v33, 0, v33, vcc
	v_cmp_nlt_f32_e32 vcc, s67, v32
	s_nop 1
	v_cndmask_b32_e32 v32, v230, v33, vcc
	v_add_f32_e32 v32, 1.0, v32
	v_rcp_f32_e32 v32, v32
	s_nop 0
	v_fma_f32 v32, v32, -2.0, 1.0
.LBB25_78:                              ;   in Loop: Header=BB25_60 Depth=2
	s_andn2_saveexec_b64 s[40:41], s[40:41]
; %bb.79:                               ;   in Loop: Header=BB25_60 Depth=2
	v_mul_f32_e32 v32, v26, v26
	v_fmamk_f32 v33, v32, 0xbbbac73d, v252
	v_fmaak_f32 v33, v32, v33, 0xbd5c1c4e
	v_fmaak_f32 v33, v32, v33, 0x3e088382
	;; [unrolled: 1-line block ×3, first 2 shown]
	v_mul_f32_e64 v33, |v26|, v33
	v_fma_f32 v32, v32, v33, |v26|
; %bb.80:                               ;   in Loop: Header=BB25_60 Depth=2
	s_or_b64 exec, exec, s[40:41]
	v_cmp_nlt_f32_e64 s[40:41], |v27|, s70
                                        ; implicit-def: $vgpr33
	s_and_saveexec_b64 s[42:43], s[40:41]
	s_xor_b64 s[40:41], exec, s[42:43]
	s_cbranch_execz .LBB25_82
; %bb.81:                               ;   in Loop: Header=BB25_60 Depth=2
	v_add_f32_e64 v33, |v27|, |v27|
	v_mul_f32_e32 v34, 0x3fb8aa3b, v33
	v_rndne_f32_e32 v35, v34
	v_sub_f32_e32 v36, v34, v35
	v_fma_f32 v34, v33, s66, -v34
	v_fmac_f32_e32 v34, 0x32a5705f, v33
	v_add_f32_e32 v34, v36, v34
	v_cvt_i32_f32_e32 v35, v35
	v_exp_f32_e32 v34, v34
	v_cmp_ngt_f32_e32 vcc, s33, v33
	v_ldexp_f32 v34, v34, v35
	s_nop 0
	v_cndmask_b32_e32 v34, 0, v34, vcc
	v_cmp_nlt_f32_e32 vcc, s67, v33
	s_nop 1
	v_cndmask_b32_e32 v33, v230, v34, vcc
	v_add_f32_e32 v33, 1.0, v33
	v_rcp_f32_e32 v33, v33
	s_nop 0
	v_fma_f32 v33, v33, -2.0, 1.0
.LBB25_82:                              ;   in Loop: Header=BB25_60 Depth=2
	s_andn2_saveexec_b64 s[40:41], s[40:41]
; %bb.83:                               ;   in Loop: Header=BB25_60 Depth=2
	v_mul_f32_e32 v33, v27, v27
	v_fmamk_f32 v34, v33, 0xbbbac73d, v252
	v_fmaak_f32 v34, v33, v34, 0xbd5c1c4e
	v_fmaak_f32 v34, v33, v34, 0x3e088382
	;; [unrolled: 1-line block ×3, first 2 shown]
	v_mul_f32_e64 v34, |v27|, v34
	v_fma_f32 v33, v33, v34, |v27|
; %bb.84:                               ;   in Loop: Header=BB25_60 Depth=2
	s_or_b64 exec, exec, s[40:41]
	v_cmp_nlt_f32_e64 s[40:41], |v28|, s70
                                        ; implicit-def: $vgpr34
	s_and_saveexec_b64 s[42:43], s[40:41]
	s_xor_b64 s[40:41], exec, s[42:43]
	s_cbranch_execz .LBB25_86
; %bb.85:                               ;   in Loop: Header=BB25_60 Depth=2
	v_add_f32_e64 v34, |v28|, |v28|
	v_mul_f32_e32 v35, 0x3fb8aa3b, v34
	v_rndne_f32_e32 v36, v35
	v_sub_f32_e32 v37, v35, v36
	v_fma_f32 v35, v34, s66, -v35
	v_fmac_f32_e32 v35, 0x32a5705f, v34
	v_add_f32_e32 v35, v37, v35
	v_cvt_i32_f32_e32 v36, v36
	v_exp_f32_e32 v35, v35
	v_cmp_ngt_f32_e32 vcc, s33, v34
	v_ldexp_f32 v35, v35, v36
	s_nop 0
	v_cndmask_b32_e32 v35, 0, v35, vcc
	v_cmp_nlt_f32_e32 vcc, s67, v34
	s_nop 1
	v_cndmask_b32_e32 v34, v230, v35, vcc
	v_add_f32_e32 v34, 1.0, v34
	v_rcp_f32_e32 v34, v34
	s_nop 0
	v_fma_f32 v34, v34, -2.0, 1.0
.LBB25_86:                              ;   in Loop: Header=BB25_60 Depth=2
	s_andn2_saveexec_b64 s[40:41], s[40:41]
; %bb.87:                               ;   in Loop: Header=BB25_60 Depth=2
	v_mul_f32_e32 v34, v28, v28
	v_fmamk_f32 v35, v34, 0xbbbac73d, v252
	v_fmaak_f32 v35, v34, v35, 0xbd5c1c4e
	v_fmaak_f32 v35, v34, v35, 0x3e088382
	;; [unrolled: 1-line block ×3, first 2 shown]
	v_mul_f32_e64 v35, |v28|, v35
	v_fma_f32 v34, v34, v35, |v28|
; %bb.88:                               ;   in Loop: Header=BB25_60 Depth=2
	s_or_b64 exec, exec, s[40:41]
	v_cmp_nlt_f32_e64 s[40:41], |v29|, s70
                                        ; implicit-def: $vgpr81
	s_and_saveexec_b64 s[42:43], s[40:41]
	s_xor_b64 s[40:41], exec, s[42:43]
	s_cbranch_execz .LBB25_90
; %bb.89:                               ;   in Loop: Header=BB25_60 Depth=2
	v_add_f32_e64 v35, |v29|, |v29|
	v_mul_f32_e32 v36, 0x3fb8aa3b, v35
	v_rndne_f32_e32 v37, v36
	v_sub_f32_e32 v81, v36, v37
	v_fma_f32 v36, v35, s66, -v36
	v_fmac_f32_e32 v36, 0x32a5705f, v35
	v_add_f32_e32 v36, v81, v36
	v_cvt_i32_f32_e32 v37, v37
	v_exp_f32_e32 v36, v36
	v_cmp_ngt_f32_e32 vcc, s33, v35
	v_ldexp_f32 v36, v36, v37
	s_nop 0
	v_cndmask_b32_e32 v36, 0, v36, vcc
	v_cmp_nlt_f32_e32 vcc, s67, v35
	s_nop 1
	v_cndmask_b32_e32 v35, v230, v36, vcc
	v_add_f32_e32 v35, 1.0, v35
	v_rcp_f32_e32 v35, v35
	s_nop 0
	v_fma_f32 v81, v35, -2.0, 1.0
.LBB25_90:                              ;   in Loop: Header=BB25_60 Depth=2
	s_andn2_saveexec_b64 s[40:41], s[40:41]
; %bb.91:                               ;   in Loop: Header=BB25_60 Depth=2
	v_mul_f32_e32 v35, v29, v29
	v_fmamk_f32 v36, v35, 0xbbbac73d, v252
	v_fmaak_f32 v36, v35, v36, 0xbd5c1c4e
	v_fmaak_f32 v36, v35, v36, 0x3e088382
	;; [unrolled: 1-line block ×3, first 2 shown]
	v_mul_f32_e64 v36, |v29|, v36
	v_fma_f32 v81, v35, v36, |v29|
; %bb.92:                               ;   in Loop: Header=BB25_60 Depth=2
	s_or_b64 exec, exec, s[40:41]
	v_bfi_b32 v3, s81, v3, v22
	v_bfi_b32 v28, s81, v34, v28
	v_mul_f32_e32 v34, s93, v3
	v_bfi_b32 v3, s81, v5, v23
	v_mul_f32_e32 v35, s93, v3
	;; [unrolled: 2-line block ×3, first 2 shown]
	v_bfi_b32 v3, s81, v31, v25
	v_bfi_b32 v26, s81, v32, v26
	;; [unrolled: 1-line block ×3, first 2 shown]
	v_mul_f32_e32 v37, s93, v3
	v_bfi_b32 v3, s81, v81, v29
	v_mul_f32_e32 v26, s93, v26
	v_mul_f32_e32 v27, s93, v27
	;; [unrolled: 1-line block ×4, first 2 shown]
	s_and_b64 vcc, exec, s[36:37]
	s_cbranch_vccz .LBB25_97
; %bb.93:                               ;   in Loop: Header=BB25_60 Depth=2
	v_add_u32_e32 v3, 0x4400, v171
	ds_read2_b32 v[22:23], v3 offset1:1
	ds_read_b32 v3, v173 offset:17408
	ds_read_b32 v5, v175 offset:17408
	v_mov_b32_e32 v81, v80
	s_waitcnt lgkmcnt(2)
	v_cvt_f32_f16_e32 v24, v22
	v_cvt_f32_f16_sdwa v25, v22 dst_sel:DWORD dst_unused:UNUSED_PAD src0_sel:WORD_1
	v_cvt_f32_f16_e32 v22, v23
	v_cvt_f32_f16_sdwa v23, v23 dst_sel:DWORD dst_unused:UNUSED_PAD src0_sel:WORD_1
	s_waitcnt lgkmcnt(1)
	v_cvt_f32_f16_sdwa v159, v3 dst_sel:DWORD dst_unused:UNUSED_PAD src0_sel:WORD_1
	s_waitcnt lgkmcnt(0)
	v_cvt_f32_f16_sdwa v161, v5 dst_sel:DWORD dst_unused:UNUSED_PAD src0_sel:WORD_1
	v_cvt_f32_f16_e32 v160, v5
	v_cvt_f32_f16_e32 v158, v3
	v_pk_fma_f32 v[32:33], v[80:81], v[22:23], v[36:37]
	v_pk_fma_f32 v[30:31], v[100:101], v[24:25], v[34:35]
	;; [unrolled: 1-line block ×4, first 2 shown]
	s_cbranch_execnz .LBB25_95
.LBB25_94:                              ;   in Loop: Header=BB25_60 Depth=2
	v_mov_b64_e32 v[22:23], v[26:27]
	v_mov_b64_e32 v[30:31], v[34:35]
	;; [unrolled: 1-line block ×4, first 2 shown]
.LBB25_95:                              ;   in Loop: Header=BB25_60 Depth=2
	v_add_f32_e32 v3, 0x40051340, v30
	v_max_f32_e32 v5, v163, v163
	v_max_f32_e32 v3, v5, v3
	v_cndmask_b32_e64 v3, v163, v3, s[10:11]
	v_add_f32_e32 v5, 0x40051340, v31
	v_max_f32_e32 v26, v3, v3
	v_max_f32_e32 v5, v26, v5
	v_cndmask_b32_e64 v3, v3, v5, s[12:13]
	;; [unrolled: 4-line block ×8, first 2 shown]
	ds_bpermute_b32 v5, v115, v3
	v_max_f32_e32 v3, v3, v3
	v_cndmask_b32_e64 v29, v32, v32, s[12:13]
	v_cndmask_b32_e64 v23, v23, v23, s[18:19]
	;; [unrolled: 1-line block ×3, first 2 shown]
	s_waitcnt lgkmcnt(0)
	v_max_f32_e32 v5, v5, v5
	v_max_f32_e32 v3, v3, v5
	ds_bpermute_b32 v5, v216, v3
	v_cndmask_b32_e64 v25, v25, v25, s[18:19]
	s_mul_hi_i32 s41, s38, s76
	s_mul_i32 s40, s38, s76
	s_lshl_b64 s[40:41], s[40:41], 2
	s_waitcnt lgkmcnt(0)
	v_max_f32_e32 v5, v5, v5
	v_max_f32_e32 v28, v3, v5
	v_sub_f32_e32 v3, v30, v28
	v_mul_f32_e32 v5, 0x3fb8aa3b, v3
	v_fma_f32 v26, v3, s66, -v5
	v_rndne_f32_e32 v27, v5
	v_fmac_f32_e32 v26, 0x32a5705f, v3
	v_sub_f32_e32 v5, v5, v27
	v_add_f32_e32 v5, v5, v26
	v_exp_f32_e32 v5, v5
	v_cvt_i32_f32_e32 v26, v27
	v_cmp_ngt_f32_e32 vcc, s33, v3
	v_sub_f32_e32 v22, v22, v28
	s_add_u32 s40, s84, s40
	v_ldexp_f32 v5, v5, v26
	v_cndmask_b32_e32 v5, 0, v5, vcc
	v_cmp_nlt_f32_e32 vcc, s67, v3
	s_addc_u32 s41, s85, s41
	s_add_i32 s44, s44, 1
	v_cndmask_b32_e32 v3, v230, v5, vcc
	v_cndmask_b32_e64 v162, 0, v3, s[10:11]
	v_sub_f32_e32 v3, v31, v28
	v_mul_f32_e32 v5, 0x3fb8aa3b, v3
	v_fma_f32 v26, v3, s66, -v5
	v_rndne_f32_e32 v27, v5
	v_fmac_f32_e32 v26, 0x32a5705f, v3
	v_sub_f32_e32 v5, v5, v27
	v_add_f32_e32 v5, v5, v26
	v_exp_f32_e32 v5, v5
	v_cvt_i32_f32_e32 v26, v27
	v_cmp_ngt_f32_e32 vcc, s33, v3
	v_cndmask_b32_e64 v27, v33, v33, s[12:13]
	s_add_i32 s38, s38, 64
	v_ldexp_f32 v5, v5, v26
	v_cndmask_b32_e32 v5, 0, v5, vcc
	v_cmp_nlt_f32_e32 vcc, s67, v3
	v_mov_b32_e32 v3, s89
	s_nop 0
	v_cndmask_b32_e32 v5, v230, v5, vcc
	v_add_f32_e32 v26, v5, v162
	v_cndmask_b32_e64 v5, v3, v5, s[12:13]
	v_cndmask_b32_e64 v3, v162, v26, s[12:13]
	v_sub_f32_e32 v26, v29, v28
	v_mul_f32_e32 v29, 0x3fb8aa3b, v26
	v_fma_f32 v30, v26, s66, -v29
	v_rndne_f32_e32 v31, v29
	v_fmac_f32_e32 v30, 0x32a5705f, v26
	v_sub_f32_e32 v29, v29, v31
	v_add_f32_e32 v29, v29, v30
	v_exp_f32_e32 v29, v29
	v_cvt_i32_f32_e32 v30, v31
	v_cmp_ngt_f32_e32 vcc, s33, v26
	v_cvt_f16_f32_e32 v5, v5
	v_ldexp_f32 v29, v29, v30
	v_cndmask_b32_e32 v29, 0, v29, vcc
	v_cmp_nlt_f32_e32 vcc, s67, v26
	v_mov_b32_e32 v26, s89
	s_nop 0
	v_cndmask_b32_e32 v29, v230, v29, vcc
	v_add_f32_e32 v30, v3, v29
	v_cndmask_b32_e64 v158, v26, v29, s[14:15]
	v_cndmask_b32_e64 v26, v3, v30, s[14:15]
	v_sub_f32_e32 v3, v27, v28
	v_mul_f32_e32 v27, 0x3fb8aa3b, v3
	v_fma_f32 v29, v3, s66, -v27
	v_rndne_f32_e32 v30, v27
	v_fmac_f32_e32 v29, 0x32a5705f, v3
	v_sub_f32_e32 v27, v27, v30
	v_add_f32_e32 v27, v27, v29
	v_exp_f32_e32 v27, v27
	v_cvt_i32_f32_e32 v29, v30
	v_cmp_ngt_f32_e32 vcc, s33, v3
	v_ldexp_f32 v27, v27, v29
	s_nop 0
	v_cndmask_b32_e32 v27, 0, v27, vcc
	v_cmp_nlt_f32_e32 vcc, s67, v3
	v_mov_b32_e32 v3, s89
	s_nop 0
	v_cndmask_b32_e32 v27, v230, v27, vcc
	v_add_f32_e32 v29, v26, v27
	v_cndmask_b32_e64 v159, v3, v27, s[16:17]
	v_cndmask_b32_e64 v3, v26, v29, s[16:17]
	v_mul_f32_e32 v26, 0x3fb8aa3b, v22
	v_fma_f32 v27, v22, s66, -v26
	v_rndne_f32_e32 v29, v26
	v_fmac_f32_e32 v27, 0x32a5705f, v22
	v_sub_f32_e32 v26, v26, v29
	v_add_f32_e32 v26, v26, v27
	v_exp_f32_e32 v26, v26
	v_cvt_i32_f32_e32 v27, v29
	v_cmp_ngt_f32_e32 vcc, s33, v22
	v_ldexp_f32 v26, v26, v27
	s_nop 0
	v_cndmask_b32_e32 v26, 0, v26, vcc
	v_cmp_nlt_f32_e32 vcc, s67, v22
	v_mov_b32_e32 v22, s89
	s_nop 0
	v_cndmask_b32_e32 v26, v230, v26, vcc
	v_add_f32_e32 v27, v26, v3
	v_cndmask_b32_e64 v160, v22, v26, s[18:19]
	v_cndmask_b32_e64 v22, v3, v27, s[18:19]
	v_sub_f32_e32 v3, v23, v28
	v_mul_f32_e32 v23, 0x3fb8aa3b, v3
	v_fma_f32 v26, v3, s66, -v23
	v_rndne_f32_e32 v27, v23
	v_fmac_f32_e32 v26, 0x32a5705f, v3
	v_sub_f32_e32 v23, v23, v27
	v_add_f32_e32 v23, v23, v26
	v_exp_f32_e32 v23, v23
	v_cvt_i32_f32_e32 v26, v27
	v_cmp_ngt_f32_e32 vcc, s33, v3
	v_ldexp_f32 v23, v23, v26
	s_nop 0
	v_cndmask_b32_e32 v23, 0, v23, vcc
	v_cmp_nlt_f32_e32 vcc, s67, v3
	v_mov_b32_e32 v3, s89
	s_nop 0
	v_cndmask_b32_e32 v23, v230, v23, vcc
	v_add_f32_e32 v26, v23, v22
	v_cndmask_b32_e64 v23, v3, v23, s[20:21]
	v_cndmask_b32_e64 v3, v22, v26, s[20:21]
	v_sub_f32_e32 v22, v24, v28
	;; [unrolled: 20-line block ×3, first 2 shown]
	v_mul_f32_e32 v24, 0x3fb8aa3b, v3
	v_fma_f32 v25, v3, s66, -v24
	v_rndne_f32_e32 v26, v24
	v_fmac_f32_e32 v25, 0x32a5705f, v3
	v_sub_f32_e32 v24, v24, v26
	v_add_f32_e32 v24, v24, v25
	v_exp_f32_e32 v24, v24
	v_cvt_i32_f32_e32 v25, v26
	v_cmp_ngt_f32_e32 vcc, s33, v3
	v_ldexp_f32 v24, v24, v25
	s_nop 0
	v_cndmask_b32_e32 v24, 0, v24, vcc
	v_cmp_nlt_f32_e32 vcc, s67, v3
	v_mov_b32_e32 v3, s89
	s_nop 0
	v_cndmask_b32_e32 v24, v230, v24, vcc
	v_add_f32_e32 v25, v24, v22
	v_cndmask_b32_e64 v29, v22, v25, s[24:25]
	v_sub_f32_e32 v22, v163, v28
	v_cndmask_b32_e64 v3, v3, v24, s[24:25]
	v_mul_f32_e32 v24, 0x3fb8aa3b, v22
	v_fma_f32 v25, v22, s66, -v24
	v_rndne_f32_e32 v26, v24
	v_fmac_f32_e32 v25, 0x32a5705f, v22
	v_sub_f32_e32 v24, v24, v26
	v_add_f32_e32 v24, v24, v25
	v_exp_f32_e32 v24, v24
	v_cvt_i32_f32_e32 v25, v26
	v_cmp_ngt_f32_e32 vcc, s33, v22
	v_cvt_f16_f32_e32 v3, v3
	v_ldexp_f32 v24, v24, v25
	v_cndmask_b32_e32 v24, 0, v24, vcc
	v_cmp_nlt_f32_e32 vcc, s67, v22
	s_nop 1
	v_cndmask_b32_e32 v24, v230, v24, vcc
	v_cmp_le_f32_e32 vcc, s71, v22
	s_nop 1
	v_cndmask_b32_e32 v22, 0, v24, vcc
	v_fmac_f32_e32 v29, v213, v22
	v_cvt_f16_f32_e32 v22, v22
	v_cmp_lt_i32_e32 vcc, s44, v114
	s_and_b64 vcc, exec, vcc
	v_pk_mul_f16 v111, v22, v111 op_sel_hi:[0,1]
	v_pk_mul_f16 v110, v22, v110 op_sel_hi:[0,1]
	;; [unrolled: 1-line block ×16, first 2 shown]
	v_cvt_f16_f32_e32 v22, v162
	v_lshl_add_u64 v[162:163], v[56:57], 2, s[40:41]
	v_mov_b32_e32 v164, s28
	v_pack_b32_f16 v24, v22, v5
	v_cvt_f16_f32_e32 v5, v158
	v_cvt_f16_f32_e32 v22, v159
	v_lshl_add_u64 v[158:159], v[52:53], 2, s[40:41]
	v_pack_b32_f16 v25, v5, v22
	v_cvt_f16_f32_e32 v5, v160
	v_cvt_f16_f32_e32 v22, v23
	v_pack_b32_f16 v22, v5, v22
	v_cvt_f16_f32_e32 v5, v161
	v_lshl_add_u64 v[160:161], v[54:55], 2, s[40:41]
	v_pack_b32_f16 v23, v5, v3
	v_mov_b32_e32 v5, v2
	v_mov_b32_e32 v3, s29
	v_lshl_add_u64 v[162:163], v[162:163], 0, v[4:5]
	v_cndmask_b32_e64 v207, v3, v163, s[6:7]
	v_cndmask_b32_e64 v206, v164, v162, s[6:7]
	v_lshl_add_u64 v[162:163], v[58:59], 2, s[40:41]
	v_lshl_add_u64 v[158:159], v[158:159], 0, v[4:5]
	;; [unrolled: 1-line block ×4, first 2 shown]
	v_cndmask_b32_e64 v159, v3, v159, s[78:79]
	v_cndmask_b32_e64 v161, v3, v161, s[4:5]
	v_cndmask_b32_e64 v209, v3, v5, s[8:9]
	v_cndmask_b32_e64 v208, v164, v4, s[8:9]
	v_mov_b32_e32 v3, v2
	v_mov_b32_e32 v4, v2
	v_mov_b32_e32 v5, v2
	v_cndmask_b32_e64 v158, v164, v158, s[78:79]
	scratch_store_dwordx4 off, v[2:5], off
	v_cndmask_b32_e64 v160, v164, v160, s[4:5]
	flat_load_dwordx4 v[162:165], v[158:159]
	v_add_u32_e32 v3, v129, v176
	s_waitcnt vmcnt(0) lgkmcnt(0)
	ds_write_b128 v128, v[162:165]
	flat_load_dwordx4 v[162:165], v[160:161]
	v_add_u32_e32 v161, v178, v176
	s_waitcnt vmcnt(0) lgkmcnt(0)
	ds_write_b128 v241, v[162:165]
	flat_load_dwordx4 v[162:165], v[206:207]
	s_waitcnt vmcnt(0) lgkmcnt(0)
	ds_write_b128 v243, v[162:165]
	flat_load_dwordx4 v[162:165], v[208:209]
	s_waitcnt vmcnt(0) lgkmcnt(0)
	ds_write_b128 v245, v[162:165]
	s_waitcnt lgkmcnt(0)
	s_barrier
	ds_read_u16 v4, v3 offset:272
	ds_read_u16 v5, v186 offset:544
	v_add_u32_e32 v3, v129, v177
	v_cvt_f32_f16_e32 v164, v110
	v_cvt_f32_f16_sdwa v165, v110 dst_sel:DWORD dst_unused:UNUSED_PAD src0_sel:WORD_1
	ds_read_u16 v110, v3
	ds_read_u16 v158, v3 offset:32
	v_cvt_f32_f16_e32 v162, v111
	v_cvt_f32_f16_sdwa v163, v111 dst_sel:DWORD dst_unused:UNUSED_PAD src0_sel:WORD_1
	s_waitcnt lgkmcnt(1)
	v_perm_b32 v5, v110, v5, s72
	ds_read_u16 v110, v137
	ds_read_u16 v159, v137 offset:32
	ds_read_u16 v160, v137 offset:8704
	;; [unrolled: 1-line block ×5, first 2 shown]
	s_waitcnt lgkmcnt(5)
	v_perm_b32 v4, v4, v110, s72
	s_nop 1
	v_mfma_f32_16x16x16_f16 v[162:165], v[4:5], v[24:25], v[162:165]
	s_nop 6
	v_cvt_f16_f32_e32 v4, v162
	v_cvt_f16_f32_e32 v5, v163
	;; [unrolled: 1-line block ×4, first 2 shown]
	v_cvt_f32_f16_e32 v162, v4
	v_cvt_f32_f16_e32 v163, v5
	s_waitcnt lgkmcnt(0)
	v_perm_b32 v5, v199, v166, s72
	v_perm_b32 v4, v161, v160, s72
	v_cvt_f32_f16_e32 v164, v110
	v_cvt_f32_f16_e32 v165, v111
	v_add_u32_e32 v161, v179, v177
	s_nop 0
	v_mfma_f32_16x16x16_f16 v[162:165], v[4:5], v[22:23], v[162:165]
	s_nop 6
	v_cvt_f16_f32_e32 v4, v162
	v_cvt_f16_f32_e32 v5, v163
	v_cvt_f16_f32_e32 v110, v164
	v_cvt_f16_f32_e32 v160, v165
	v_cvt_f32_f16_e32 v162, v113
	v_pack_b32_f16 v111, v4, v5
	v_add_u32_e32 v4, v179, v176
	ds_read_u16 v4, v4 offset:272
	ds_read_u16 v5, v188 offset:544
	v_cvt_f32_f16_sdwa v163, v113 dst_sel:DWORD dst_unused:UNUSED_PAD src0_sel:WORD_1
	v_cvt_f32_f16_e32 v164, v112
	v_cvt_f32_f16_sdwa v165, v112 dst_sel:DWORD dst_unused:UNUSED_PAD src0_sel:WORD_1
	s_waitcnt lgkmcnt(1)
	v_perm_b32 v4, v4, v159, s72
	s_waitcnt lgkmcnt(0)
	v_perm_b32 v5, v158, v5, s72
	v_add_u32_e32 v159, v130, v176
	v_pack_b32_f16 v110, v110, v160
	v_mfma_f32_16x16x16_f16 v[162:165], v[4:5], v[24:25], v[162:165]
	ds_read_u16 v158, v138 offset:8704
	ds_read_u16 v159, v159 offset:272
	;; [unrolled: 1-line block ×4, first 2 shown]
	s_nop 2
	v_cvt_f16_f32_e32 v4, v162
	v_cvt_f16_f32_e32 v5, v163
	;; [unrolled: 1-line block ×4, first 2 shown]
	v_cvt_f32_f16_e32 v162, v4
	v_cvt_f32_f16_e32 v163, v5
	s_waitcnt lgkmcnt(0)
	v_perm_b32 v5, v161, v160, s72
	v_perm_b32 v4, v159, v158, s72
	v_cvt_f32_f16_e32 v164, v112
	v_cvt_f32_f16_e32 v165, v113
	v_add_u32_e32 v160, v131, v176
	s_nop 0
	v_mfma_f32_16x16x16_f16 v[162:165], v[4:5], v[22:23], v[162:165]
	s_nop 6
	v_cvt_f16_f32_e32 v4, v162
	v_cvt_f16_f32_e32 v5, v163
	v_cvt_f16_f32_e32 v112, v164
	v_cvt_f16_f32_e32 v158, v165
	v_cvt_f32_f16_e32 v162, v213
	v_pack_b32_f16 v113, v4, v5
	v_add_u32_e32 v5, v180, v176
	v_pack_b32_f16 v112, v112, v158
	ds_read_u16 v4, v137 offset:64
	ds_read_u16 v158, v5 offset:272
	;; [unrolled: 1-line block ×4, first 2 shown]
	v_cvt_f32_f16_sdwa v163, v213 dst_sel:DWORD dst_unused:UNUSED_PAD src0_sel:WORD_1
	v_cvt_f32_f16_e32 v164, v81
	v_cvt_f32_f16_sdwa v165, v81 dst_sel:DWORD dst_unused:UNUSED_PAD src0_sel:WORD_1
	s_waitcnt lgkmcnt(2)
	v_perm_b32 v4, v158, v4, s72
	s_waitcnt lgkmcnt(0)
	v_perm_b32 v5, v159, v5, s72
	ds_read_u16 v159, v140 offset:8704
	ds_read_u16 v160, v160 offset:272
	ds_read_u16 v161, v141 offset:544
	v_mfma_f32_16x16x16_f16 v[162:165], v[4:5], v[24:25], v[162:165]
	s_nop 6
	v_cvt_f16_f32_e32 v4, v162
	v_add_u32_e32 v162, v180, v177
	ds_read_u16 v166, v162 offset:8704
	v_cvt_f16_f32_e32 v5, v163
	v_cvt_f16_f32_e32 v81, v164
	;; [unrolled: 1-line block ×3, first 2 shown]
	v_cvt_f32_f16_e32 v162, v4
	v_cvt_f32_f16_e32 v163, v5
	s_waitcnt lgkmcnt(0)
	v_perm_b32 v5, v166, v161, s72
	v_perm_b32 v4, v160, v159, s72
	v_cvt_f32_f16_e32 v164, v81
	v_cvt_f32_f16_e32 v165, v158
	v_add_u32_e32 v160, v181, v177
	s_nop 0
	v_mfma_f32_16x16x16_f16 v[162:165], v[4:5], v[22:23], v[162:165]
	s_nop 6
	v_cvt_f16_f32_e32 v4, v162
	v_cvt_f16_f32_e32 v5, v163
	;; [unrolled: 1-line block ×4, first 2 shown]
	v_cvt_f32_f16_e32 v162, v37
	v_pack_b32_f16 v217, v4, v5
	v_add_u32_e32 v5, v181, v176
	v_pack_b32_f16 v214, v81, v158
	ds_read_u16 v4, v137 offset:96
	ds_read_u16 v5, v5 offset:272
	;; [unrolled: 1-line block ×4, first 2 shown]
	v_cvt_f32_f16_sdwa v163, v37 dst_sel:DWORD dst_unused:UNUSED_PAD src0_sel:WORD_1
	v_cvt_f32_f16_e32 v164, v36
	v_cvt_f32_f16_sdwa v165, v36 dst_sel:DWORD dst_unused:UNUSED_PAD src0_sel:WORD_1
	s_waitcnt lgkmcnt(2)
	v_perm_b32 v36, v5, v4, s72
	s_waitcnt lgkmcnt(0)
	v_perm_b32 v37, v158, v81, s72
	v_add_u32_e32 v158, v132, v176
	ds_read_u16 v81, v142 offset:8704
	v_mfma_f32_16x16x16_f16 v[162:165], v[36:37], v[24:25], v[162:165]
	ds_read_u16 v158, v158 offset:272
	ds_read_u16 v159, v143 offset:544
	;; [unrolled: 1-line block ×3, first 2 shown]
	s_nop 3
	v_cvt_f16_f32_e32 v4, v162
	v_cvt_f16_f32_e32 v5, v163
	;; [unrolled: 1-line block ×4, first 2 shown]
	v_cvt_f32_f16_e32 v162, v4
	v_cvt_f32_f16_e32 v163, v5
	s_waitcnt lgkmcnt(0)
	v_perm_b32 v5, v160, v159, s72
	v_perm_b32 v4, v158, v81, s72
	v_cvt_f32_f16_e32 v164, v36
	v_cvt_f32_f16_e32 v165, v37
	s_nop 1
	v_mfma_f32_16x16x16_f16 v[162:165], v[4:5], v[22:23], v[162:165]
	s_nop 6
	v_cvt_f16_f32_e32 v4, v162
	v_cvt_f16_f32_e32 v5, v163
	;; [unrolled: 1-line block ×4, first 2 shown]
	v_cvt_f32_f16_e32 v162, v35
	v_pack_b32_f16 v212, v4, v5
	v_add_u32_e32 v5, v182, v176
	v_pack_b32_f16 v210, v36, v37
	ds_read_u16 v4, v137 offset:128
	ds_read_u16 v36, v5 offset:272
	;; [unrolled: 1-line block ×4, first 2 shown]
	v_cvt_f32_f16_sdwa v163, v35 dst_sel:DWORD dst_unused:UNUSED_PAD src0_sel:WORD_1
	v_cvt_f32_f16_e32 v164, v34
	v_cvt_f32_f16_sdwa v165, v34 dst_sel:DWORD dst_unused:UNUSED_PAD src0_sel:WORD_1
	s_waitcnt lgkmcnt(2)
	v_perm_b32 v4, v36, v4, s72
	s_waitcnt lgkmcnt(0)
	v_perm_b32 v5, v37, v5, s72
	ds_read_u16 v81, v144 offset:8704
	s_nop 0
	v_mfma_f32_16x16x16_f16 v[34:37], v[4:5], v[24:25], v[162:165]
	s_nop 6
	v_cvt_f16_f32_e32 v4, v34
	v_add_u32_e32 v34, v133, v176
	ds_read_u16 v158, v34 offset:272
	ds_read_u16 v159, v145 offset:544
	v_add_u32_e32 v34, v182, v177
	ds_read_u16 v160, v34 offset:8704
	v_cvt_f16_f32_e32 v5, v35
	v_cvt_f16_f32_e32 v36, v36
	v_cvt_f16_f32_e32 v37, v37
	v_cvt_f32_f16_e32 v34, v4
	v_cvt_f32_f16_e32 v35, v5
	s_waitcnt lgkmcnt(0)
	v_perm_b32 v5, v160, v159, s72
	v_perm_b32 v4, v158, v81, s72
	v_cvt_f32_f16_e32 v36, v36
	v_cvt_f32_f16_e32 v37, v37
	s_nop 1
	v_mfma_f32_16x16x16_f16 v[34:37], v[4:5], v[22:23], v[34:37]
	s_nop 6
	v_cvt_f16_f32_e32 v4, v34
	v_cvt_f16_f32_e32 v5, v35
	v_cvt_f16_f32_e32 v34, v36
	v_cvt_f16_f32_e32 v35, v37
	v_cvt_f32_f16_e32 v36, v32
	v_pack_b32_f16 v211, v4, v5
	v_add_u32_e32 v5, v183, v176
	ds_read_u16 v4, v137 offset:160
	ds_read_u16 v81, v5 offset:272
	ds_read_u16 v5, v192 offset:544
	ds_read_u16 v158, v3 offset:160
	v_pack_b32_f16 v208, v34, v35
	v_cvt_f32_f16_e32 v34, v33
	v_cvt_f32_f16_sdwa v35, v33 dst_sel:DWORD dst_unused:UNUSED_PAD src0_sel:WORD_1
	s_waitcnt lgkmcnt(2)
	v_perm_b32 v4, v81, v4, s72
	s_waitcnt lgkmcnt(0)
	v_perm_b32 v5, v158, v5, s72
	v_cvt_f32_f16_sdwa v37, v32 dst_sel:DWORD dst_unused:UNUSED_PAD src0_sel:WORD_1
	s_nop 1
	v_mfma_f32_16x16x16_f16 v[32:35], v[4:5], v[24:25], v[34:37]
	s_nop 2
	ds_read_u16 v36, v146 offset:8704
	s_nop 2
	v_cvt_f16_f32_e32 v4, v32
	v_add_u32_e32 v32, v134, v176
	ds_read_u16 v37, v32 offset:272
	ds_read_u16 v81, v147 offset:544
	v_add_u32_e32 v32, v183, v177
	ds_read_u16 v158, v32 offset:8704
	v_cvt_f16_f32_e32 v5, v33
	v_cvt_f16_f32_e32 v34, v34
	v_cvt_f16_f32_e32 v35, v35
	v_cvt_f32_f16_e32 v32, v4
	v_cvt_f32_f16_e32 v33, v5
	s_waitcnt lgkmcnt(0)
	v_perm_b32 v5, v158, v81, s72
	v_perm_b32 v4, v37, v36, s72
	v_cvt_f32_f16_e32 v34, v34
	v_cvt_f32_f16_e32 v35, v35
	s_nop 1
	v_mfma_f32_16x16x16_f16 v[32:35], v[4:5], v[22:23], v[32:35]
	s_nop 6
	v_cvt_f16_f32_e32 v4, v32
	v_cvt_f16_f32_e32 v5, v33
	v_cvt_f16_f32_e32 v32, v34
	v_cvt_f16_f32_e32 v33, v35
	v_cvt_f32_f16_e32 v34, v30
	v_pack_b32_f16 v209, v4, v5
	v_add_u32_e32 v5, v184, v176
	ds_read_u16 v4, v137 offset:192
	ds_read_u16 v36, v5 offset:272
	ds_read_u16 v5, v193 offset:544
	ds_read_u16 v37, v3 offset:192
	v_pack_b32_f16 v199, v32, v33
	v_cvt_f32_f16_e32 v32, v31
	v_cvt_f32_f16_sdwa v33, v31 dst_sel:DWORD dst_unused:UNUSED_PAD src0_sel:WORD_1
	s_waitcnt lgkmcnt(2)
	v_perm_b32 v4, v36, v4, s72
	s_waitcnt lgkmcnt(0)
	v_perm_b32 v5, v37, v5, s72
	v_cvt_f32_f16_sdwa v35, v30 dst_sel:DWORD dst_unused:UNUSED_PAD src0_sel:WORD_1
	s_nop 1
	v_mfma_f32_16x16x16_f16 v[30:33], v[4:5], v[24:25], v[32:35]
	s_nop 2
	ds_read_u16 v34, v148 offset:8704
	;; [unrolled: 43-line block ×3, first 2 shown]
	s_nop 2
	v_cvt_f16_f32_e32 v3, v24
	v_add_u32_e32 v24, v136, v176
	ds_read_u16 v31, v24 offset:272
	ds_read_u16 v32, v151 offset:544
	v_add_u32_e32 v24, v185, v177
	ds_read_u16 v33, v24 offset:8704
	v_cvt_f16_f32_e32 v4, v25
	v_cvt_f16_f32_e32 v5, v26
	;; [unrolled: 1-line block ×3, first 2 shown]
	v_cvt_f32_f16_e32 v24, v3
	v_cvt_f32_f16_e32 v25, v4
	;; [unrolled: 1-line block ×3, first 2 shown]
	s_waitcnt lgkmcnt(0)
	v_perm_b32 v5, v33, v32, s72
	v_perm_b32 v4, v31, v30, s72
	v_cvt_f32_f16_e32 v27, v27
	s_barrier
	s_nop 0
	v_mfma_f32_16x16x16_f16 v[22:25], v[4:5], v[22:23], v[24:27]
	s_nop 6
	v_cvt_f16_f32_e32 v3, v22
	v_cvt_f16_f32_e32 v4, v23
	;; [unrolled: 1-line block ×4, first 2 shown]
	v_pack_b32_f16 v165, v3, v4
	v_pack_b32_f16 v164, v5, v22
	s_cbranch_vccz .LBB25_100
; %bb.96:                               ;   in Loop: Header=BB25_60 Depth=2
	v_mov_b32_e32 v213, v29
	v_mov_b32_e32 v163, v28
	s_andn2_b64 vcc, exec, s[36:37]
	s_ashr_i32 s39, s38, 31
	s_cbranch_vccz .LBB25_55
	s_branch .LBB25_60
.LBB25_97:                              ;   in Loop: Header=BB25_60 Depth=2
                                        ; implicit-def: $vgpr30_vgpr31_vgpr32_vgpr33
                                        ; implicit-def: $vgpr22_vgpr23_vgpr24_vgpr25
	s_branch .LBB25_94
.LBB25_98:                              ;   in Loop: Header=BB25_14 Depth=1
	v_readlane_b32 s62, v255, 14
	s_mov_b32 s74, s62
	v_readlane_b32 s63, v255, 15
	s_cbranch_execz .LBB25_13
	s_branch .LBB25_236
.LBB25_99:                              ;   in Loop: Header=BB25_14 Depth=1
	v_mov_b32_e32 v29, 0
	v_mov_b32_e32 v28, 0xfeffffff
	;; [unrolled: 1-line block ×17, first 2 shown]
.LBB25_100:                             ;   in Loop: Header=BB25_14 Depth=1
	v_readlane_b32 s36, v254, 24
	s_lshl_b32 s64, s44, 6
	v_readlane_b32 s36, v254, 4
	s_sub_i32 s60, s36, s64
	s_cmp_lg_u64 s[86:87], 0
	s_cselect_b64 s[44:45], -1, 0
	s_ashr_i32 s65, s64, 31
	s_cmp_eq_u64 s[86:87], 0
	v_readlane_b32 s37, v254, 5
	s_cbranch_scc1 .LBB25_110
; %bb.101:                              ;   in Loop: Header=BB25_14 Depth=1
	s_lshl_b64 s[36:37], s[64:65], 1
	s_add_u32 s38, s86, s36
	s_addc_u32 s39, s87, s37
	v_cmp_le_i32_e32 vcc, s60, v38
                                        ; implicit-def: $sgpr40
	s_and_saveexec_b64 s[36:37], vcc
	s_xor_b64 s[36:37], exec, s[36:37]
	s_cbranch_execz .LBB25_103
; %bb.102:                              ;   in Loop: Header=BB25_14 Depth=1
	ds_write_b16 v167, v2 offset:17408
	ds_write_b16 v233, v2 offset:17408
	s_mov_b32 s40, 0
                                        ; implicit-def: $vgpr103
                                        ; implicit-def: $vgpr106
                                        ; implicit-def: $vgpr108
                                        ; implicit-def: $vgpr107
.LBB25_103:                             ;   in Loop: Header=BB25_14 Depth=1
	s_or_saveexec_b64 s[36:37], s[36:37]
	v_lshlrev_b32_e32 v4, 1, v38
	v_mov_b32_e32 v5, v2
	v_lshl_add_u64 v[4:5], s[38:39], 0, v[4:5]
	v_mov_b32_e32 v3, s40
	v_mov_b32_e32 v22, s40
	s_xor_b64 exec, exec, s[36:37]
	s_cbranch_execz .LBB25_105
; %bb.104:                              ;   in Loop: Header=BB25_14 Depth=1
	v_mul_hi_u32 v3, s96, v103
	v_add_u32_e32 v3, v103, v3
	v_lshrrev_b32_e32 v3, s97, v3
	v_mul_lo_u32 v3, v3, s80
	v_sub_u32_e32 v3, v103, v3
	v_mad_i64_i32 v[22:23], s[38:39], v3, s74, 0
	v_lshl_add_u64 v[22:23], v[22:23], 1, v[4:5]
	flat_load_ushort v3, v[22:23]
	v_mul_hi_u32 v22, s96, v106
	v_add_u32_e32 v22, v106, v22
	v_lshrrev_b32_e32 v22, s97, v22
	v_mul_lo_u32 v22, v22, s80
	v_sub_u32_e32 v22, v106, v22
	v_mad_i64_i32 v[22:23], s[38:39], v22, s74, 0
	v_lshl_add_u64 v[22:23], v[22:23], 1, v[4:5]
	flat_load_ushort v22, v[22:23]
	s_waitcnt vmcnt(0) lgkmcnt(0)
	ds_write_b16 v167, v3 offset:17408
	ds_write_b16 v233, v22 offset:17408
	v_mul_hi_u32 v3, s96, v108
	v_add_u32_e32 v3, v108, v3
	v_lshrrev_b32_e32 v3, s97, v3
	v_mul_lo_u32 v3, v3, s80
	v_sub_u32_e32 v3, v108, v3
	v_mad_i64_i32 v[22:23], s[38:39], v3, s74, 0
	v_lshl_add_u64 v[22:23], v[22:23], 1, v[4:5]
	flat_load_ushort v3, v[22:23]
	v_mul_hi_u32 v22, s96, v107
	v_add_u32_e32 v22, v107, v22
	v_lshrrev_b32_e32 v22, s97, v22
	v_mul_lo_u32 v22, v22, s80
	v_sub_u32_e32 v22, v107, v22
	v_mad_i64_i32 v[22:23], s[38:39], v22, s74, 0
	v_lshl_add_u64 v[22:23], v[22:23], 1, v[4:5]
	flat_load_ushort v22, v[22:23]
.LBB25_105:                             ;   in Loop: Header=BB25_14 Depth=1
	s_or_b64 exec, exec, s[36:37]
	s_waitcnt vmcnt(0) lgkmcnt(0)
	ds_write_b16 v234, v3 offset:17408
	ds_write_b16 v235, v22 offset:17408
                                        ; implicit-def: $sgpr38
	s_and_saveexec_b64 s[36:37], vcc
	s_xor_b64 s[36:37], exec, s[36:37]
	s_cbranch_execz .LBB25_107
; %bb.106:                              ;   in Loop: Header=BB25_14 Depth=1
	ds_write_b16 v236, v2 offset:17408
	ds_write_b16 v237, v2 offset:17408
	s_mov_b32 s38, 0
                                        ; implicit-def: $vgpr1
                                        ; implicit-def: $vgpr4_vgpr5
                                        ; implicit-def: $vgpr104
                                        ; implicit-def: $vgpr105
                                        ; implicit-def: $vgpr109
.LBB25_107:                             ;   in Loop: Header=BB25_14 Depth=1
	s_or_saveexec_b64 s[36:37], s[36:37]
	v_mov_b32_e32 v3, s38
	v_mov_b32_e32 v22, s38
	s_xor_b64 exec, exec, s[36:37]
	s_cbranch_execz .LBB25_109
; %bb.108:                              ;   in Loop: Header=BB25_14 Depth=1
	v_mul_hi_u32 v3, s96, v1
	v_add_u32_e32 v3, v1, v3
	v_lshrrev_b32_e32 v3, s97, v3
	v_mul_lo_u32 v3, v3, s80
	v_sub_u32_e32 v1, v1, v3
	v_mul_hi_u32 v3, s96, v104
	v_add_u32_e32 v3, v104, v3
	v_lshrrev_b32_e32 v3, s97, v3
	v_mad_i64_i32 v[22:23], s[38:39], v1, s74, 0
	v_mul_lo_u32 v3, v3, s80
	v_lshl_add_u64 v[22:23], v[22:23], 1, v[4:5]
	v_sub_u32_e32 v3, v104, v3
	flat_load_ushort v1, v[22:23]
	v_mad_i64_i32 v[22:23], s[38:39], v3, s74, 0
	v_lshl_add_u64 v[22:23], v[22:23], 1, v[4:5]
	flat_load_ushort v3, v[22:23]
	s_waitcnt vmcnt(0) lgkmcnt(0)
	ds_write_b16 v236, v1 offset:17408
	ds_write_b16 v237, v3 offset:17408
	v_mul_hi_u32 v1, s96, v105
	v_add_u32_e32 v1, v105, v1
	v_lshrrev_b32_e32 v1, s97, v1
	v_mul_lo_u32 v1, v1, s80
	v_sub_u32_e32 v1, v105, v1
	v_mad_i64_i32 v[22:23], s[38:39], v1, s74, 0
	v_mul_hi_u32 v1, s96, v109
	v_add_u32_e32 v1, v109, v1
	v_lshrrev_b32_e32 v1, s97, v1
	v_mul_lo_u32 v1, v1, s80
	v_lshl_add_u64 v[22:23], v[22:23], 1, v[4:5]
	v_sub_u32_e32 v1, v109, v1
	flat_load_ushort v3, v[22:23]
	v_mad_i64_i32 v[22:23], s[38:39], v1, s74, 0
	v_lshl_add_u64 v[4:5], v[22:23], 1, v[4:5]
	flat_load_ushort v22, v[4:5]
.LBB25_109:                             ;   in Loop: Header=BB25_14 Depth=1
	s_or_b64 exec, exec, s[36:37]
	s_waitcnt vmcnt(0) lgkmcnt(0)
	ds_write_b16 v238, v3 offset:17408
	ds_write_b16 v239, v22 offset:17408
.LBB25_110:                             ;   in Loop: Header=BB25_14 Depth=1
	s_mul_hi_i32 s37, s64, s82
	s_mul_i32 s36, s64, s82
	s_lshl_b64 s[36:37], s[36:37], 2
	s_add_u32 s46, s94, s36
	s_addc_u32 s47, s95, s37
	v_mov_b32_e32 v3, v2
	v_mov_b32_e32 v4, v2
	;; [unrolled: 1-line block ×3, first 2 shown]
	scratch_store_dwordx4 off, v[2:5], off
	v_lshlrev_b32_e32 v26, 2, v40
	v_mov_b32_e32 v27, v2
	v_lshl_add_u64 v[4:5], v[44:45], 2, s[46:47]
	v_cmp_gt_i32_e64 s[36:37], s60, v127
	v_lshl_add_u64 v[4:5], v[4:5], 0, v[26:27]
	v_mov_b32_e32 v1, s29
	v_mov_b32_e32 v3, s28
	v_cndmask_b32_e64 v5, v1, v5, s[36:37]
	v_cndmask_b32_e64 v4, v3, v4, s[36:37]
	flat_load_dwordx4 v[22:25], v[4:5]
	v_lshl_add_u64 v[4:5], v[46:47], 2, s[46:47]
	v_cmp_gt_i32_e64 s[38:39], s60, v240
	v_lshl_add_u64 v[4:5], v[4:5], 0, v[26:27]
	v_cmp_gt_i32_e64 s[40:41], s60, v242
	v_cndmask_b32_e64 v5, v1, v5, s[38:39]
	v_cndmask_b32_e64 v4, v3, v4, s[38:39]
	v_cmp_gt_i32_e64 s[42:43], s60, v244
	s_waitcnt vmcnt(0) lgkmcnt(0)
	ds_write_b128 v128, v[22:25]
	flat_load_dwordx4 v[22:25], v[4:5]
	v_lshl_add_u64 v[4:5], v[48:49], 2, s[46:47]
	v_lshl_add_u64 v[4:5], v[4:5], 0, v[26:27]
	v_cndmask_b32_e64 v5, v1, v5, s[40:41]
	v_cndmask_b32_e64 v4, v3, v4, s[40:41]
	s_waitcnt vmcnt(0) lgkmcnt(0)
	ds_write_b128 v241, v[22:25]
	flat_load_dwordx4 v[22:25], v[4:5]
	v_lshl_add_u64 v[4:5], v[50:51], 2, s[46:47]
	v_lshl_add_u64 v[4:5], v[4:5], 0, v[26:27]
	v_cndmask_b32_e64 v5, v1, v5, s[42:43]
	v_cndmask_b32_e64 v4, v3, v4, s[42:43]
	v_add_u32_e32 v1, v126, v169
	s_waitcnt vmcnt(0) lgkmcnt(0)
	ds_write_b128 v243, v[22:25]
	flat_load_dwordx4 v[22:25], v[4:5]
	s_waitcnt vmcnt(0) lgkmcnt(0)
	ds_write_b128 v245, v[22:25]
	s_waitcnt lgkmcnt(0)
	s_barrier
	ds_read2_b64 v[22:25], v1 offset1:4
	s_waitcnt lgkmcnt(0)
	v_mfma_f32_16x16x16_f16 v[30:33], v[22:23], v[18:19], 0
	v_mfma_f32_16x16x16_f16 v[22:25], v[24:25], v[20:21], v[30:33]
	s_nop 5
	ds_read2_b64 v[30:33], v1 offset0:8 offset1:12
	s_waitcnt lgkmcnt(0)
	v_mfma_f32_16x16x16_f16 v[22:25], v[30:31], v[14:15], v[22:25]
	v_mfma_f32_16x16x16_f16 v[22:25], v[32:33], v[16:17], v[22:25]
	ds_read2_b64 v[30:33], v1 offset0:16 offset1:20
	s_waitcnt lgkmcnt(0)
	v_mfma_f32_16x16x16_f16 v[22:25], v[30:31], v[10:11], v[22:25]
	v_mfma_f32_16x16x16_f16 v[22:25], v[32:33], v[12:13], v[22:25]
	ds_read2_b64 v[30:33], v1 offset0:24 offset1:28
	v_add_u32_e32 v1, 0x2000, v1
	s_waitcnt lgkmcnt(0)
	v_mfma_f32_16x16x16_f16 v[22:25], v[30:31], v[6:7], v[22:25]
	v_mfma_f32_16x16x16_f16 v[22:25], v[32:33], v[8:9], v[22:25]
	ds_read2_b64 v[30:33], v1 offset0:64 offset1:68
	s_waitcnt lgkmcnt(0)
	v_mfma_f32_16x16x16_f16 v[34:37], v[30:31], v[18:19], 0
	s_nop 3
	v_cmp_nlt_f32_e64 s[46:47], |v22|, s70
	v_mfma_f32_16x16x16_f16 v[18:21], v[32:33], v[20:21], v[34:37]
	ds_read2_b64 v[30:33], v1 offset0:72 offset1:76
	s_waitcnt lgkmcnt(0)
	v_mfma_f32_16x16x16_f16 v[18:21], v[30:31], v[14:15], v[18:21]
	v_mfma_f32_16x16x16_f16 v[14:17], v[32:33], v[16:17], v[18:21]
	s_nop 5
	ds_read2_b64 v[18:21], v1 offset0:80 offset1:84
	s_waitcnt lgkmcnt(0)
	v_mfma_f32_16x16x16_f16 v[14:17], v[18:19], v[10:11], v[14:17]
	v_mfma_f32_16x16x16_f16 v[10:13], v[20:21], v[12:13], v[14:17]
	s_nop 5
	ds_read2_b64 v[14:17], v1 offset0:88 offset1:92
	s_waitcnt lgkmcnt(0)
	v_mfma_f32_16x16x16_f16 v[4:7], v[14:15], v[6:7], v[10:13]
	s_barrier
	v_mfma_f32_16x16x16_f16 v[4:7], v[16:17], v[8:9], v[4:7]
                                        ; implicit-def: $vgpr1
	s_and_saveexec_b64 s[48:49], s[46:47]
	s_xor_b64 s[46:47], exec, s[48:49]
	s_cbranch_execz .LBB25_112
; %bb.111:                              ;   in Loop: Header=BB25_14 Depth=1
	v_add_f32_e64 v1, |v22|, |v22|
	v_mul_f32_e32 v3, 0x3fb8aa3b, v1
	v_rndne_f32_e32 v8, v3
	v_sub_f32_e32 v9, v3, v8
	v_fma_f32 v3, v1, s66, -v3
	v_fmac_f32_e32 v3, 0x32a5705f, v1
	v_add_f32_e32 v3, v9, v3
	v_cvt_i32_f32_e32 v8, v8
	v_exp_f32_e32 v3, v3
	v_cmp_ngt_f32_e32 vcc, s33, v1
	v_ldexp_f32 v3, v3, v8
	s_nop 0
	v_cndmask_b32_e32 v3, 0, v3, vcc
	v_cmp_nlt_f32_e32 vcc, s67, v1
	s_nop 1
	v_cndmask_b32_e32 v1, v230, v3, vcc
	v_add_f32_e32 v1, 1.0, v1
	v_rcp_f32_e32 v1, v1
	s_nop 0
	v_fma_f32 v1, v1, -2.0, 1.0
.LBB25_112:                             ;   in Loop: Header=BB25_14 Depth=1
	s_andn2_saveexec_b64 s[46:47], s[46:47]
; %bb.113:                              ;   in Loop: Header=BB25_14 Depth=1
	v_mul_f32_e32 v1, v22, v22
	v_fmamk_f32 v3, v1, 0xbbbac73d, v252
	v_fmaak_f32 v3, v1, v3, 0xbd5c1c4e
	v_fmaak_f32 v3, v1, v3, 0x3e088382
	;; [unrolled: 1-line block ×3, first 2 shown]
	v_mul_f32_e64 v3, |v22|, v3
	v_fma_f32 v1, v1, v3, |v22|
; %bb.114:                              ;   in Loop: Header=BB25_14 Depth=1
	s_or_b64 exec, exec, s[46:47]
	v_cmp_nlt_f32_e64 s[46:47], |v23|, s70
                                        ; implicit-def: $vgpr3
	s_and_saveexec_b64 s[48:49], s[46:47]
	s_xor_b64 s[46:47], exec, s[48:49]
	s_cbranch_execz .LBB25_116
; %bb.115:                              ;   in Loop: Header=BB25_14 Depth=1
	v_add_f32_e64 v3, |v23|, |v23|
	v_mul_f32_e32 v8, 0x3fb8aa3b, v3
	v_rndne_f32_e32 v9, v8
	v_sub_f32_e32 v10, v8, v9
	v_fma_f32 v8, v3, s66, -v8
	v_fmac_f32_e32 v8, 0x32a5705f, v3
	v_add_f32_e32 v8, v10, v8
	v_cvt_i32_f32_e32 v9, v9
	v_exp_f32_e32 v8, v8
	v_cmp_ngt_f32_e32 vcc, s33, v3
	v_ldexp_f32 v8, v8, v9
	s_nop 0
	v_cndmask_b32_e32 v8, 0, v8, vcc
	v_cmp_nlt_f32_e32 vcc, s67, v3
	s_nop 1
	v_cndmask_b32_e32 v3, v230, v8, vcc
	v_add_f32_e32 v3, 1.0, v3
	v_rcp_f32_e32 v3, v3
	s_nop 0
	v_fma_f32 v3, v3, -2.0, 1.0
.LBB25_116:                             ;   in Loop: Header=BB25_14 Depth=1
	s_andn2_saveexec_b64 s[46:47], s[46:47]
; %bb.117:                              ;   in Loop: Header=BB25_14 Depth=1
	v_mul_f32_e32 v3, v23, v23
	v_fmamk_f32 v8, v3, 0xbbbac73d, v252
	v_fmaak_f32 v8, v3, v8, 0xbd5c1c4e
	v_fmaak_f32 v8, v3, v8, 0x3e088382
	;; [unrolled: 1-line block ×3, first 2 shown]
	v_mul_f32_e64 v8, |v23|, v8
	v_fma_f32 v3, v3, v8, |v23|
; %bb.118:                              ;   in Loop: Header=BB25_14 Depth=1
	s_or_b64 exec, exec, s[46:47]
	v_cmp_nlt_f32_e64 s[46:47], |v24|, s70
                                        ; implicit-def: $vgpr8
	s_and_saveexec_b64 s[48:49], s[46:47]
	s_xor_b64 s[46:47], exec, s[48:49]
	s_cbranch_execz .LBB25_120
; %bb.119:                              ;   in Loop: Header=BB25_14 Depth=1
	v_add_f32_e64 v8, |v24|, |v24|
	v_mul_f32_e32 v9, 0x3fb8aa3b, v8
	v_rndne_f32_e32 v10, v9
	v_sub_f32_e32 v11, v9, v10
	v_fma_f32 v9, v8, s66, -v9
	v_fmac_f32_e32 v9, 0x32a5705f, v8
	v_add_f32_e32 v9, v11, v9
	v_cvt_i32_f32_e32 v10, v10
	v_exp_f32_e32 v9, v9
	v_cmp_ngt_f32_e32 vcc, s33, v8
	v_ldexp_f32 v9, v9, v10
	s_nop 0
	v_cndmask_b32_e32 v9, 0, v9, vcc
	v_cmp_nlt_f32_e32 vcc, s67, v8
	s_nop 1
	v_cndmask_b32_e32 v8, v230, v9, vcc
	v_add_f32_e32 v8, 1.0, v8
	v_rcp_f32_e32 v8, v8
	s_nop 0
	v_fma_f32 v8, v8, -2.0, 1.0
.LBB25_120:                             ;   in Loop: Header=BB25_14 Depth=1
	s_andn2_saveexec_b64 s[46:47], s[46:47]
; %bb.121:                              ;   in Loop: Header=BB25_14 Depth=1
	v_mul_f32_e32 v8, v24, v24
	v_fmamk_f32 v9, v8, 0xbbbac73d, v252
	v_fmaak_f32 v9, v8, v9, 0xbd5c1c4e
	v_fmaak_f32 v9, v8, v9, 0x3e088382
	;; [unrolled: 1-line block ×3, first 2 shown]
	v_mul_f32_e64 v9, |v24|, v9
	v_fma_f32 v8, v8, v9, |v24|
; %bb.122:                              ;   in Loop: Header=BB25_14 Depth=1
	s_or_b64 exec, exec, s[46:47]
	v_cmp_nlt_f32_e64 s[46:47], |v25|, s70
                                        ; implicit-def: $vgpr9
	s_and_saveexec_b64 s[48:49], s[46:47]
	s_xor_b64 s[46:47], exec, s[48:49]
	s_cbranch_execz .LBB25_124
; %bb.123:                              ;   in Loop: Header=BB25_14 Depth=1
	v_add_f32_e64 v9, |v25|, |v25|
	v_mul_f32_e32 v10, 0x3fb8aa3b, v9
	v_rndne_f32_e32 v11, v10
	v_sub_f32_e32 v12, v10, v11
	v_fma_f32 v10, v9, s66, -v10
	v_fmac_f32_e32 v10, 0x32a5705f, v9
	v_add_f32_e32 v10, v12, v10
	v_cvt_i32_f32_e32 v11, v11
	v_exp_f32_e32 v10, v10
	v_cmp_ngt_f32_e32 vcc, s33, v9
	v_ldexp_f32 v10, v10, v11
	s_nop 0
	v_cndmask_b32_e32 v10, 0, v10, vcc
	v_cmp_nlt_f32_e32 vcc, s67, v9
	s_nop 1
	v_cndmask_b32_e32 v9, v230, v10, vcc
	v_add_f32_e32 v9, 1.0, v9
	v_rcp_f32_e32 v9, v9
	s_nop 0
	v_fma_f32 v9, v9, -2.0, 1.0
.LBB25_124:                             ;   in Loop: Header=BB25_14 Depth=1
	s_andn2_saveexec_b64 s[46:47], s[46:47]
; %bb.125:                              ;   in Loop: Header=BB25_14 Depth=1
	v_mul_f32_e32 v9, v25, v25
	v_fmamk_f32 v10, v9, 0xbbbac73d, v252
	v_fmaak_f32 v10, v9, v10, 0xbd5c1c4e
	v_fmaak_f32 v10, v9, v10, 0x3e088382
	;; [unrolled: 1-line block ×3, first 2 shown]
	v_mul_f32_e64 v10, |v25|, v10
	v_fma_f32 v9, v9, v10, |v25|
; %bb.126:                              ;   in Loop: Header=BB25_14 Depth=1
	s_or_b64 exec, exec, s[46:47]
	v_cmp_nlt_f32_e64 s[46:47], |v4|, s70
                                        ; implicit-def: $vgpr10
	s_and_saveexec_b64 s[48:49], s[46:47]
	s_xor_b64 s[46:47], exec, s[48:49]
	s_cbranch_execz .LBB25_128
; %bb.127:                              ;   in Loop: Header=BB25_14 Depth=1
	v_add_f32_e64 v10, |v4|, |v4|
	v_mul_f32_e32 v11, 0x3fb8aa3b, v10
	v_rndne_f32_e32 v12, v11
	v_sub_f32_e32 v13, v11, v12
	v_fma_f32 v11, v10, s66, -v11
	v_fmac_f32_e32 v11, 0x32a5705f, v10
	v_add_f32_e32 v11, v13, v11
	v_cvt_i32_f32_e32 v12, v12
	v_exp_f32_e32 v11, v11
	v_cmp_ngt_f32_e32 vcc, s33, v10
	v_ldexp_f32 v11, v11, v12
	s_nop 0
	v_cndmask_b32_e32 v11, 0, v11, vcc
	v_cmp_nlt_f32_e32 vcc, s67, v10
	s_nop 1
	v_cndmask_b32_e32 v10, v230, v11, vcc
	v_add_f32_e32 v10, 1.0, v10
	v_rcp_f32_e32 v10, v10
	s_nop 0
	v_fma_f32 v10, v10, -2.0, 1.0
.LBB25_128:                             ;   in Loop: Header=BB25_14 Depth=1
	s_andn2_saveexec_b64 s[46:47], s[46:47]
; %bb.129:                              ;   in Loop: Header=BB25_14 Depth=1
	v_mul_f32_e32 v10, v4, v4
	v_fmamk_f32 v11, v10, 0xbbbac73d, v252
	v_fmaak_f32 v11, v10, v11, 0xbd5c1c4e
	v_fmaak_f32 v11, v10, v11, 0x3e088382
	;; [unrolled: 1-line block ×3, first 2 shown]
	v_mul_f32_e64 v11, |v4|, v11
	v_fma_f32 v10, v10, v11, |v4|
; %bb.130:                              ;   in Loop: Header=BB25_14 Depth=1
	s_or_b64 exec, exec, s[46:47]
	v_cmp_nlt_f32_e64 s[46:47], |v5|, s70
                                        ; implicit-def: $vgpr11
	s_and_saveexec_b64 s[48:49], s[46:47]
	s_xor_b64 s[46:47], exec, s[48:49]
	s_cbranch_execz .LBB25_132
; %bb.131:                              ;   in Loop: Header=BB25_14 Depth=1
	v_add_f32_e64 v11, |v5|, |v5|
	v_mul_f32_e32 v12, 0x3fb8aa3b, v11
	v_rndne_f32_e32 v13, v12
	v_sub_f32_e32 v14, v12, v13
	v_fma_f32 v12, v11, s66, -v12
	v_fmac_f32_e32 v12, 0x32a5705f, v11
	v_add_f32_e32 v12, v14, v12
	v_cvt_i32_f32_e32 v13, v13
	v_exp_f32_e32 v12, v12
	v_cmp_ngt_f32_e32 vcc, s33, v11
	v_ldexp_f32 v12, v12, v13
	s_nop 0
	v_cndmask_b32_e32 v12, 0, v12, vcc
	v_cmp_nlt_f32_e32 vcc, s67, v11
	s_nop 1
	v_cndmask_b32_e32 v11, v230, v12, vcc
	v_add_f32_e32 v11, 1.0, v11
	v_rcp_f32_e32 v11, v11
	s_nop 0
	v_fma_f32 v11, v11, -2.0, 1.0
.LBB25_132:                             ;   in Loop: Header=BB25_14 Depth=1
	s_andn2_saveexec_b64 s[46:47], s[46:47]
; %bb.133:                              ;   in Loop: Header=BB25_14 Depth=1
	v_mul_f32_e32 v11, v5, v5
	v_fmamk_f32 v12, v11, 0xbbbac73d, v252
	v_fmaak_f32 v12, v11, v12, 0xbd5c1c4e
	v_fmaak_f32 v12, v11, v12, 0x3e088382
	;; [unrolled: 1-line block ×3, first 2 shown]
	v_mul_f32_e64 v12, |v5|, v12
	v_fma_f32 v11, v11, v12, |v5|
; %bb.134:                              ;   in Loop: Header=BB25_14 Depth=1
	s_or_b64 exec, exec, s[46:47]
	v_cmp_nlt_f32_e64 s[46:47], |v6|, s70
                                        ; implicit-def: $vgpr14
	s_and_saveexec_b64 s[48:49], s[46:47]
	s_xor_b64 s[46:47], exec, s[48:49]
	s_cbranch_execz .LBB25_136
; %bb.135:                              ;   in Loop: Header=BB25_14 Depth=1
	v_add_f32_e64 v12, |v6|, |v6|
	v_mul_f32_e32 v13, 0x3fb8aa3b, v12
	v_rndne_f32_e32 v14, v13
	v_sub_f32_e32 v15, v13, v14
	v_fma_f32 v13, v12, s66, -v13
	v_fmac_f32_e32 v13, 0x32a5705f, v12
	v_add_f32_e32 v13, v15, v13
	v_cvt_i32_f32_e32 v14, v14
	v_exp_f32_e32 v13, v13
	v_cmp_ngt_f32_e32 vcc, s33, v12
	v_ldexp_f32 v13, v13, v14
	s_nop 0
	v_cndmask_b32_e32 v13, 0, v13, vcc
	v_cmp_nlt_f32_e32 vcc, s67, v12
	s_nop 1
	v_cndmask_b32_e32 v12, v230, v13, vcc
	v_add_f32_e32 v12, 1.0, v12
	v_rcp_f32_e32 v12, v12
	s_nop 0
	v_fma_f32 v14, v12, -2.0, 1.0
.LBB25_136:                             ;   in Loop: Header=BB25_14 Depth=1
	s_andn2_saveexec_b64 s[46:47], s[46:47]
; %bb.137:                              ;   in Loop: Header=BB25_14 Depth=1
	v_mul_f32_e32 v12, v6, v6
	v_fmamk_f32 v13, v12, 0xbbbac73d, v252
	v_fmaak_f32 v13, v12, v13, 0xbd5c1c4e
	v_fmaak_f32 v13, v12, v13, 0x3e088382
	;; [unrolled: 1-line block ×3, first 2 shown]
	v_mul_f32_e64 v13, |v6|, v13
	v_fma_f32 v14, v12, v13, |v6|
; %bb.138:                              ;   in Loop: Header=BB25_14 Depth=1
	s_or_b64 exec, exec, s[46:47]
	v_cmp_nlt_f32_e64 s[46:47], |v7|, s70
                                        ; implicit-def: $vgpr15
	s_and_saveexec_b64 s[48:49], s[46:47]
	s_xor_b64 s[46:47], exec, s[48:49]
	s_cbranch_execz .LBB25_140
; %bb.139:                              ;   in Loop: Header=BB25_14 Depth=1
	v_add_f32_e64 v12, |v7|, |v7|
	v_mul_f32_e32 v13, 0x3fb8aa3b, v12
	v_rndne_f32_e32 v15, v13
	v_sub_f32_e32 v16, v13, v15
	v_fma_f32 v13, v12, s66, -v13
	v_fmac_f32_e32 v13, 0x32a5705f, v12
	v_add_f32_e32 v13, v16, v13
	v_cvt_i32_f32_e32 v15, v15
	v_exp_f32_e32 v13, v13
	v_cmp_ngt_f32_e32 vcc, s33, v12
	v_ldexp_f32 v13, v13, v15
	s_nop 0
	v_cndmask_b32_e32 v13, 0, v13, vcc
	v_cmp_nlt_f32_e32 vcc, s67, v12
	s_nop 1
	v_cndmask_b32_e32 v12, v230, v13, vcc
	v_add_f32_e32 v12, 1.0, v12
	v_rcp_f32_e32 v12, v12
	s_nop 0
	v_fma_f32 v15, v12, -2.0, 1.0
.LBB25_140:                             ;   in Loop: Header=BB25_14 Depth=1
	s_andn2_saveexec_b64 s[46:47], s[46:47]
; %bb.141:                              ;   in Loop: Header=BB25_14 Depth=1
	v_mul_f32_e32 v12, v7, v7
	v_fmamk_f32 v13, v12, 0xbbbac73d, v252
	v_fmaak_f32 v13, v12, v13, 0xbd5c1c4e
	v_fmaak_f32 v13, v12, v13, 0x3e088382
	;; [unrolled: 1-line block ×3, first 2 shown]
	v_mul_f32_e64 v13, |v7|, v13
	v_fma_f32 v15, v12, v13, |v7|
; %bb.142:                              ;   in Loop: Header=BB25_14 Depth=1
	s_or_b64 exec, exec, s[46:47]
	v_bfi_b32 v1, s81, v1, v22
	v_mul_f32_e32 v16, s93, v1
	v_bfi_b32 v1, s81, v3, v23
	v_bfi_b32 v4, s81, v10, v4
	v_mul_f32_e32 v17, s93, v1
	v_bfi_b32 v1, s81, v8, v24
	v_mul_f32_e32 v12, s93, v4
	;; [unrolled: 2-line block ×6, first 2 shown]
	v_mul_f32_e32 v15, s93, v1
	s_and_b64 vcc, exec, s[44:45]
	s_cbranch_vccz .LBB25_447
; %bb.143:                              ;   in Loop: Header=BB25_14 Depth=1
	v_add_u32_e32 v1, 0x4400, v171
	ds_read2_b32 v[4:5], v1 offset1:1
	ds_read_b32 v1, v173 offset:17408
	ds_read_b32 v3, v175 offset:17408
	s_waitcnt lgkmcnt(2)
	v_cvt_f32_f16_e32 v6, v4
	v_cvt_f32_f16_sdwa v7, v4 dst_sel:DWORD dst_unused:UNUSED_PAD src0_sel:WORD_1
	v_cvt_f32_f16_e32 v4, v5
	v_cvt_f32_f16_sdwa v5, v5 dst_sel:DWORD dst_unused:UNUSED_PAD src0_sel:WORD_1
	s_waitcnt lgkmcnt(1)
	v_cvt_f32_f16_sdwa v21, v1 dst_sel:DWORD dst_unused:UNUSED_PAD src0_sel:WORD_1
	s_waitcnt lgkmcnt(0)
	v_cvt_f32_f16_sdwa v23, v3 dst_sel:DWORD dst_unused:UNUSED_PAD src0_sel:WORD_1
	v_cvt_f32_f16_e32 v22, v3
	v_cvt_f32_f16_e32 v20, v1
	v_pk_fma_f32 v[10:11], v[80:81], v[4:5], v[18:19] op_sel_hi:[0,1,1]
	v_pk_fma_f32 v[8:9], v[80:81], v[6:7], v[16:17] op_sel_hi:[0,1,1]
	;; [unrolled: 1-line block ×4, first 2 shown]
	s_cbranch_execnz .LBB25_145
.LBB25_144:                             ;   in Loop: Header=BB25_14 Depth=1
	v_mov_b64_e32 v[4:5], v[12:13]
	v_mov_b64_e32 v[8:9], v[16:17]
	;; [unrolled: 1-line block ×4, first 2 shown]
.LBB25_145:                             ;   in Loop: Header=BB25_14 Depth=1
	v_add_f32_e32 v1, 0x40051340, v8
	v_max_f32_e32 v3, v28, v28
	v_cmp_gt_u32_e64 s[54:55], s60, v170
	v_max_f32_e32 v1, v3, v1
	v_add_f32_e32 v3, 0x40051340, v9
	v_cndmask_b32_e64 v1, v28, v1, s[54:55]
	v_max_f32_e32 v12, v1, v1
	v_cmp_gt_u32_e64 s[56:57], s60, v246
	v_max_f32_e32 v3, v12, v3
	v_cmp_gt_u32_e64 s[58:59], s60, v247
	v_cndmask_b32_e64 v1, v1, v3, s[56:57]
	v_add_f32_e32 v3, 0x40051340, v10
	v_max_f32_e32 v12, v1, v1
	v_max_f32_e32 v3, v12, v3
	v_cndmask_b32_e64 v1, v1, v3, s[58:59]
	v_add_f32_e32 v3, 0x40051340, v11
	v_max_f32_e32 v12, v1, v1
	v_cmp_gt_u32_e64 s[50:51], s60, v248
	v_max_f32_e32 v3, v12, v3
	v_cmp_gt_u32_e64 s[48:49], s60, v172
	v_cndmask_b32_e64 v1, v1, v3, s[50:51]
	v_add_f32_e32 v3, 0x40051340, v4
	v_max_f32_e32 v12, v1, v1
	v_max_f32_e32 v3, v12, v3
	v_cndmask_b32_e64 v1, v1, v3, s[48:49]
	v_add_f32_e32 v3, 0x40051340, v5
	;; [unrolled: 10-line block ×3, first 2 shown]
	v_max_f32_e32 v12, v1, v1
	v_cmp_gt_u32_e32 vcc, s60, v250
	v_max_f32_e32 v3, v12, v3
	v_xor_b32_e32 v12, 32, v232
	v_cndmask_b32_e32 v1, v1, v3, vcc
	v_and_b32_e32 v3, 64, v232
	v_add_u32_e32 v3, 64, v3
	v_cmp_lt_i32_e64 s[60:61], v12, v3
	v_cndmask_b32_e64 v10, v10, v10, s[56:57]
	v_cndmask_b32_e64 v11, v11, v11, s[56:57]
	;; [unrolled: 1-line block ×3, first 2 shown]
	v_lshlrev_b32_e32 v13, 2, v12
	ds_bpermute_b32 v12, v13, v1
	v_max_f32_e32 v1, v1, v1
	v_cndmask_b32_e64 v5, v5, v5, s[48:49]
	v_cndmask_b32_e64 v7, v7, v7, s[48:49]
	;; [unrolled: 1-line block ×3, first 2 shown]
	s_waitcnt lgkmcnt(0)
	v_max_f32_e32 v12, v12, v12
	v_max_f32_e32 v1, v1, v12
	v_xor_b32_e32 v12, 16, v232
	v_cmp_lt_i32_e64 s[60:61], v12, v3
	s_nop 1
	v_cndmask_b32_e64 v3, v232, v12, s[60:61]
	v_lshlrev_b32_e32 v21, 2, v3
	ds_bpermute_b32 v3, v21, v1
	s_waitcnt lgkmcnt(0)
	v_max_f32_e32 v3, v3, v3
	v_max_f32_e32 v12, v1, v3
	v_sub_f32_e32 v1, v8, v12
	v_mul_f32_e32 v3, 0x3fb8aa3b, v1
	v_fma_f32 v8, v1, s66, -v3
	v_rndne_f32_e32 v14, v3
	v_fmac_f32_e32 v8, 0x32a5705f, v1
	v_sub_f32_e32 v3, v3, v14
	v_add_f32_e32 v3, v3, v8
	v_exp_f32_e32 v3, v3
	v_cvt_i32_f32_e32 v8, v14
	v_cmp_ngt_f32_e64 s[60:61], s33, v1
	v_ldexp_f32 v3, v3, v8
	s_nop 0
	v_cndmask_b32_e64 v3, 0, v3, s[60:61]
	v_cmp_nlt_f32_e64 s[60:61], s67, v1
	s_nop 1
	v_cndmask_b32_e64 v1, v230, v3, s[60:61]
	v_cndmask_b32_e64 v8, 0, v1, s[54:55]
	v_sub_f32_e32 v1, v9, v12
	v_mul_f32_e32 v3, 0x3fb8aa3b, v1
	v_fma_f32 v9, v1, s66, -v3
	v_rndne_f32_e32 v14, v3
	v_fmac_f32_e32 v9, 0x32a5705f, v1
	v_sub_f32_e32 v3, v3, v14
	v_add_f32_e32 v3, v3, v9
	v_exp_f32_e32 v3, v3
	v_cvt_i32_f32_e32 v9, v14
	v_cmp_ngt_f32_e64 s[54:55], s33, v1
	v_ldexp_f32 v3, v3, v9
	s_nop 0
	v_cndmask_b32_e64 v3, 0, v3, s[54:55]
	v_cmp_nlt_f32_e64 s[54:55], s67, v1
	v_mov_b32_e32 v1, s89
	s_nop 0
	v_cndmask_b32_e64 v3, v230, v3, s[54:55]
	v_add_f32_e32 v9, v3, v8
	v_cndmask_b32_e64 v27, v1, v3, s[56:57]
	v_sub_f32_e32 v3, v10, v12
	v_cndmask_b32_e64 v1, v8, v9, s[56:57]
	v_mul_f32_e32 v9, 0x3fb8aa3b, v3
	v_fma_f32 v10, v3, s66, -v9
	v_rndne_f32_e32 v14, v9
	v_fmac_f32_e32 v10, 0x32a5705f, v3
	v_sub_f32_e32 v9, v9, v14
	v_add_f32_e32 v9, v9, v10
	v_exp_f32_e32 v9, v9
	v_cvt_i32_f32_e32 v10, v14
	v_cmp_ngt_f32_e64 s[54:55], s33, v3
	v_ldexp_f32 v9, v9, v10
	s_nop 0
	v_cndmask_b32_e64 v9, 0, v9, s[54:55]
	v_cmp_nlt_f32_e64 s[54:55], s67, v3
	v_mov_b32_e32 v10, s89
	s_nop 0
	v_cndmask_b32_e64 v3, v230, v9, s[54:55]
	v_add_f32_e32 v9, v1, v3
	v_cndmask_b32_e64 v31, v10, v3, s[58:59]
	v_sub_f32_e32 v3, v11, v12
	v_cndmask_b32_e64 v1, v1, v9, s[58:59]
	v_mul_f32_e32 v9, 0x3fb8aa3b, v3
	v_fma_f32 v10, v3, s66, -v9
	v_rndne_f32_e32 v11, v9
	v_fmac_f32_e32 v10, 0x32a5705f, v3
	v_sub_f32_e32 v9, v9, v11
	v_add_f32_e32 v9, v9, v10
	v_exp_f32_e32 v9, v9
	v_cvt_i32_f32_e32 v10, v11
	v_cmp_ngt_f32_e64 s[54:55], s33, v3
	v_ldexp_f32 v9, v9, v10
	s_nop 0
	v_cndmask_b32_e64 v9, 0, v9, s[54:55]
	v_cmp_nlt_f32_e64 s[54:55], s67, v3
	v_mov_b32_e32 v3, s89
	s_nop 0
	v_cndmask_b32_e64 v9, v230, v9, s[54:55]
	v_add_f32_e32 v10, v1, v9
	v_cndmask_b32_e64 v9, v3, v9, s[50:51]
	v_sub_f32_e32 v3, v4, v12
	v_mul_f32_e32 v4, 0x3fb8aa3b, v3
	v_cndmask_b32_e64 v1, v1, v10, s[50:51]
	v_fma_f32 v10, v3, s66, -v4
	v_rndne_f32_e32 v11, v4
	v_fmac_f32_e32 v10, 0x32a5705f, v3
	v_sub_f32_e32 v4, v4, v11
	v_add_f32_e32 v4, v4, v10
	v_exp_f32_e32 v4, v4
	v_cvt_i32_f32_e32 v10, v11
	v_cmp_ngt_f32_e64 s[50:51], s33, v3
	v_ldexp_f32 v4, v4, v10
	s_nop 0
	v_cndmask_b32_e64 v4, 0, v4, s[50:51]
	v_cmp_nlt_f32_e64 s[50:51], s67, v3
	s_nop 1
	v_cndmask_b32_e64 v3, v230, v4, s[50:51]
	v_add_f32_e32 v10, v3, v1
	v_mov_b32_e32 v4, s89
	v_cndmask_b32_e64 v32, v4, v3, s[48:49]
	v_cndmask_b32_e64 v3, v1, v10, s[48:49]
	v_sub_f32_e32 v1, v5, v12
	v_mul_f32_e32 v4, 0x3fb8aa3b, v1
	v_fma_f32 v5, v1, s66, -v4
	v_rndne_f32_e32 v10, v4
	v_fmac_f32_e32 v5, 0x32a5705f, v1
	v_sub_f32_e32 v4, v4, v10
	v_add_f32_e32 v4, v4, v5
	v_exp_f32_e32 v4, v4
	v_cvt_i32_f32_e32 v5, v10
	v_cmp_ngt_f32_e64 s[48:49], s33, v1
	v_ldexp_f32 v4, v4, v5
	s_nop 0
	v_cndmask_b32_e64 v4, 0, v4, s[48:49]
	v_cmp_nlt_f32_e64 s[48:49], s67, v1
	v_mov_b32_e32 v1, s89
	s_nop 0
	v_cndmask_b32_e64 v4, v230, v4, s[48:49]
	v_add_f32_e32 v5, v4, v3
	v_cndmask_b32_e64 v33, v1, v4, s[46:47]
	v_cndmask_b32_e64 v1, v3, v5, s[46:47]
	v_sub_f32_e32 v3, v6, v12
	v_mul_f32_e32 v4, 0x3fb8aa3b, v3
	v_fma_f32 v5, v3, s66, -v4
	v_rndne_f32_e32 v6, v4
	v_fmac_f32_e32 v5, 0x32a5705f, v3
	v_sub_f32_e32 v4, v4, v6
	v_add_f32_e32 v4, v4, v5
	v_exp_f32_e32 v4, v4
	v_cvt_i32_f32_e32 v5, v6
	v_cmp_ngt_f32_e64 s[46:47], s33, v3
	v_ldexp_f32 v4, v4, v5
	s_nop 0
	v_cndmask_b32_e64 v4, 0, v4, s[46:47]
	v_cmp_nlt_f32_e64 s[46:47], s67, v3
	s_nop 1
	v_cndmask_b32_e64 v3, v230, v4, s[46:47]
	v_mov_b32_e32 v4, s89
	v_add_f32_e32 v5, v3, v1
	v_cndmask_b32_e64 v4, v4, v3, s[44:45]
	v_sub_f32_e32 v3, v7, v12
	v_cndmask_b32_e64 v1, v1, v5, s[44:45]
	v_mul_f32_e32 v5, 0x3fb8aa3b, v3
	v_fma_f32 v6, v3, s66, -v5
	v_rndne_f32_e32 v7, v5
	v_fmac_f32_e32 v6, 0x32a5705f, v3
	v_sub_f32_e32 v5, v5, v7
	v_add_f32_e32 v5, v5, v6
	v_exp_f32_e32 v5, v5
	v_cvt_i32_f32_e32 v6, v7
	v_cmp_ngt_f32_e64 s[44:45], s33, v3
	v_cvt_f16_f32_e32 v4, v4
	v_ldexp_f32 v5, v5, v6
	v_cndmask_b32_e64 v5, 0, v5, s[44:45]
	v_cmp_nlt_f32_e64 s[44:45], s67, v3
	v_mov_b32_e32 v3, s89
	s_nop 0
	v_cndmask_b32_e64 v5, v230, v5, s[44:45]
	v_add_f32_e32 v6, v5, v1
	v_cndmask_b32_e32 v23, v1, v6, vcc
	v_sub_f32_e32 v1, v28, v12
	v_cndmask_b32_e32 v3, v3, v5, vcc
	v_mul_f32_e32 v5, 0x3fb8aa3b, v1
	v_fma_f32 v6, v1, s66, -v5
	v_rndne_f32_e32 v7, v5
	v_fmac_f32_e32 v6, 0x32a5705f, v1
	v_sub_f32_e32 v5, v5, v7
	v_add_f32_e32 v5, v5, v6
	v_exp_f32_e32 v5, v5
	v_cvt_i32_f32_e32 v6, v7
	v_cmp_ngt_f32_e32 vcc, s33, v1
	v_cvt_f16_f32_e32 v3, v3
	s_mul_hi_i32 s45, s64, s76
	v_ldexp_f32 v5, v5, v6
	v_cndmask_b32_e32 v5, 0, v5, vcc
	v_cmp_nlt_f32_e32 vcc, s67, v1
	v_cvt_f16_f32_e32 v6, v27
	s_mul_i32 s44, s64, s76
	v_cndmask_b32_e32 v5, v230, v5, vcc
	v_cmp_le_f32_e32 vcc, s71, v1
	s_lshl_b64 s[44:45], s[44:45], 2
	s_add_u32 s44, s84, s44
	v_cndmask_b32_e32 v1, 0, v5, vcc
	v_cvt_f16_f32_e32 v5, v1
	v_fmac_f32_e32 v23, v29, v1
	s_addc_u32 s45, s85, s45
	v_pack_b32_f16 v7, v4, v3
	v_pk_mul_f16 v30, v5, v111 op_sel_hi:[0,1]
	v_pk_mul_f16 v1, v5, v110 op_sel_hi:[0,1]
	;; [unrolled: 1-line block ×16, first 2 shown]
	v_cvt_f16_f32_e32 v5, v8
	v_mov_b32_e32 v27, v2
	v_mov_b32_e32 v3, s29
	s_cmp_eq_u64 s[26:27], 0
	v_pack_b32_f16 v8, v5, v6
	v_cvt_f16_f32_e32 v5, v31
	v_cvt_f16_f32_e32 v6, v9
	v_mov_b32_e32 v31, s28
	v_pack_b32_f16 v9, v5, v6
	v_cvt_f16_f32_e32 v5, v32
	v_cvt_f16_f32_e32 v6, v33
	v_pack_b32_f16 v6, v5, v6
	v_lshl_add_u64 v[4:5], v[52:53], 2, s[44:45]
	v_lshl_add_u64 v[4:5], v[4:5], 0, v[26:27]
	v_cndmask_b32_e64 v33, v3, v5, s[36:37]
	v_cndmask_b32_e64 v32, v31, v4, s[36:37]
	v_lshl_add_u64 v[4:5], v[54:55], 2, s[44:45]
	v_lshl_add_u64 v[4:5], v[4:5], 0, v[26:27]
	v_cndmask_b32_e64 v37, v3, v5, s[38:39]
	v_cndmask_b32_e64 v36, v31, v4, s[38:39]
	;; [unrolled: 4-line block ×4, first 2 shown]
	v_mov_b32_e32 v3, v2
	v_mov_b32_e32 v4, v2
	;; [unrolled: 1-line block ×3, first 2 shown]
	scratch_store_dwordx4 off, v[2:5], off
	flat_load_dwordx4 v[32:35], v[32:33]
	v_readlane_b32 s38, v255, 6
	v_add_u32_e32 v3, v129, v176
	v_readlane_b32 s39, v255, 7
	s_cselect_b64 s[36:37], -1, 0
	s_xor_b64 s[38:39], s[38:39], -1
	s_or_b64 s[36:37], s[38:39], s[36:37]
	s_waitcnt vmcnt(0) lgkmcnt(0)
	ds_write_b128 v128, v[32:35]
	flat_load_dwordx4 v[32:35], v[36:37]
	s_waitcnt vmcnt(0) lgkmcnt(0)
	ds_write_b128 v241, v[32:35]
	flat_load_dwordx4 v[32:35], v[82:83]
	;; [unrolled: 3-line block ×3, first 2 shown]
	v_add_u32_e32 v26, v129, v177
	s_waitcnt vmcnt(0) lgkmcnt(0)
	ds_write_b128 v245, v[32:35]
	s_waitcnt lgkmcnt(0)
	s_barrier
	ds_read_u16 v3, v3 offset:272
	ds_read_u16 v4, v186 offset:544
	v_cvt_f32_f16_e32 v34, v1
	v_cvt_f32_f16_sdwa v35, v1 dst_sel:DWORD dst_unused:UNUSED_PAD src0_sel:WORD_1
	ds_read_u16 v1, v26
	ds_read_u16 v27, v26 offset:32
	v_cvt_f32_f16_e32 v32, v30
	v_cvt_f32_f16_sdwa v33, v30 dst_sel:DWORD dst_unused:UNUSED_PAD src0_sel:WORD_1
	s_waitcnt lgkmcnt(1)
	v_perm_b32 v5, v1, v4, s72
	ds_read_u16 v1, v137
	ds_read_u16 v36, v137 offset:32
	s_waitcnt lgkmcnt(1)
	v_perm_b32 v4, v3, v1, s72
	s_nop 1
	v_mfma_f32_16x16x16_f16 v[30:33], v[4:5], v[8:9], v[32:35]
	s_nop 2
	ds_read_u16 v34, v137 offset:8704
	s_nop 2
	v_cvt_f16_f32_e32 v1, v30
	v_add_u32_e32 v30, v178, v176
	ds_read_u16 v35, v30 offset:272
	ds_read_u16 v37, v187 offset:544
	;; [unrolled: 1-line block ×3, first 2 shown]
	v_cvt_f16_f32_e32 v4, v32
	v_cvt_f16_f32_e32 v5, v33
	;; [unrolled: 1-line block ×3, first 2 shown]
	v_cvt_f32_f16_e32 v30, v1
	v_cvt_f32_f16_e32 v32, v4
	;; [unrolled: 1-line block ×3, first 2 shown]
	s_waitcnt lgkmcnt(0)
	v_perm_b32 v5, v81, v37, s72
	v_perm_b32 v4, v35, v34, s72
	v_cvt_f32_f16_e32 v31, v3
	s_nop 1
	v_mfma_f32_16x16x16_f16 v[30:33], v[4:5], v[6:7], v[30:33]
	s_nop 6
	v_cvt_f16_f32_e32 v1, v30
	v_cvt_f16_f32_e32 v3, v31
	;; [unrolled: 1-line block ×4, first 2 shown]
	v_cvt_f32_f16_sdwa v31, v29 dst_sel:DWORD dst_unused:UNUSED_PAD src0_sel:WORD_1
	v_pack_b32_f16 v4, v1, v3
	v_add_u32_e32 v3, v179, v176
	v_pack_b32_f16 v1, v5, v30
	ds_read_u16 v3, v3 offset:272
	ds_read_u16 v5, v188 offset:544
	v_cvt_f32_f16_e32 v30, v29
	v_cvt_f32_f16_e32 v32, v10
	v_cvt_f32_f16_sdwa v33, v10 dst_sel:DWORD dst_unused:UNUSED_PAD src0_sel:WORD_1
	s_waitcnt lgkmcnt(1)
	v_perm_b32 v34, v3, v36, s72
	s_waitcnt lgkmcnt(0)
	v_perm_b32 v35, v27, v5, s72
	ds_read_u16 v29, v138 offset:8704
	s_nop 0
	v_mfma_f32_16x16x16_f16 v[30:33], v[34:35], v[8:9], v[30:33]
	s_nop 6
	v_cvt_f16_f32_e32 v3, v30
	v_add_u32_e32 v30, v130, v176
	ds_read_u16 v34, v30 offset:272
	ds_read_u16 v35, v139 offset:544
	v_add_u32_e32 v30, v179, v177
	ds_read_u16 v36, v30 offset:8704
	v_cvt_f16_f32_e32 v5, v31
	v_cvt_f16_f32_e32 v10, v32
	;; [unrolled: 1-line block ×3, first 2 shown]
	s_waitcnt lgkmcnt(2)
	v_perm_b32 v34, v34, v29, s72
	s_waitcnt lgkmcnt(0)
	v_perm_b32 v35, v36, v35, s72
	v_cvt_f32_f16_e32 v30, v3
	v_cvt_f32_f16_e32 v31, v5
	;; [unrolled: 1-line block ×4, first 2 shown]
	s_nop 1
	v_mfma_f32_16x16x16_f16 v[30:33], v[34:35], v[6:7], v[30:33]
	s_nop 6
	v_cvt_f16_f32_e32 v3, v30
	v_cvt_f16_f32_e32 v5, v31
	;; [unrolled: 1-line block ×4, first 2 shown]
	v_cvt_f32_f16_e32 v30, v28
	v_pack_b32_f16 v10, v3, v5
	ds_read_u16 v5, v137 offset:64
	v_pack_b32_f16 v3, v27, v29
	v_add_u32_e32 v27, v180, v176
	ds_read_u16 v27, v27 offset:272
	ds_read_u16 v29, v189 offset:544
	;; [unrolled: 1-line block ×3, first 2 shown]
	v_cvt_f32_f16_sdwa v31, v28 dst_sel:DWORD dst_unused:UNUSED_PAD src0_sel:WORD_1
	v_cvt_f32_f16_e32 v32, v14
	s_waitcnt lgkmcnt(2)
	v_perm_b32 v28, v27, v5, s72
	v_cvt_f32_f16_sdwa v33, v14 dst_sel:DWORD dst_unused:UNUSED_PAD src0_sel:WORD_1
	s_waitcnt lgkmcnt(0)
	v_perm_b32 v29, v34, v29, s72
	ds_read_u16 v5, v140 offset:8704
	s_nop 0
	v_mfma_f32_16x16x16_f16 v[28:31], v[28:29], v[8:9], v[30:33]
	s_nop 6
	v_cvt_f16_f32_e32 v14, v28
	v_cvt_f16_f32_e32 v28, v30
	v_add_u32_e32 v30, v131, v176
	ds_read_u16 v34, v30 offset:272
	ds_read_u16 v35, v141 offset:544
	v_add_u32_e32 v30, v180, v177
	ds_read_u16 v36, v30 offset:8704
	v_cvt_f16_f32_e32 v27, v29
	v_cvt_f16_f32_e32 v29, v31
	v_cvt_f32_f16_e32 v32, v28
	s_waitcnt lgkmcnt(2)
	v_perm_b32 v28, v34, v5, s72
	v_cvt_f32_f16_e32 v30, v14
	v_cvt_f32_f16_e32 v33, v29
	s_waitcnt lgkmcnt(0)
	v_perm_b32 v29, v36, v35, s72
	v_cvt_f32_f16_e32 v31, v27
	s_nop 1
	v_mfma_f32_16x16x16_f16 v[28:31], v[28:29], v[6:7], v[30:33]
	s_nop 6
	v_cvt_f16_f32_e32 v5, v28
	v_cvt_f16_f32_e32 v14, v29
	v_cvt_f16_f32_e32 v27, v30
	v_cvt_f16_f32_e32 v28, v31
	v_cvt_f32_f16_sdwa v29, v16 dst_sel:DWORD dst_unused:UNUSED_PAD src0_sel:WORD_1
	v_pack_b32_f16 v14, v5, v14
	v_cvt_f32_f16_e32 v30, v11
	v_pack_b32_f16 v5, v27, v28
	v_add_u32_e32 v28, v181, v176
	ds_read_u16 v27, v137 offset:96
	ds_read_u16 v32, v28 offset:272
	ds_read_u16 v33, v190 offset:544
	ds_read_u16 v34, v26 offset:96
	v_cvt_f32_f16_e32 v28, v16
	v_cvt_f32_f16_sdwa v31, v11 dst_sel:DWORD dst_unused:UNUSED_PAD src0_sel:WORD_1
	s_waitcnt lgkmcnt(2)
	v_perm_b32 v32, v32, v27, s72
	s_waitcnt lgkmcnt(0)
	v_perm_b32 v33, v34, v33, s72
	s_nop 1
	v_mfma_f32_16x16x16_f16 v[28:31], v[32:33], v[8:9], v[28:31]
	ds_read_u16 v32, v142 offset:8704
	s_nop 5
	v_cvt_f16_f32_e32 v11, v28
	v_add_u32_e32 v28, v132, v176
	ds_read_u16 v34, v28 offset:272
	ds_read_u16 v33, v143 offset:544
	v_add_u32_e32 v28, v181, v177
	ds_read_u16 v35, v28 offset:8704
	v_cvt_f16_f32_e32 v16, v29
	v_cvt_f16_f32_e32 v27, v30
	v_cvt_f16_f32_e32 v31, v31
	s_waitcnt lgkmcnt(2)
	v_perm_b32 v32, v34, v32, s72
	s_waitcnt lgkmcnt(0)
	v_perm_b32 v33, v35, v33, s72
	v_cvt_f32_f16_e32 v28, v11
	v_cvt_f32_f16_e32 v29, v16
	v_cvt_f32_f16_e32 v30, v27
	v_cvt_f32_f16_e32 v31, v31
	s_nop 1
	v_mfma_f32_16x16x16_f16 v[28:31], v[32:33], v[6:7], v[28:31]
	s_nop 6
	v_cvt_f16_f32_e32 v11, v28
	v_cvt_f16_f32_e32 v16, v29
	v_cvt_f16_f32_e32 v27, v30
	v_cvt_f16_f32_e32 v28, v31
	v_cvt_f32_f16_sdwa v29, v18 dst_sel:DWORD dst_unused:UNUSED_PAD src0_sel:WORD_1
	v_pack_b32_f16 v16, v11, v16
	v_cvt_f32_f16_e32 v30, v15
	v_pack_b32_f16 v11, v27, v28
	v_add_u32_e32 v28, v182, v176
	ds_read_u16 v27, v137 offset:128
	ds_read_u16 v32, v28 offset:272
	ds_read_u16 v33, v191 offset:544
	ds_read_u16 v34, v26 offset:128
	v_cvt_f32_f16_e32 v28, v18
	v_cvt_f32_f16_sdwa v31, v15 dst_sel:DWORD dst_unused:UNUSED_PAD src0_sel:WORD_1
	s_waitcnt lgkmcnt(2)
	v_perm_b32 v32, v32, v27, s72
	s_waitcnt lgkmcnt(0)
	v_perm_b32 v33, v34, v33, s72
	s_nop 1
	v_mfma_f32_16x16x16_f16 v[28:31], v[32:33], v[8:9], v[28:31]
	ds_read_u16 v32, v144 offset:8704
	s_nop 5
	v_cvt_f16_f32_e32 v15, v28
	v_add_u32_e32 v28, v133, v176
	ds_read_u16 v34, v28 offset:272
	ds_read_u16 v33, v145 offset:544
	v_add_u32_e32 v28, v182, v177
	ds_read_u16 v35, v28 offset:8704
	v_cvt_f16_f32_e32 v18, v29
	v_cvt_f16_f32_e32 v27, v30
	v_cvt_f16_f32_e32 v31, v31
	s_waitcnt lgkmcnt(2)
	v_perm_b32 v32, v34, v32, s72
	s_waitcnt lgkmcnt(0)
	v_perm_b32 v33, v35, v33, s72
	v_cvt_f32_f16_e32 v28, v15
	v_cvt_f32_f16_e32 v29, v18
	v_cvt_f32_f16_e32 v30, v27
	v_cvt_f32_f16_e32 v31, v31
	s_nop 1
	v_mfma_f32_16x16x16_f16 v[28:31], v[32:33], v[6:7], v[28:31]
	s_nop 6
	v_cvt_f16_f32_e32 v15, v28
	v_cvt_f16_f32_e32 v18, v29
	v_cvt_f16_f32_e32 v27, v30
	v_cvt_f16_f32_e32 v28, v31
	v_cvt_f32_f16_sdwa v29, v20 dst_sel:DWORD dst_unused:UNUSED_PAD src0_sel:WORD_1
	v_pack_b32_f16 v18, v15, v18
	v_cvt_f32_f16_e32 v30, v17
	v_pack_b32_f16 v15, v27, v28
	v_add_u32_e32 v28, v183, v176
	ds_read_u16 v27, v137 offset:160
	ds_read_u16 v32, v28 offset:272
	ds_read_u16 v33, v192 offset:544
	ds_read_u16 v34, v26 offset:160
	v_cvt_f32_f16_e32 v28, v20
	v_cvt_f32_f16_sdwa v31, v17 dst_sel:DWORD dst_unused:UNUSED_PAD src0_sel:WORD_1
	s_waitcnt lgkmcnt(2)
	v_perm_b32 v32, v32, v27, s72
	s_waitcnt lgkmcnt(0)
	v_perm_b32 v33, v34, v33, s72
	s_nop 1
	v_mfma_f32_16x16x16_f16 v[28:31], v[32:33], v[8:9], v[28:31]
	ds_read_u16 v32, v146 offset:8704
	s_nop 5
	v_cvt_f16_f32_e32 v17, v28
	v_add_u32_e32 v28, v134, v176
	ds_read_u16 v34, v28 offset:272
	ds_read_u16 v33, v147 offset:544
	v_add_u32_e32 v28, v183, v177
	ds_read_u16 v35, v28 offset:8704
	v_cvt_f16_f32_e32 v20, v29
	v_cvt_f16_f32_e32 v27, v30
	v_cvt_f16_f32_e32 v31, v31
	s_waitcnt lgkmcnt(2)
	v_perm_b32 v32, v34, v32, s72
	s_waitcnt lgkmcnt(0)
	v_perm_b32 v33, v35, v33, s72
	v_cvt_f32_f16_e32 v28, v17
	v_cvt_f32_f16_e32 v29, v20
	v_cvt_f32_f16_e32 v30, v27
	v_cvt_f32_f16_e32 v31, v31
	s_nop 1
	v_mfma_f32_16x16x16_f16 v[28:31], v[32:33], v[6:7], v[28:31]
	s_nop 6
	v_cvt_f16_f32_e32 v17, v28
	v_cvt_f16_f32_e32 v20, v29
	v_cvt_f16_f32_e32 v27, v30
	v_cvt_f16_f32_e32 v28, v31
	v_cvt_f32_f16_sdwa v29, v22 dst_sel:DWORD dst_unused:UNUSED_PAD src0_sel:WORD_1
	v_pack_b32_f16 v20, v17, v20
	v_cvt_f32_f16_e32 v30, v19
	v_pack_b32_f16 v17, v27, v28
	v_add_u32_e32 v28, v184, v176
	ds_read_u16 v27, v137 offset:192
	ds_read_u16 v32, v28 offset:272
	ds_read_u16 v33, v193 offset:544
	ds_read_u16 v34, v26 offset:192
	v_cvt_f32_f16_e32 v28, v22
	v_cvt_f32_f16_sdwa v31, v19 dst_sel:DWORD dst_unused:UNUSED_PAD src0_sel:WORD_1
	s_waitcnt lgkmcnt(2)
	v_perm_b32 v32, v32, v27, s72
	s_waitcnt lgkmcnt(0)
	v_perm_b32 v33, v34, v33, s72
	s_nop 1
	v_mfma_f32_16x16x16_f16 v[28:31], v[32:33], v[8:9], v[28:31]
	ds_read_u16 v32, v148 offset:8704
	s_nop 5
	v_cvt_f16_f32_e32 v19, v28
	v_add_u32_e32 v28, v135, v176
	ds_read_u16 v34, v28 offset:272
	ds_read_u16 v33, v149 offset:544
	v_add_u32_e32 v28, v184, v177
	ds_read_u16 v35, v28 offset:8704
	v_cvt_f16_f32_e32 v22, v29
	v_cvt_f16_f32_e32 v27, v30
	v_cvt_f16_f32_e32 v31, v31
	s_waitcnt lgkmcnt(2)
	v_perm_b32 v32, v34, v32, s72
	s_waitcnt lgkmcnt(0)
	v_perm_b32 v33, v35, v33, s72
	v_cvt_f32_f16_e32 v28, v19
	v_cvt_f32_f16_e32 v29, v22
	v_cvt_f32_f16_e32 v30, v27
	v_cvt_f32_f16_e32 v31, v31
	s_nop 1
	v_mfma_f32_16x16x16_f16 v[28:31], v[32:33], v[6:7], v[28:31]
	s_nop 6
	v_cvt_f16_f32_e32 v19, v28
	v_cvt_f16_f32_e32 v22, v29
	;; [unrolled: 1-line block ×4, first 2 shown]
	ds_read_u16 v30, v137 offset:224
	v_pack_b32_f16 v22, v19, v22
	v_cvt_f32_f16_sdwa v29, v24 dst_sel:DWORD dst_unused:UNUSED_PAD src0_sel:WORD_1
	v_pack_b32_f16 v19, v27, v28
	v_add_u32_e32 v27, v185, v176
	ds_read_u16 v31, v27 offset:272
	ds_read_u16 v32, v194 offset:544
	;; [unrolled: 1-line block ×3, first 2 shown]
	v_cvt_f32_f16_e32 v26, v25
	v_cvt_f32_f16_sdwa v27, v25 dst_sel:DWORD dst_unused:UNUSED_PAD src0_sel:WORD_1
	v_cvt_f32_f16_e32 v28, v24
	s_waitcnt lgkmcnt(2)
	v_perm_b32 v24, v31, v30, s72
	s_waitcnt lgkmcnt(0)
	v_perm_b32 v25, v33, v32, s72
	s_nop 1
	v_mfma_f32_16x16x16_f16 v[24:27], v[24:25], v[8:9], v[26:29]
	s_nop 2
	ds_read_u16 v28, v150 offset:8704
	s_nop 2
	v_cvt_f16_f32_e32 v8, v24
	v_add_u32_e32 v24, v136, v176
	ds_read_u16 v29, v24 offset:272
	ds_read_u16 v30, v151 offset:544
	v_add_u32_e32 v24, v185, v177
	ds_read_u16 v31, v24 offset:8704
	v_cvt_f16_f32_e32 v9, v25
	v_cvt_f16_f32_e32 v26, v26
	;; [unrolled: 1-line block ×3, first 2 shown]
	v_cvt_f32_f16_e32 v24, v8
	v_cvt_f32_f16_e32 v25, v9
	s_waitcnt lgkmcnt(0)
	v_perm_b32 v9, v31, v30, s72
	v_perm_b32 v8, v29, v28, s72
	v_cvt_f32_f16_e32 v26, v26
	v_cvt_f32_f16_e32 v27, v27
	s_barrier
	s_nop 0
	v_mfma_f32_16x16x16_f16 v[6:9], v[8:9], v[6:7], v[24:27]
	s_nop 6
	v_cvt_f16_f32_e32 v6, v6
	v_cvt_f16_f32_e32 v7, v7
	;; [unrolled: 1-line block ×4, first 2 shown]
	v_pack_b32_f16 v6, v6, v7
	v_pack_b32_f16 v7, v8, v9
	ds_bpermute_b32 v8, v13, v23
	s_waitcnt lgkmcnt(0)
	v_add_f32_e32 v8, v23, v8
	ds_bpermute_b32 v9, v21, v8
	s_waitcnt lgkmcnt(0)
	v_add_f32_e32 v13, v8, v9
	s_and_saveexec_b64 s[38:39], s[36:37]
	s_xor_b64 s[36:37], exec, s[38:39]
	s_andn2_saveexec_b64 s[36:37], s[36:37]
	s_cbranch_execz .LBB25_147
; %bb.146:                              ;   in Loop: Header=BB25_14 Depth=1
	global_load_dword v9, v2, s[26:27]
	v_max_f32_e32 v23, v12, v12
	s_waitcnt vmcnt(0)
	v_max_f32_e32 v8, v9, v9
	v_max_f32_e32 v8, v23, v8
	v_sub_f32_e32 v12, v12, v8
	v_mul_f32_e32 v23, 0x3fb8aa3b, v12
	v_fma_f32 v24, v12, s66, -v23
	v_rndne_f32_e32 v25, v23
	v_fmac_f32_e32 v24, 0x32a5705f, v12
	v_sub_f32_e32 v23, v23, v25
	v_add_f32_e32 v23, v23, v24
	v_exp_f32_e32 v23, v23
	v_cvt_i32_f32_e32 v24, v25
	v_cmp_ngt_f32_e32 vcc, s33, v12
	v_sub_f32_e32 v9, v9, v8
	v_ldexp_f32 v23, v23, v24
	v_cndmask_b32_e32 v23, 0, v23, vcc
	v_cmp_nlt_f32_e32 vcc, s67, v12
	s_nop 1
	v_cndmask_b32_e32 v23, v230, v23, vcc
	v_cmp_le_f32_e32 vcc, s71, v12
	s_nop 1
	v_cndmask_b32_e32 v12, 0, v23, vcc
	v_cvt_f16_f32_e32 v23, v12
	v_cmp_ngt_f32_e32 vcc, s33, v9
	v_pk_mul_f16 v4, v23, v4 op_sel_hi:[0,1]
	v_pk_mul_f16 v1, v23, v1 op_sel_hi:[0,1]
	;; [unrolled: 1-line block ×16, first 2 shown]
	v_mul_f32_e32 v23, 0x3fb8aa3b, v9
	v_fma_f32 v24, v9, s66, -v23
	v_rndne_f32_e32 v25, v23
	v_fmac_f32_e32 v24, 0x32a5705f, v9
	v_sub_f32_e32 v23, v23, v25
	v_add_f32_e32 v23, v23, v24
	v_exp_f32_e32 v23, v23
	v_cvt_i32_f32_e32 v24, v25
	v_ldexp_f32 v23, v23, v24
	v_cndmask_b32_e32 v23, 0, v23, vcc
	v_cmp_nlt_f32_e32 vcc, s67, v9
	s_nop 1
	v_cndmask_b32_e32 v9, v230, v23, vcc
	v_fmac_f32_e32 v9, v13, v12
	v_mov_b64_e32 v[12:13], v[8:9]
.LBB25_147:                             ;   in Loop: Header=BB25_14 Depth=1
	s_or_b64 exec, exec, s[36:37]
	s_mov_b64 s[36:37], exec
	v_readlane_b32 s38, v255, 10
	v_readlane_b32 s39, v255, 11
	s_and_b64 s[38:39], s[36:37], s[38:39]
	s_mov_b64 exec, s[38:39]
	s_cbranch_execz .LBB25_149
; %bb.148:                              ;   in Loop: Header=BB25_14 Depth=1
	v_add_u32_e32 v8, 0, v195
	ds_write2_b32 v8, v12, v13 offset0:64 offset1:65
.LBB25_149:                             ;   in Loop: Header=BB25_14 Depth=1
	s_or_b64 exec, exec, s[36:37]
	s_waitcnt lgkmcnt(0)
	s_barrier
	s_mov_b64 s[36:37], exec
	v_readlane_b32 s38, v255, 8
	v_readlane_b32 s39, v255, 9
	s_and_b64 s[38:39], s[36:37], s[38:39]
	s_xor_b64 s[36:37], s[38:39], s[36:37]
	s_mov_b64 exec, s[38:39]
	s_cbranch_execz .LBB25_151
; %bb.150:                              ;   in Loop: Header=BB25_14 Depth=1
	s_barrier
	s_waitcnt lgkmcnt(0)
                                        ; implicit-def: $vgpr21
.LBB25_151:                             ;   in Loop: Header=BB25_14 Depth=1
	s_andn2_saveexec_b64 s[36:37], s[36:37]
	s_cbranch_execz .LBB25_157
; %bb.152:                              ;   in Loop: Header=BB25_14 Depth=1
	v_add_u32_e32 v9, 0, v196
	ds_read_b64 v[24:25], v9 offset:256
	s_waitcnt lgkmcnt(0)
	s_barrier
	ds_bpermute_b32 v8, v21, v24
	v_max_f32_e32 v12, v24, v24
	s_waitcnt lgkmcnt(0)
	v_max_f32_e32 v8, v8, v8
	v_max_f32_e32 v8, v12, v8
	v_sub_f32_e32 v12, v24, v8
	v_mul_f32_e32 v13, 0x3fb8aa3b, v12
	v_fma_f32 v23, v12, s66, -v13
	v_rndne_f32_e32 v24, v13
	v_fmac_f32_e32 v23, 0x32a5705f, v12
	v_sub_f32_e32 v13, v13, v24
	v_add_f32_e32 v13, v13, v23
	v_cvt_i32_f32_e32 v24, v24
	v_exp_f32_e32 v13, v13
	v_cmp_ngt_f32_e32 vcc, s33, v12
	v_ldexp_f32 v13, v13, v24
	s_nop 0
	v_cndmask_b32_e32 v13, 0, v13, vcc
	v_cmp_nlt_f32_e32 vcc, s67, v12
	s_nop 1
	v_cndmask_b32_e32 v12, v230, v13, vcc
	v_mul_f32_e32 v13, v25, v12
	ds_bpermute_b32 v13, v21, v13
	s_waitcnt lgkmcnt(0)
	v_fmac_f32_e32 v13, v25, v12
	s_mov_b64 s[38:39], exec
	v_readlane_b32 s40, v255, 12
	v_readlane_b32 s41, v255, 13
	s_and_b64 s[40:41], s[38:39], s[40:41]
	s_mov_b64 exec, s[40:41]
	s_cbranch_execz .LBB25_154
; %bb.153:                              ;   in Loop: Header=BB25_14 Depth=1
	ds_write_b64 v9, v[12:13] offset:256
.LBB25_154:                             ;   in Loop: Header=BB25_14 Depth=1
	s_or_b64 exec, exec, s[38:39]
	s_mov_b64 s[38:39], exec
	v_readlane_b32 s40, v255, 10
	v_readlane_b32 s41, v255, 11
	s_and_b64 s[40:41], s[38:39], s[40:41]
	s_mov_b64 exec, s[40:41]
	s_cbranch_execz .LBB25_156
; %bb.155:                              ;   in Loop: Header=BB25_14 Depth=1
	v_mov_b32_e32 v9, v13
	global_store_dwordx2 v[60:61], v[8:9], off
.LBB25_156:                             ;   in Loop: Header=BB25_14 Depth=1
	s_or_b64 exec, exec, s[38:39]
.LBB25_157:                             ;   in Loop: Header=BB25_14 Depth=1
	s_or_b64 exec, exec, s[36:37]
	ds_write2_b32 v197, v4, v1 offset1:1
	ds_write2_b32 v197, v10, v3 offset0:8 offset1:9
	ds_write2_b32 v197, v14, v5 offset0:16 offset1:17
	;; [unrolled: 1-line block ×7, first 2 shown]
	s_waitcnt lgkmcnt(0)
	s_barrier
	s_mov_b64 s[36:37], exec
	v_readlane_b32 s38, v255, 6
	v_readlane_b32 s39, v255, 7
	s_and_b64 s[38:39], s[36:37], s[38:39]
	s_mov_b64 exec, s[38:39]
	s_cbranch_execz .LBB25_235
; %bb.158:                              ;   in Loop: Header=BB25_14 Depth=1
	v_add_u32_e32 v1, s91, v152
	v_cmp_gt_i32_e32 vcc, s80, v1
	v_mov_b32_e32 v3, 0x47
	s_and_saveexec_b64 s[38:39], vcc
	s_cbranch_execz .LBB25_160
; %bb.159:                              ;   in Loop: Header=BB25_14 Depth=1
	v_add_u32_e32 v3, 0, v200
	ds_read2st64_b32 v[4:5], v3 offset0:1 offset1:18
	ds_read2st64_b32 v[6:7], v201 offset1:17
	v_readlane_b32 s40, v254, 58
	v_mov_b32_e32 v3, 0
	s_waitcnt lgkmcnt(0)
	v_cvt_f32_f16_sdwa v11, v6 dst_sel:DWORD dst_unused:UNUSED_PAD src0_sel:WORD_1
	v_cvt_f32_f16_e32 v10, v6
	v_cvt_f32_f16_sdwa v13, v7 dst_sel:DWORD dst_unused:UNUSED_PAD src0_sel:WORD_1
	v_cvt_f32_f16_e32 v12, v7
	v_mad_u64_u32 v[8:9], s[40:41], s40, v1, v[38:39]
	v_readlane_b32 s40, v255, 18
	v_ashrrev_i32_e32 v9, 31, v8
	v_readlane_b32 s41, v255, 19
	v_pk_fma_f32 v[10:11], v[4:5], v[10:11], 0 op_sel_hi:[0,1,0]
	v_mov_b32_e32 v4, v5
	v_lshl_add_u64 v[8:9], v[8:9], 3, s[40:41]
	v_pk_fma_f32 v[4:5], v[4:5], v[12:13], v[10:11] op_sel_hi:[0,1,1]
	global_store_dwordx2 v[8:9], v[4:5], off
.LBB25_160:                             ;   in Loop: Header=BB25_14 Depth=1
	s_or_b64 exec, exec, s[38:39]
	s_movk_i32 s38, 0x47
	v_cmp_gt_i32_e32 vcc, s38, v3
	s_mov_b64 s[38:39], -1
	s_and_saveexec_b64 s[40:41], vcc
; %bb.161:                              ;   in Loop: Header=BB25_14 Depth=1
	v_cmp_eq_u32_e32 vcc, 0, v3
	s_orn2_b64 s[38:39], vcc, exec
; %bb.162:                              ;   in Loop: Header=BB25_14 Depth=1
	s_or_b64 exec, exec, s[40:41]
	s_and_b64 exec, exec, s[38:39]
	s_cbranch_execz .LBB25_235
; %bb.163:                              ;   in Loop: Header=BB25_14 Depth=1
	v_add_u32_e32 v1, s91, v153
	v_cmp_gt_i32_e32 vcc, s80, v1
	v_mov_b32_e32 v3, 0x47
	s_and_saveexec_b64 s[38:39], vcc
	s_cbranch_execz .LBB25_165
; %bb.164:                              ;   in Loop: Header=BB25_14 Depth=1
	v_add_u32_e32 v3, 0, v202
	ds_read2st64_b32 v[4:5], v3 offset0:1 offset1:18
	ds_read2st64_b32 v[6:7], v203 offset1:17
	v_readlane_b32 s40, v254, 58
	v_mov_b32_e32 v3, 0
	s_waitcnt lgkmcnt(0)
	v_cvt_f32_f16_sdwa v11, v6 dst_sel:DWORD dst_unused:UNUSED_PAD src0_sel:WORD_1
	v_cvt_f32_f16_e32 v10, v6
	v_cvt_f32_f16_sdwa v13, v7 dst_sel:DWORD dst_unused:UNUSED_PAD src0_sel:WORD_1
	v_cvt_f32_f16_e32 v12, v7
	v_mad_u64_u32 v[8:9], s[40:41], s40, v1, v[38:39]
	v_readlane_b32 s40, v255, 18
	v_ashrrev_i32_e32 v9, 31, v8
	v_readlane_b32 s41, v255, 19
	v_pk_fma_f32 v[10:11], v[4:5], v[10:11], 0 op_sel_hi:[0,1,0]
	v_mov_b32_e32 v4, v5
	v_lshl_add_u64 v[8:9], v[8:9], 3, s[40:41]
	v_pk_fma_f32 v[4:5], v[4:5], v[12:13], v[10:11] op_sel_hi:[0,1,1]
	global_store_dwordx2 v[8:9], v[4:5], off
.LBB25_165:                             ;   in Loop: Header=BB25_14 Depth=1
	s_or_b64 exec, exec, s[38:39]
	s_movk_i32 s38, 0x47
	v_cmp_gt_i32_e32 vcc, s38, v3
	s_mov_b64 s[38:39], -1
	s_and_saveexec_b64 s[40:41], vcc
; %bb.166:                              ;   in Loop: Header=BB25_14 Depth=1
	v_cmp_eq_u32_e32 vcc, 0, v3
	s_orn2_b64 s[38:39], vcc, exec
; %bb.167:                              ;   in Loop: Header=BB25_14 Depth=1
	s_or_b64 exec, exec, s[40:41]
	s_and_b64 exec, exec, s[38:39]
	;; [unrolled: 39-line block ×3, first 2 shown]
	s_cbranch_execz .LBB25_235
; %bb.173:                              ;   in Loop: Header=BB25_14 Depth=1
	v_add_u32_e32 v1, s91, v155
	v_cmp_gt_i32_e32 vcc, s80, v1
	v_mov_b32_e32 v3, 0x47
	s_and_saveexec_b64 s[38:39], vcc
	s_cbranch_execz .LBB25_175
; %bb.174:                              ;   in Loop: Header=BB25_14 Depth=1
	scratch_load_dword v3, off, off offset:16 ; 4-byte Folded Reload
	v_readlane_b32 s40, v254, 58
	s_waitcnt vmcnt(0)
	v_add_u32_e32 v3, 0, v3
	ds_read2st64_b32 v[4:5], v3 offset0:1 offset1:18
	scratch_load_dword v3, off, off offset:20 ; 4-byte Folded Reload
	v_mad_u64_u32 v[8:9], s[40:41], s40, v1, v[38:39]
	v_readlane_b32 s40, v255, 18
	v_ashrrev_i32_e32 v9, 31, v8
	v_readlane_b32 s41, v255, 19
	s_waitcnt vmcnt(0)
	ds_read2st64_b32 v[6:7], v3 offset1:17
	v_lshl_add_u64 v[8:9], v[8:9], 3, s[40:41]
	v_mov_b32_e32 v3, 0
	s_waitcnt lgkmcnt(0)
	v_cvt_f32_f16_sdwa v11, v6 dst_sel:DWORD dst_unused:UNUSED_PAD src0_sel:WORD_1
	v_cvt_f32_f16_e32 v10, v6
	v_cvt_f32_f16_sdwa v13, v7 dst_sel:DWORD dst_unused:UNUSED_PAD src0_sel:WORD_1
	v_cvt_f32_f16_e32 v12, v7
	v_pk_fma_f32 v[10:11], v[4:5], v[10:11], 0 op_sel_hi:[0,1,0]
	v_mov_b32_e32 v4, v5
	v_pk_fma_f32 v[4:5], v[4:5], v[12:13], v[10:11] op_sel_hi:[0,1,1]
	global_store_dwordx2 v[8:9], v[4:5], off
.LBB25_175:                             ;   in Loop: Header=BB25_14 Depth=1
	s_or_b64 exec, exec, s[38:39]
	s_movk_i32 s38, 0x47
	v_cmp_gt_i32_e32 vcc, s38, v3
	s_mov_b64 s[38:39], -1
	s_and_saveexec_b64 s[40:41], vcc
; %bb.176:                              ;   in Loop: Header=BB25_14 Depth=1
	v_cmp_eq_u32_e32 vcc, 0, v3
	s_orn2_b64 s[38:39], vcc, exec
; %bb.177:                              ;   in Loop: Header=BB25_14 Depth=1
	s_or_b64 exec, exec, s[40:41]
	s_and_b64 exec, exec, s[38:39]
	s_cbranch_execz .LBB25_235
; %bb.178:                              ;   in Loop: Header=BB25_14 Depth=1
	v_add_u32_e32 v1, s91, v156
	v_cmp_gt_i32_e32 vcc, s80, v1
	v_mov_b32_e32 v3, 0x47
	s_and_saveexec_b64 s[38:39], vcc
	s_cbranch_execz .LBB25_180
; %bb.179:                              ;   in Loop: Header=BB25_14 Depth=1
	scratch_load_dword v3, off, off offset:24 ; 4-byte Folded Reload
	v_readlane_b32 s40, v254, 58
	s_waitcnt vmcnt(0)
	v_add_u32_e32 v3, 0, v3
	ds_read2st64_b32 v[4:5], v3 offset0:1 offset1:18
	scratch_load_dword v3, off, off offset:28 ; 4-byte Folded Reload
	v_mad_u64_u32 v[8:9], s[40:41], s40, v1, v[38:39]
	v_readlane_b32 s40, v255, 18
	v_ashrrev_i32_e32 v9, 31, v8
	v_readlane_b32 s41, v255, 19
	s_waitcnt vmcnt(0)
	ds_read2st64_b32 v[6:7], v3 offset1:17
	v_lshl_add_u64 v[8:9], v[8:9], 3, s[40:41]
	v_mov_b32_e32 v3, 0
	s_waitcnt lgkmcnt(0)
	v_cvt_f32_f16_sdwa v11, v6 dst_sel:DWORD dst_unused:UNUSED_PAD src0_sel:WORD_1
	v_cvt_f32_f16_e32 v10, v6
	v_cvt_f32_f16_sdwa v13, v7 dst_sel:DWORD dst_unused:UNUSED_PAD src0_sel:WORD_1
	v_cvt_f32_f16_e32 v12, v7
	v_pk_fma_f32 v[10:11], v[4:5], v[10:11], 0 op_sel_hi:[0,1,0]
	v_mov_b32_e32 v4, v5
	v_pk_fma_f32 v[4:5], v[4:5], v[12:13], v[10:11] op_sel_hi:[0,1,1]
	global_store_dwordx2 v[8:9], v[4:5], off
.LBB25_180:                             ;   in Loop: Header=BB25_14 Depth=1
	s_or_b64 exec, exec, s[38:39]
	s_movk_i32 s38, 0x47
	v_cmp_gt_i32_e32 vcc, s38, v3
	s_mov_b64 s[38:39], -1
	s_and_saveexec_b64 s[40:41], vcc
; %bb.181:                              ;   in Loop: Header=BB25_14 Depth=1
	v_cmp_eq_u32_e32 vcc, 0, v3
	s_orn2_b64 s[38:39], vcc, exec
; %bb.182:                              ;   in Loop: Header=BB25_14 Depth=1
	s_or_b64 exec, exec, s[40:41]
	s_and_b64 exec, exec, s[38:39]
	s_cbranch_execz .LBB25_235
; %bb.183:                              ;   in Loop: Header=BB25_14 Depth=1
	v_add_u32_e32 v1, s91, v157
	v_cmp_gt_i32_e32 vcc, s80, v1
	v_mov_b32_e32 v3, 0x47
	s_and_saveexec_b64 s[38:39], vcc
	s_cbranch_execz .LBB25_185
; %bb.184:                              ;   in Loop: Header=BB25_14 Depth=1
	scratch_load_dword v3, off, off offset:32 ; 4-byte Folded Reload
	v_readlane_b32 s40, v254, 58
	s_waitcnt vmcnt(0)
	v_add_u32_e32 v3, 0, v3
	ds_read2st64_b32 v[4:5], v3 offset0:1 offset1:18
	scratch_load_dword v3, off, off offset:36 ; 4-byte Folded Reload
	v_mad_u64_u32 v[8:9], s[40:41], s40, v1, v[38:39]
	v_readlane_b32 s40, v255, 18
	v_ashrrev_i32_e32 v9, 31, v8
	v_readlane_b32 s41, v255, 19
	s_waitcnt vmcnt(0)
	ds_read2st64_b32 v[6:7], v3 offset1:17
	v_lshl_add_u64 v[8:9], v[8:9], 3, s[40:41]
	v_mov_b32_e32 v3, 0
	s_waitcnt lgkmcnt(0)
	v_cvt_f32_f16_sdwa v11, v6 dst_sel:DWORD dst_unused:UNUSED_PAD src0_sel:WORD_1
	v_cvt_f32_f16_e32 v10, v6
	v_cvt_f32_f16_sdwa v13, v7 dst_sel:DWORD dst_unused:UNUSED_PAD src0_sel:WORD_1
	v_cvt_f32_f16_e32 v12, v7
	v_pk_fma_f32 v[10:11], v[4:5], v[10:11], 0 op_sel_hi:[0,1,0]
	v_mov_b32_e32 v4, v5
	v_pk_fma_f32 v[4:5], v[4:5], v[12:13], v[10:11] op_sel_hi:[0,1,1]
	global_store_dwordx2 v[8:9], v[4:5], off
.LBB25_185:                             ;   in Loop: Header=BB25_14 Depth=1
	s_or_b64 exec, exec, s[38:39]
	s_movk_i32 s38, 0x47
	v_cmp_gt_i32_e32 vcc, s38, v3
	s_mov_b64 s[38:39], -1
	s_and_saveexec_b64 s[40:41], vcc
; %bb.186:                              ;   in Loop: Header=BB25_14 Depth=1
	v_cmp_eq_u32_e32 vcc, 0, v3
	s_orn2_b64 s[38:39], vcc, exec
; %bb.187:                              ;   in Loop: Header=BB25_14 Depth=1
	s_or_b64 exec, exec, s[40:41]
	s_and_b64 exec, exec, s[38:39]
	s_cbranch_execz .LBB25_235
; %bb.188:                              ;   in Loop: Header=BB25_14 Depth=1
	v_add_u32_e32 v1, 12, v152
	v_add_u32_e32 v1, s91, v1
	v_cmp_gt_i32_e32 vcc, s80, v1
	v_mov_b32_e32 v3, 0x47
	s_and_saveexec_b64 s[38:39], vcc
	s_cbranch_execz .LBB25_190
; %bb.189:                              ;   in Loop: Header=BB25_14 Depth=1
	scratch_load_dword v3, off, off offset:40 ; 4-byte Folded Reload
	v_readlane_b32 s40, v254, 58
	s_waitcnt vmcnt(0)
	v_add_u32_e32 v3, 0, v3
	ds_read2st64_b32 v[4:5], v3 offset0:1 offset1:18
	scratch_load_dword v3, off, off offset:44 ; 4-byte Folded Reload
	v_mad_u64_u32 v[8:9], s[40:41], s40, v1, v[38:39]
	v_readlane_b32 s40, v255, 18
	v_ashrrev_i32_e32 v9, 31, v8
	v_readlane_b32 s41, v255, 19
	s_waitcnt vmcnt(0)
	ds_read2st64_b32 v[6:7], v3 offset1:17
	v_lshl_add_u64 v[8:9], v[8:9], 3, s[40:41]
	v_mov_b32_e32 v3, 0
	s_waitcnt lgkmcnt(0)
	v_cvt_f32_f16_sdwa v11, v6 dst_sel:DWORD dst_unused:UNUSED_PAD src0_sel:WORD_1
	v_cvt_f32_f16_e32 v10, v6
	v_cvt_f32_f16_sdwa v13, v7 dst_sel:DWORD dst_unused:UNUSED_PAD src0_sel:WORD_1
	v_cvt_f32_f16_e32 v12, v7
	v_pk_fma_f32 v[10:11], v[4:5], v[10:11], 0 op_sel_hi:[0,1,0]
	v_mov_b32_e32 v4, v5
	v_pk_fma_f32 v[4:5], v[4:5], v[12:13], v[10:11] op_sel_hi:[0,1,1]
	global_store_dwordx2 v[8:9], v[4:5], off
.LBB25_190:                             ;   in Loop: Header=BB25_14 Depth=1
	s_or_b64 exec, exec, s[38:39]
	s_movk_i32 s38, 0x47
	v_cmp_gt_i32_e32 vcc, s38, v3
	s_mov_b64 s[38:39], -1
	s_and_saveexec_b64 s[40:41], vcc
; %bb.191:                              ;   in Loop: Header=BB25_14 Depth=1
	v_cmp_eq_u32_e32 vcc, 0, v3
	s_orn2_b64 s[38:39], vcc, exec
; %bb.192:                              ;   in Loop: Header=BB25_14 Depth=1
	s_or_b64 exec, exec, s[40:41]
	s_and_b64 exec, exec, s[38:39]
	s_cbranch_execz .LBB25_235
; %bb.193:                              ;   in Loop: Header=BB25_14 Depth=1
	v_add_u32_e32 v1, 14, v152
	v_add_u32_e32 v1, s91, v1
	v_cmp_gt_i32_e32 vcc, s80, v1
	v_mov_b32_e32 v3, 0x47
	s_and_saveexec_b64 s[38:39], vcc
	s_cbranch_execz .LBB25_195
; %bb.194:                              ;   in Loop: Header=BB25_14 Depth=1
	scratch_load_dword v3, off, off offset:48 ; 4-byte Folded Reload
	v_readlane_b32 s40, v254, 58
	s_waitcnt vmcnt(0)
	v_add_u32_e32 v3, 0, v3
	ds_read2st64_b32 v[4:5], v3 offset0:1 offset1:18
	scratch_load_dword v3, off, off offset:52 ; 4-byte Folded Reload
	v_mad_u64_u32 v[8:9], s[40:41], s40, v1, v[38:39]
	v_readlane_b32 s40, v255, 18
	v_ashrrev_i32_e32 v9, 31, v8
	v_readlane_b32 s41, v255, 19
	s_waitcnt vmcnt(0)
	ds_read2st64_b32 v[6:7], v3 offset1:17
	v_lshl_add_u64 v[8:9], v[8:9], 3, s[40:41]
	v_mov_b32_e32 v3, 0
	s_waitcnt lgkmcnt(0)
	v_cvt_f32_f16_sdwa v11, v6 dst_sel:DWORD dst_unused:UNUSED_PAD src0_sel:WORD_1
	v_cvt_f32_f16_e32 v10, v6
	v_cvt_f32_f16_sdwa v13, v7 dst_sel:DWORD dst_unused:UNUSED_PAD src0_sel:WORD_1
	v_cvt_f32_f16_e32 v12, v7
	v_pk_fma_f32 v[10:11], v[4:5], v[10:11], 0 op_sel_hi:[0,1,0]
	v_mov_b32_e32 v4, v5
	v_pk_fma_f32 v[4:5], v[4:5], v[12:13], v[10:11] op_sel_hi:[0,1,1]
	global_store_dwordx2 v[8:9], v[4:5], off
.LBB25_195:                             ;   in Loop: Header=BB25_14 Depth=1
	s_or_b64 exec, exec, s[38:39]
	s_movk_i32 s38, 0x47
	v_cmp_gt_i32_e32 vcc, s38, v3
	s_mov_b64 s[38:39], -1
	s_and_saveexec_b64 s[40:41], vcc
; %bb.196:                              ;   in Loop: Header=BB25_14 Depth=1
	v_cmp_eq_u32_e32 vcc, 0, v3
	s_orn2_b64 s[38:39], vcc, exec
; %bb.197:                              ;   in Loop: Header=BB25_14 Depth=1
	s_or_b64 exec, exec, s[40:41]
	s_and_b64 exec, exec, s[38:39]
	;; [unrolled: 44-line block ×9, first 2 shown]
	s_cbranch_execz .LBB25_235
; %bb.233:                              ;   in Loop: Header=BB25_14 Depth=1
	v_add_u32_e32 v1, 30, v152
	v_add_u32_e32 v1, s91, v1
	v_cmp_gt_i32_e32 vcc, s80, v1
	s_and_b64 exec, exec, vcc
	s_cbranch_execz .LBB25_235
; %bb.234:                              ;   in Loop: Header=BB25_14 Depth=1
	scratch_load_dword v3, off, off offset:112 ; 4-byte Folded Reload
	v_readlane_b32 s38, v254, 58
	s_waitcnt vmcnt(0)
	v_add_u32_e32 v3, 0, v3
	ds_read2st64_b32 v[4:5], v3 offset0:1 offset1:18
	scratch_load_dword v3, off, off offset:116 ; 4-byte Folded Reload
	v_mad_u64_u32 v[8:9], s[38:39], s38, v1, v[38:39]
	v_readlane_b32 s38, v255, 18
	v_ashrrev_i32_e32 v9, 31, v8
	v_readlane_b32 s39, v255, 19
	s_waitcnt vmcnt(0)
	ds_read2st64_b32 v[6:7], v3 offset1:17
	v_lshl_add_u64 v[8:9], v[8:9], 3, s[38:39]
	s_waitcnt lgkmcnt(0)
	v_cvt_f32_f16_sdwa v11, v6 dst_sel:DWORD dst_unused:UNUSED_PAD src0_sel:WORD_1
	v_cvt_f32_f16_e32 v10, v6
	v_cvt_f32_f16_sdwa v13, v7 dst_sel:DWORD dst_unused:UNUSED_PAD src0_sel:WORD_1
	v_cvt_f32_f16_e32 v12, v7
	v_pk_fma_f32 v[10:11], v[4:5], v[10:11], 0 op_sel_hi:[0,1,0]
	v_mov_b32_e32 v4, v5
	v_pk_fma_f32 v[4:5], v[4:5], v[12:13], v[10:11] op_sel_hi:[0,1,1]
	global_store_dwordx2 v[8:9], v[4:5], off
.LBB25_235:                             ;   in Loop: Header=BB25_14 Depth=1
	s_or_b64 exec, exec, s[36:37]
	s_barrier
	s_branch .LBB25_13
.LBB25_236:                             ;   in Loop: Header=BB25_14 Depth=1
	s_lshl_b32 s64, s69, 5
	v_add_u32_e32 v228, s64, v116
	v_cmp_le_i32_e32 vcc, s80, v228
	s_and_saveexec_b64 s[36:37], vcc
	s_xor_b64 s[36:37], exec, s[36:37]
	s_cbranch_execz .LBB25_238
; %bb.237:                              ;   in Loop: Header=BB25_14 Depth=1
	ds_write_b32 v198, v2
.LBB25_238:                             ;   in Loop: Header=BB25_14 Depth=1
	s_andn2_saveexec_b64 s[36:37], s[36:37]
	s_cbranch_execz .LBB25_240
; %bb.239:                              ;   in Loop: Header=BB25_14 Depth=1
	v_readlane_b32 s38, v254, 16
	s_nop 1
	v_mad_u64_u32 v[4:5], s[38:39], v228, s38, v[38:39]
	v_ashrrev_i32_e32 v5, 31, v4
	v_lshl_add_u64 v[4:5], v[4:5], 3, s[98:99]
	global_load_dwordx2 v[4:5], v[4:5], off
	s_waitcnt vmcnt(0)
	v_cvt_f16_f32_e32 v1, v4
	v_cvt_f16_f32_e32 v3, v5
	v_pack_b32_f16 v1, v1, v3
	v_pk_mul_f16 v1, v39, v1
	ds_write_b32 v198, v1
.LBB25_240:                             ;   in Loop: Header=BB25_14 Depth=1
	s_or_b64 exec, exec, s[36:37]
	v_add_u32_e32 v227, s64, v125
	v_cmp_le_i32_e32 vcc, s80, v227
	s_and_saveexec_b64 s[36:37], vcc
	s_xor_b64 s[36:37], exec, s[36:37]
	s_cbranch_execz .LBB25_242
; %bb.241:                              ;   in Loop: Header=BB25_14 Depth=1
	ds_write_b32 v198, v2 offset:1088
.LBB25_242:                             ;   in Loop: Header=BB25_14 Depth=1
	s_andn2_saveexec_b64 s[36:37], s[36:37]
	s_cbranch_execz .LBB25_244
; %bb.243:                              ;   in Loop: Header=BB25_14 Depth=1
	v_readlane_b32 s38, v254, 16
	s_nop 1
	v_mad_u64_u32 v[4:5], s[38:39], v227, s38, v[38:39]
	v_ashrrev_i32_e32 v5, 31, v4
	v_lshl_add_u64 v[4:5], v[4:5], 3, s[98:99]
	global_load_dwordx2 v[4:5], v[4:5], off
	s_waitcnt vmcnt(0)
	v_cvt_f16_f32_e32 v1, v4
	v_cvt_f16_f32_e32 v3, v5
	v_pack_b32_f16 v1, v1, v3
	v_pk_mul_f16 v1, v39, v1
	ds_write_b32 v198, v1 offset:1088
.LBB25_244:                             ;   in Loop: Header=BB25_14 Depth=1
	s_or_b64 exec, exec, s[36:37]
	v_add_u32_e32 v225, s64, v124
	v_cmp_le_i32_e32 vcc, s80, v225
	s_and_saveexec_b64 s[36:37], vcc
	s_xor_b64 s[36:37], exec, s[36:37]
	s_cbranch_execz .LBB25_246
; %bb.245:                              ;   in Loop: Header=BB25_14 Depth=1
	ds_write_b32 v198, v2 offset:2176
.LBB25_246:                             ;   in Loop: Header=BB25_14 Depth=1
	s_andn2_saveexec_b64 s[36:37], s[36:37]
	s_cbranch_execz .LBB25_248
; %bb.247:                              ;   in Loop: Header=BB25_14 Depth=1
	v_readlane_b32 s38, v254, 16
	s_nop 1
	v_mad_u64_u32 v[4:5], s[38:39], v225, s38, v[38:39]
	v_ashrrev_i32_e32 v5, 31, v4
	v_lshl_add_u64 v[4:5], v[4:5], 3, s[98:99]
	global_load_dwordx2 v[4:5], v[4:5], off
	s_waitcnt vmcnt(0)
	v_cvt_f16_f32_e32 v1, v4
	v_cvt_f16_f32_e32 v3, v5
	v_pack_b32_f16 v1, v1, v3
	v_pk_mul_f16 v1, v39, v1
	ds_write_b32 v198, v1 offset:2176
.LBB25_248:                             ;   in Loop: Header=BB25_14 Depth=1
	;; [unrolled: 25-line block ×7, first 2 shown]
	s_or_b64 exec, exec, s[36:37]
	s_waitcnt lgkmcnt(0)
	s_barrier
	ds_read2_b64 v[18:21], v168 offset1:4
	ds_read2_b64 v[14:17], v168 offset0:8 offset1:12
	ds_read2_b64 v[10:13], v168 offset0:16 offset1:20
	;; [unrolled: 1-line block ×3, first 2 shown]
	v_cmp_gt_i32_e32 vcc, 2, v102
	v_mov_b32_e32 v223, 0
	s_waitcnt lgkmcnt(0)
	s_barrier
	s_cbranch_vccnz .LBB25_313
; %bb.269:                              ;   in Loop: Header=BB25_14 Depth=1
	v_mul_hi_u32 v4, s96, v227
	v_add_u32_e32 v4, v227, v4
	v_lshrrev_b32_e32 v4, s97, v4
	v_mul_lo_u32 v4, v4, s80
	v_sub_u32_e32 v22, v227, v4
	v_mul_hi_u32 v4, s96, v225
	v_add_u32_e32 v4, v225, v4
	v_lshrrev_b32_e32 v4, s97, v4
	v_mul_lo_u32 v4, v4, s80
	v_sub_u32_e32 v23, v225, v4
	;; [unrolled: 5-line block ×6, first 2 shown]
	v_mul_hi_u32 v4, s96, v222
	v_add_u32_e32 v4, v222, v4
	v_lshrrev_b32_e32 v4, s97, v4
	v_mul_lo_u32 v4, v4, s80
	s_cmp_lg_u64 s[86:87], 0
	v_sub_u32_e32 v28, v222, v4
	v_and_b32_e32 v4, 64, v232
	v_readlane_b32 s38, v255, 20
	v_readlane_b32 s39, v255, 21
	s_cselect_b64 s[36:37], -1, 0
	v_add_u32_e32 v4, 64, v4
	v_xor_b32_e32 v5, 32, v232
	s_add_u32 s38, s38, s39
	v_cmp_lt_i32_e32 vcc, v5, v4
	s_addc_u32 s39, s88, s52
	v_mul_hi_u32 v3, s96, v228
	v_cndmask_b32_e32 v5, v232, v5, vcc
	v_lshl_add_u64 v[84:85], v[64:65], 0, s[38:39]
	v_lshl_add_u64 v[86:87], v[66:67], 0, s[38:39]
	;; [unrolled: 1-line block ×4, first 2 shown]
	v_readlane_b32 s38, v255, 22
	v_readlane_b32 s39, v255, 23
	v_add_u32_e32 v3, v228, v3
	v_lshlrev_b32_e32 v216, 2, v5
	v_xor_b32_e32 v5, 16, v232
	s_add_u32 s38, s38, s39
	v_lshrrev_b32_e32 v3, s97, v3
	v_cmp_lt_i32_e32 vcc, v5, v4
	s_addc_u32 s39, s68, s75
	v_mul_lo_u32 v3, v3, s80
	v_cndmask_b32_e32 v4, v232, v5, vcc
	v_lshl_add_u64 v[92:93], v[72:73], 0, s[38:39]
	v_lshl_add_u64 v[94:95], v[74:75], 0, s[38:39]
	;; [unrolled: 1-line block ×4, first 2 shown]
	v_readlane_b32 s38, v255, 16
	v_add_u32_e32 v214, -1, v102
	v_sub_u32_e32 v3, v228, v3
	v_lshlrev_b32_e32 v217, 2, v4
	v_mov_b64_e32 v[4:5], s[86:87]
	v_readlane_b32 s39, v255, 17
	s_mov_b32 s40, s38
	v_mov_b32_e32 v165, 0
	v_mov_b32_e32 v82, v80
	;; [unrolled: 1-line block ×3, first 2 shown]
	v_mad_i64_i32 v[100:101], s[38:39], s40, v24, v[4:5]
	v_mad_i64_i32 v[102:103], s[38:39], s40, v23, v[4:5]
	;; [unrolled: 1-line block ×8, first 2 shown]
	v_mov_b32_e32 v163, 0
	v_mov_b32_e32 v166, 0xfeffffff
	;; [unrolled: 1-line block ×18, first 2 shown]
	s_andn2_b64 vcc, exec, s[36:37]
	s_cbranch_vccnz .LBB25_275
.LBB25_270:                             ;   in Loop: Header=BB25_14 Depth=1
                                        ; implicit-def: $sgpr40
	s_and_saveexec_b64 s[38:39], s[0:1]
	s_xor_b64 s[38:39], exec, s[38:39]
	s_cbranch_execz .LBB25_272
; %bb.271:                              ;   in Loop: Header=BB25_14 Depth=1
	ds_write_b16 v167, v2 offset:17408
	ds_write_b16 v233, v2 offset:17408
	;; [unrolled: 1-line block ×4, first 2 shown]
	s_mov_b32 s40, 0
.LBB25_272:                             ;   in Loop: Header=BB25_14 Depth=1
	s_or_saveexec_b64 s[38:39], s[38:39]
	v_mov_b32_e32 v3, s40
	v_mov_b32_e32 v4, s40
	;; [unrolled: 1-line block ×4, first 2 shown]
	s_xor_b64 exec, exec, s[38:39]
	s_cbranch_execz .LBB25_274
; %bb.273:                              ;   in Loop: Header=BB25_14 Depth=1
	v_lshl_add_u64 v[4:5], v[106:107], 0, v[42:43]
	flat_load_ushort v3, v[4:5]
	v_lshl_add_u64 v[4:5], v[104:105], 0, v[42:43]
	flat_load_ushort v22, v[4:5]
	;; [unrolled: 2-line block ×4, first 2 shown]
	s_waitcnt vmcnt(0) lgkmcnt(0)
	ds_write_b16 v167, v3 offset:17408
	ds_write_b16 v233, v22 offset:17408
	ds_write_b16 v234, v23 offset:17408
	ds_write_b16 v235, v4 offset:17408
	v_lshl_add_u64 v[4:5], v[114:115], 0, v[42:43]
	flat_load_ushort v3, v[4:5]
	v_lshl_add_u64 v[4:5], v[112:113], 0, v[42:43]
	v_lshl_add_u64 v[22:23], v[110:111], 0, v[42:43]
	flat_load_ushort v4, v[4:5]
	s_nop 0
	flat_load_ushort v5, v[22:23]
	v_lshl_add_u64 v[22:23], v[108:109], 0, v[42:43]
	flat_load_ushort v22, v[22:23]
.LBB25_274:                             ;   in Loop: Header=BB25_14 Depth=1
	s_or_b64 exec, exec, s[38:39]
	s_waitcnt vmcnt(0) lgkmcnt(0)
	ds_write_b16 v236, v3 offset:17408
	ds_write_b16 v237, v4 offset:17408
	;; [unrolled: 1-line block ×4, first 2 shown]
.LBB25_275:                             ;   Parent Loop BB25_14 Depth=1
                                        ; =>  This Inner Loop Header: Depth=2
	v_mov_b32_e32 v3, v2
	v_mov_b32_e32 v4, v2
	;; [unrolled: 1-line block ×3, first 2 shown]
	scratch_store_dwordx4 off, v[2:5], off
	v_mov_b32_e32 v26, s28
	s_nop 0
	v_lshl_add_u64 v[4:5], v[92:93], 0, v[62:63]
	v_mov_b32_e32 v3, s29
	v_cndmask_b32_e64 v5, v3, v5, s[78:79]
	v_cndmask_b32_e64 v4, v26, v4, s[78:79]
	flat_load_dwordx4 v[22:25], v[4:5]
	v_lshl_add_u64 v[4:5], v[94:95], 0, v[62:63]
	v_cndmask_b32_e64 v5, v3, v5, s[4:5]
	v_cndmask_b32_e64 v4, v26, v4, s[4:5]
	s_waitcnt vmcnt(0) lgkmcnt(0)
	ds_write_b128 v128, v[22:25]
	flat_load_dwordx4 v[22:25], v[4:5]
	v_lshl_add_u64 v[4:5], v[96:97], 0, v[62:63]
	v_cndmask_b32_e64 v5, v3, v5, s[6:7]
	v_cndmask_b32_e64 v4, v26, v4, s[6:7]
	s_waitcnt vmcnt(0) lgkmcnt(0)
	ds_write_b128 v241, v[22:25]
	flat_load_dwordx4 v[22:25], v[4:5]
	v_lshl_add_u64 v[4:5], v[98:99], 0, v[62:63]
	v_cndmask_b32_e64 v5, v3, v5, s[8:9]
	v_cndmask_b32_e64 v4, v26, v4, s[8:9]
	v_add_u32_e32 v3, v126, v169
	s_waitcnt vmcnt(0) lgkmcnt(0)
	ds_write_b128 v243, v[22:25]
	flat_load_dwordx4 v[22:25], v[4:5]
	s_waitcnt vmcnt(0) lgkmcnt(0)
	ds_write_b128 v245, v[22:25]
	s_waitcnt lgkmcnt(0)
	s_barrier
	ds_read2_b64 v[22:25], v3 offset1:4
	s_waitcnt lgkmcnt(0)
	v_mfma_f32_16x16x16_f16 v[26:29], v[22:23], v[18:19], 0
	v_mfma_f32_16x16x16_f16 v[22:25], v[24:25], v[20:21], v[26:29]
	s_nop 5
	ds_read2_b64 v[26:29], v3 offset0:8 offset1:12
	s_waitcnt lgkmcnt(0)
	v_mfma_f32_16x16x16_f16 v[22:25], v[26:27], v[14:15], v[22:25]
	v_mfma_f32_16x16x16_f16 v[22:25], v[28:29], v[16:17], v[22:25]
	ds_read2_b64 v[26:29], v3 offset0:16 offset1:20
	s_waitcnt lgkmcnt(0)
	v_mfma_f32_16x16x16_f16 v[22:25], v[26:27], v[10:11], v[22:25]
	v_mfma_f32_16x16x16_f16 v[22:25], v[28:29], v[12:13], v[22:25]
	ds_read2_b64 v[26:29], v3 offset0:24 offset1:28
	v_add_u32_e32 v3, 0x2000, v3
	s_waitcnt lgkmcnt(0)
	v_mfma_f32_16x16x16_f16 v[22:25], v[26:27], v[6:7], v[22:25]
	v_mfma_f32_16x16x16_f16 v[22:25], v[28:29], v[8:9], v[22:25]
	ds_read2_b64 v[26:29], v3 offset0:64 offset1:68
	s_waitcnt lgkmcnt(0)
	v_mfma_f32_16x16x16_f16 v[30:33], v[26:27], v[18:19], 0
	s_nop 3
	v_cmp_nlt_f32_e64 s[38:39], |v22|, s70
	v_mfma_f32_16x16x16_f16 v[26:29], v[28:29], v[20:21], v[30:33]
	s_nop 2
	ds_read2_b64 v[30:33], v3 offset0:72 offset1:76
	s_waitcnt lgkmcnt(0)
	v_mfma_f32_16x16x16_f16 v[26:29], v[30:31], v[14:15], v[26:29]
	v_mfma_f32_16x16x16_f16 v[26:29], v[32:33], v[16:17], v[26:29]
	ds_read2_b64 v[30:33], v3 offset0:80 offset1:84
	s_waitcnt lgkmcnt(0)
	v_mfma_f32_16x16x16_f16 v[26:29], v[30:31], v[10:11], v[26:29]
	v_mfma_f32_16x16x16_f16 v[26:29], v[32:33], v[12:13], v[26:29]
	ds_read2_b64 v[30:33], v3 offset0:88 offset1:92
	s_waitcnt lgkmcnt(0)
	s_barrier
	v_mfma_f32_16x16x16_f16 v[26:29], v[30:31], v[6:7], v[26:29]
	s_waitcnt lgkmcnt(0)
                                        ; implicit-def: $vgpr3
	v_mfma_f32_16x16x16_f16 v[26:29], v[32:33], v[8:9], v[26:29]
	s_and_saveexec_b64 s[40:41], s[38:39]
	s_xor_b64 s[38:39], exec, s[40:41]
	s_cbranch_execz .LBB25_277
; %bb.276:                              ;   in Loop: Header=BB25_275 Depth=2
	v_add_f32_e64 v3, |v22|, |v22|
	v_mul_f32_e32 v4, 0x3fb8aa3b, v3
	v_rndne_f32_e32 v5, v4
	v_sub_f32_e32 v30, v4, v5
	v_fma_f32 v4, v3, s66, -v4
	v_fmac_f32_e32 v4, 0x32a5705f, v3
	v_add_f32_e32 v4, v30, v4
	v_cvt_i32_f32_e32 v5, v5
	v_exp_f32_e32 v4, v4
	v_cmp_ngt_f32_e32 vcc, s33, v3
	v_ldexp_f32 v4, v4, v5
	s_nop 0
	v_cndmask_b32_e32 v4, 0, v4, vcc
	v_cmp_nlt_f32_e32 vcc, s67, v3
	s_nop 1
	v_cndmask_b32_e32 v3, v230, v4, vcc
	v_add_f32_e32 v3, 1.0, v3
	v_rcp_f32_e32 v3, v3
	s_nop 0
	v_fma_f32 v3, v3, -2.0, 1.0
.LBB25_277:                             ;   in Loop: Header=BB25_275 Depth=2
	s_andn2_saveexec_b64 s[38:39], s[38:39]
; %bb.278:                              ;   in Loop: Header=BB25_275 Depth=2
	v_mul_f32_e32 v3, v22, v22
	v_fmamk_f32 v4, v3, 0xbbbac73d, v252
	v_fmaak_f32 v4, v3, v4, 0xbd5c1c4e
	v_fmaak_f32 v4, v3, v4, 0x3e088382
	;; [unrolled: 1-line block ×3, first 2 shown]
	v_mul_f32_e64 v4, |v22|, v4
	v_fma_f32 v3, v3, v4, |v22|
; %bb.279:                              ;   in Loop: Header=BB25_275 Depth=2
	s_or_b64 exec, exec, s[38:39]
	v_cmp_nlt_f32_e64 s[38:39], |v23|, s70
                                        ; implicit-def: $vgpr4
	s_and_saveexec_b64 s[40:41], s[38:39]
	s_xor_b64 s[38:39], exec, s[40:41]
	s_cbranch_execz .LBB25_281
; %bb.280:                              ;   in Loop: Header=BB25_275 Depth=2
	v_add_f32_e64 v4, |v23|, |v23|
	v_mul_f32_e32 v5, 0x3fb8aa3b, v4
	v_rndne_f32_e32 v30, v5
	v_sub_f32_e32 v31, v5, v30
	v_fma_f32 v5, v4, s66, -v5
	v_fmac_f32_e32 v5, 0x32a5705f, v4
	v_add_f32_e32 v5, v31, v5
	v_cvt_i32_f32_e32 v30, v30
	v_exp_f32_e32 v5, v5
	v_cmp_ngt_f32_e32 vcc, s33, v4
	v_ldexp_f32 v5, v5, v30
	s_nop 0
	v_cndmask_b32_e32 v5, 0, v5, vcc
	v_cmp_nlt_f32_e32 vcc, s67, v4
	s_nop 1
	v_cndmask_b32_e32 v4, v230, v5, vcc
	v_add_f32_e32 v4, 1.0, v4
	v_rcp_f32_e32 v4, v4
	s_nop 0
	v_fma_f32 v4, v4, -2.0, 1.0
.LBB25_281:                             ;   in Loop: Header=BB25_275 Depth=2
	s_andn2_saveexec_b64 s[38:39], s[38:39]
; %bb.282:                              ;   in Loop: Header=BB25_275 Depth=2
	v_mul_f32_e32 v4, v23, v23
	v_fmamk_f32 v5, v4, 0xbbbac73d, v252
	v_fmaak_f32 v5, v4, v5, 0xbd5c1c4e
	v_fmaak_f32 v5, v4, v5, 0x3e088382
	;; [unrolled: 1-line block ×3, first 2 shown]
	v_mul_f32_e64 v5, |v23|, v5
	v_fma_f32 v4, v4, v5, |v23|
; %bb.283:                              ;   in Loop: Header=BB25_275 Depth=2
	s_or_b64 exec, exec, s[38:39]
	v_cmp_nlt_f32_e64 s[38:39], |v24|, s70
                                        ; implicit-def: $vgpr5
	s_and_saveexec_b64 s[40:41], s[38:39]
	s_xor_b64 s[38:39], exec, s[40:41]
	s_cbranch_execz .LBB25_285
; %bb.284:                              ;   in Loop: Header=BB25_275 Depth=2
	v_add_f32_e64 v5, |v24|, |v24|
	v_mul_f32_e32 v30, 0x3fb8aa3b, v5
	v_rndne_f32_e32 v31, v30
	v_sub_f32_e32 v32, v30, v31
	v_fma_f32 v30, v5, s66, -v30
	v_fmac_f32_e32 v30, 0x32a5705f, v5
	v_add_f32_e32 v30, v32, v30
	v_cvt_i32_f32_e32 v31, v31
	v_exp_f32_e32 v30, v30
	v_cmp_ngt_f32_e32 vcc, s33, v5
	v_ldexp_f32 v30, v30, v31
	s_nop 0
	v_cndmask_b32_e32 v30, 0, v30, vcc
	v_cmp_nlt_f32_e32 vcc, s67, v5
	s_nop 1
	v_cndmask_b32_e32 v5, v230, v30, vcc
	v_add_f32_e32 v5, 1.0, v5
	v_rcp_f32_e32 v5, v5
	s_nop 0
	v_fma_f32 v5, v5, -2.0, 1.0
.LBB25_285:                             ;   in Loop: Header=BB25_275 Depth=2
	s_andn2_saveexec_b64 s[38:39], s[38:39]
; %bb.286:                              ;   in Loop: Header=BB25_275 Depth=2
	v_mul_f32_e32 v5, v24, v24
	v_fmamk_f32 v30, v5, 0xbbbac73d, v252
	v_fmaak_f32 v30, v5, v30, 0xbd5c1c4e
	v_fmaak_f32 v30, v5, v30, 0x3e088382
	;; [unrolled: 1-line block ×3, first 2 shown]
	v_mul_f32_e64 v30, |v24|, v30
	v_fma_f32 v5, v5, v30, |v24|
; %bb.287:                              ;   in Loop: Header=BB25_275 Depth=2
	s_or_b64 exec, exec, s[38:39]
	v_cmp_nlt_f32_e64 s[38:39], |v25|, s70
                                        ; implicit-def: $vgpr30
	s_and_saveexec_b64 s[40:41], s[38:39]
	s_xor_b64 s[38:39], exec, s[40:41]
	s_cbranch_execz .LBB25_289
; %bb.288:                              ;   in Loop: Header=BB25_275 Depth=2
	v_add_f32_e64 v30, |v25|, |v25|
	v_mul_f32_e32 v31, 0x3fb8aa3b, v30
	v_rndne_f32_e32 v32, v31
	v_sub_f32_e32 v33, v31, v32
	v_fma_f32 v31, v30, s66, -v31
	v_fmac_f32_e32 v31, 0x32a5705f, v30
	v_add_f32_e32 v31, v33, v31
	v_cvt_i32_f32_e32 v32, v32
	v_exp_f32_e32 v31, v31
	v_cmp_ngt_f32_e32 vcc, s33, v30
	v_ldexp_f32 v31, v31, v32
	s_nop 0
	v_cndmask_b32_e32 v31, 0, v31, vcc
	v_cmp_nlt_f32_e32 vcc, s67, v30
	s_nop 1
	v_cndmask_b32_e32 v30, v230, v31, vcc
	v_add_f32_e32 v30, 1.0, v30
	v_rcp_f32_e32 v30, v30
	s_nop 0
	v_fma_f32 v30, v30, -2.0, 1.0
.LBB25_289:                             ;   in Loop: Header=BB25_275 Depth=2
	s_andn2_saveexec_b64 s[38:39], s[38:39]
; %bb.290:                              ;   in Loop: Header=BB25_275 Depth=2
	v_mul_f32_e32 v30, v25, v25
	v_fmamk_f32 v31, v30, 0xbbbac73d, v252
	v_fmaak_f32 v31, v30, v31, 0xbd5c1c4e
	v_fmaak_f32 v31, v30, v31, 0x3e088382
	v_fmaak_f32 v31, v30, v31, 0xbeaaaa99
	v_mul_f32_e64 v31, |v25|, v31
	v_fma_f32 v30, v30, v31, |v25|
; %bb.291:                              ;   in Loop: Header=BB25_275 Depth=2
	s_or_b64 exec, exec, s[38:39]
	v_cmp_nlt_f32_e64 s[38:39], |v26|, s70
                                        ; implicit-def: $vgpr31
	s_and_saveexec_b64 s[40:41], s[38:39]
	s_xor_b64 s[38:39], exec, s[40:41]
	s_cbranch_execz .LBB25_293
; %bb.292:                              ;   in Loop: Header=BB25_275 Depth=2
	v_add_f32_e64 v31, |v26|, |v26|
	v_mul_f32_e32 v32, 0x3fb8aa3b, v31
	v_rndne_f32_e32 v33, v32
	v_sub_f32_e32 v34, v32, v33
	v_fma_f32 v32, v31, s66, -v32
	v_fmac_f32_e32 v32, 0x32a5705f, v31
	v_add_f32_e32 v32, v34, v32
	v_cvt_i32_f32_e32 v33, v33
	v_exp_f32_e32 v32, v32
	v_cmp_ngt_f32_e32 vcc, s33, v31
	v_ldexp_f32 v32, v32, v33
	s_nop 0
	v_cndmask_b32_e32 v32, 0, v32, vcc
	v_cmp_nlt_f32_e32 vcc, s67, v31
	s_nop 1
	v_cndmask_b32_e32 v31, v230, v32, vcc
	v_add_f32_e32 v31, 1.0, v31
	v_rcp_f32_e32 v31, v31
	s_nop 0
	v_fma_f32 v31, v31, -2.0, 1.0
.LBB25_293:                             ;   in Loop: Header=BB25_275 Depth=2
	s_andn2_saveexec_b64 s[38:39], s[38:39]
; %bb.294:                              ;   in Loop: Header=BB25_275 Depth=2
	v_mul_f32_e32 v31, v26, v26
	v_fmamk_f32 v32, v31, 0xbbbac73d, v252
	v_fmaak_f32 v32, v31, v32, 0xbd5c1c4e
	v_fmaak_f32 v32, v31, v32, 0x3e088382
	;; [unrolled: 1-line block ×3, first 2 shown]
	v_mul_f32_e64 v32, |v26|, v32
	v_fma_f32 v31, v31, v32, |v26|
; %bb.295:                              ;   in Loop: Header=BB25_275 Depth=2
	s_or_b64 exec, exec, s[38:39]
	v_cmp_nlt_f32_e64 s[38:39], |v27|, s70
                                        ; implicit-def: $vgpr32
	s_and_saveexec_b64 s[40:41], s[38:39]
	s_xor_b64 s[38:39], exec, s[40:41]
	s_cbranch_execz .LBB25_297
; %bb.296:                              ;   in Loop: Header=BB25_275 Depth=2
	v_add_f32_e64 v32, |v27|, |v27|
	v_mul_f32_e32 v33, 0x3fb8aa3b, v32
	v_rndne_f32_e32 v34, v33
	v_sub_f32_e32 v35, v33, v34
	v_fma_f32 v33, v32, s66, -v33
	v_fmac_f32_e32 v33, 0x32a5705f, v32
	v_add_f32_e32 v33, v35, v33
	v_cvt_i32_f32_e32 v34, v34
	v_exp_f32_e32 v33, v33
	v_cmp_ngt_f32_e32 vcc, s33, v32
	v_ldexp_f32 v33, v33, v34
	s_nop 0
	v_cndmask_b32_e32 v33, 0, v33, vcc
	v_cmp_nlt_f32_e32 vcc, s67, v32
	s_nop 1
	v_cndmask_b32_e32 v32, v230, v33, vcc
	v_add_f32_e32 v32, 1.0, v32
	v_rcp_f32_e32 v32, v32
	s_nop 0
	v_fma_f32 v32, v32, -2.0, 1.0
.LBB25_297:                             ;   in Loop: Header=BB25_275 Depth=2
	s_andn2_saveexec_b64 s[38:39], s[38:39]
; %bb.298:                              ;   in Loop: Header=BB25_275 Depth=2
	v_mul_f32_e32 v32, v27, v27
	v_fmamk_f32 v33, v32, 0xbbbac73d, v252
	v_fmaak_f32 v33, v32, v33, 0xbd5c1c4e
	v_fmaak_f32 v33, v32, v33, 0x3e088382
	;; [unrolled: 1-line block ×3, first 2 shown]
	v_mul_f32_e64 v33, |v27|, v33
	v_fma_f32 v32, v32, v33, |v27|
; %bb.299:                              ;   in Loop: Header=BB25_275 Depth=2
	s_or_b64 exec, exec, s[38:39]
	v_cmp_nlt_f32_e64 s[38:39], |v28|, s70
                                        ; implicit-def: $vgpr33
	s_and_saveexec_b64 s[40:41], s[38:39]
	s_xor_b64 s[38:39], exec, s[40:41]
	s_cbranch_execz .LBB25_301
; %bb.300:                              ;   in Loop: Header=BB25_275 Depth=2
	v_add_f32_e64 v33, |v28|, |v28|
	v_mul_f32_e32 v34, 0x3fb8aa3b, v33
	v_rndne_f32_e32 v35, v34
	v_sub_f32_e32 v36, v34, v35
	v_fma_f32 v34, v33, s66, -v34
	v_fmac_f32_e32 v34, 0x32a5705f, v33
	v_add_f32_e32 v34, v36, v34
	v_cvt_i32_f32_e32 v35, v35
	v_exp_f32_e32 v34, v34
	v_cmp_ngt_f32_e32 vcc, s33, v33
	v_ldexp_f32 v34, v34, v35
	s_nop 0
	v_cndmask_b32_e32 v34, 0, v34, vcc
	v_cmp_nlt_f32_e32 vcc, s67, v33
	s_nop 1
	v_cndmask_b32_e32 v33, v230, v34, vcc
	v_add_f32_e32 v33, 1.0, v33
	v_rcp_f32_e32 v33, v33
	s_nop 0
	v_fma_f32 v33, v33, -2.0, 1.0
.LBB25_301:                             ;   in Loop: Header=BB25_275 Depth=2
	s_andn2_saveexec_b64 s[38:39], s[38:39]
; %bb.302:                              ;   in Loop: Header=BB25_275 Depth=2
	v_mul_f32_e32 v33, v28, v28
	v_fmamk_f32 v34, v33, 0xbbbac73d, v252
	v_fmaak_f32 v34, v33, v34, 0xbd5c1c4e
	v_fmaak_f32 v34, v33, v34, 0x3e088382
	v_fmaak_f32 v34, v33, v34, 0xbeaaaa99
	v_mul_f32_e64 v34, |v28|, v34
	v_fma_f32 v33, v33, v34, |v28|
; %bb.303:                              ;   in Loop: Header=BB25_275 Depth=2
	s_or_b64 exec, exec, s[38:39]
	v_cmp_nlt_f32_e64 s[38:39], |v29|, s70
                                        ; implicit-def: $vgpr81
	s_and_saveexec_b64 s[40:41], s[38:39]
	s_xor_b64 s[38:39], exec, s[40:41]
	s_cbranch_execz .LBB25_305
; %bb.304:                              ;   in Loop: Header=BB25_275 Depth=2
	v_add_f32_e64 v34, |v29|, |v29|
	v_mul_f32_e32 v35, 0x3fb8aa3b, v34
	v_rndne_f32_e32 v36, v35
	v_sub_f32_e32 v37, v35, v36
	v_fma_f32 v35, v34, s66, -v35
	v_fmac_f32_e32 v35, 0x32a5705f, v34
	v_add_f32_e32 v35, v37, v35
	v_cvt_i32_f32_e32 v36, v36
	v_exp_f32_e32 v35, v35
	v_cmp_ngt_f32_e32 vcc, s33, v34
	v_ldexp_f32 v35, v35, v36
	s_nop 0
	v_cndmask_b32_e32 v35, 0, v35, vcc
	v_cmp_nlt_f32_e32 vcc, s67, v34
	s_nop 1
	v_cndmask_b32_e32 v34, v230, v35, vcc
	v_add_f32_e32 v34, 1.0, v34
	v_rcp_f32_e32 v34, v34
	s_nop 0
	v_fma_f32 v81, v34, -2.0, 1.0
.LBB25_305:                             ;   in Loop: Header=BB25_275 Depth=2
	s_andn2_saveexec_b64 s[38:39], s[38:39]
; %bb.306:                              ;   in Loop: Header=BB25_275 Depth=2
	v_mul_f32_e32 v34, v29, v29
	v_fmamk_f32 v35, v34, 0xbbbac73d, v252
	v_fmaak_f32 v35, v34, v35, 0xbd5c1c4e
	v_fmaak_f32 v35, v34, v35, 0x3e088382
	;; [unrolled: 1-line block ×3, first 2 shown]
	v_mul_f32_e64 v35, |v29|, v35
	v_fma_f32 v81, v34, v35, |v29|
; %bb.307:                              ;   in Loop: Header=BB25_275 Depth=2
	s_or_b64 exec, exec, s[38:39]
	v_bfi_b32 v3, s81, v3, v22
	v_mul_f32_e32 v34, s93, v3
	v_bfi_b32 v3, s81, v4, v23
	v_mul_f32_e32 v35, s93, v3
	;; [unrolled: 2-line block ×3, first 2 shown]
	v_bfi_b32 v3, s81, v30, v25
	v_bfi_b32 v26, s81, v31, v26
	;; [unrolled: 1-line block ×4, first 2 shown]
	v_mul_f32_e32 v37, s93, v3
	v_bfi_b32 v3, s81, v81, v29
	v_mul_f32_e32 v26, s93, v26
	v_mul_f32_e32 v27, s93, v27
	;; [unrolled: 1-line block ×4, first 2 shown]
	s_and_b64 vcc, exec, s[36:37]
	s_cbranch_vccz .LBB25_312
; %bb.308:                              ;   in Loop: Header=BB25_275 Depth=2
	v_add_u32_e32 v3, 0x4400, v171
	ds_read2_b32 v[4:5], v3 offset1:1
	ds_read_b32 v3, v173 offset:17408
	ds_read_b32 v24, v175 offset:17408
	v_mov_b32_e32 v81, v80
	s_waitcnt lgkmcnt(2)
	v_cvt_f32_f16_e32 v22, v4
	v_cvt_f32_f16_sdwa v23, v4 dst_sel:DWORD dst_unused:UNUSED_PAD src0_sel:WORD_1
	v_cvt_f32_f16_e32 v4, v5
	v_cvt_f32_f16_sdwa v5, v5 dst_sel:DWORD dst_unused:UNUSED_PAD src0_sel:WORD_1
	s_waitcnt lgkmcnt(1)
	v_cvt_f32_f16_sdwa v161, v3 dst_sel:DWORD dst_unused:UNUSED_PAD src0_sel:WORD_1
	s_waitcnt lgkmcnt(0)
	v_cvt_f32_f16_sdwa v25, v24 dst_sel:DWORD dst_unused:UNUSED_PAD src0_sel:WORD_1
	v_cvt_f32_f16_e32 v24, v24
	v_cvt_f32_f16_e32 v160, v3
	v_pk_fma_f32 v[32:33], v[80:81], v[4:5], v[36:37]
	v_pk_fma_f32 v[30:31], v[82:83], v[22:23], v[34:35]
	;; [unrolled: 1-line block ×4, first 2 shown]
	s_cbranch_execnz .LBB25_310
.LBB25_309:                             ;   in Loop: Header=BB25_275 Depth=2
	v_mov_b64_e32 v[22:23], v[26:27]
	v_mov_b64_e32 v[30:31], v[34:35]
	;; [unrolled: 1-line block ×4, first 2 shown]
.LBB25_310:                             ;   in Loop: Header=BB25_275 Depth=2
	v_add_f32_e32 v3, 0x40051340, v30
	v_max_f32_e32 v4, v166, v166
	v_max_f32_e32 v3, v4, v3
	v_cndmask_b32_e64 v3, v166, v3, s[10:11]
	v_add_f32_e32 v4, 0x40051340, v31
	v_max_f32_e32 v5, v3, v3
	v_max_f32_e32 v4, v5, v4
	v_cndmask_b32_e64 v3, v3, v4, s[12:13]
	;; [unrolled: 4-line block ×8, first 2 shown]
	ds_bpermute_b32 v4, v216, v3
	v_max_f32_e32 v3, v3, v3
	v_cndmask_b32_e64 v28, v32, v32, s[12:13]
	v_cndmask_b32_e64 v23, v23, v23, s[18:19]
	;; [unrolled: 1-line block ×3, first 2 shown]
	s_waitcnt lgkmcnt(0)
	v_max_f32_e32 v4, v4, v4
	v_max_f32_e32 v3, v3, v4
	ds_bpermute_b32 v4, v217, v3
	v_cndmask_b32_e64 v25, v25, v25, s[18:19]
	v_add_u32_e32 v221, -1, v221
	v_lshl_add_u64 v[92:93], v[92:93], 0, s[30:31]
	v_lshl_add_u64 v[94:95], v[94:95], 0, s[30:31]
	s_waitcnt lgkmcnt(0)
	v_max_f32_e32 v4, v4, v4
	v_max_f32_e32 v34, v3, v4
	v_sub_f32_e32 v3, v30, v34
	v_mul_f32_e32 v4, 0x3fb8aa3b, v3
	v_fma_f32 v5, v3, s66, -v4
	v_rndne_f32_e32 v26, v4
	v_fmac_f32_e32 v5, 0x32a5705f, v3
	v_sub_f32_e32 v4, v4, v26
	v_add_f32_e32 v4, v4, v5
	v_exp_f32_e32 v4, v4
	v_cvt_i32_f32_e32 v5, v26
	v_cmp_ngt_f32_e32 vcc, s33, v3
	v_sub_f32_e32 v22, v22, v34
	v_lshl_add_u64 v[96:97], v[96:97], 0, s[30:31]
	v_ldexp_f32 v4, v4, v5
	v_cndmask_b32_e32 v4, 0, v4, vcc
	v_cmp_nlt_f32_e32 vcc, s67, v3
	v_lshl_add_u64 v[98:99], v[98:99], 0, s[30:31]
	v_lshl_add_u64 v[100:101], v[100:101], 0, s[2:3]
	v_cndmask_b32_e32 v3, v230, v4, vcc
	v_cndmask_b32_e64 v4, 0, v3, s[10:11]
	v_sub_f32_e32 v3, v31, v34
	v_mul_f32_e32 v5, 0x3fb8aa3b, v3
	v_fma_f32 v26, v3, s66, -v5
	v_rndne_f32_e32 v27, v5
	v_fmac_f32_e32 v26, 0x32a5705f, v3
	v_sub_f32_e32 v5, v5, v27
	v_add_f32_e32 v5, v5, v26
	v_exp_f32_e32 v5, v5
	v_cvt_i32_f32_e32 v26, v27
	v_cmp_ngt_f32_e32 vcc, s33, v3
	v_cndmask_b32_e64 v27, v33, v33, s[12:13]
	v_lshl_add_u64 v[102:103], v[102:103], 0, s[2:3]
	v_ldexp_f32 v5, v5, v26
	v_cndmask_b32_e32 v5, 0, v5, vcc
	v_cmp_nlt_f32_e32 vcc, s67, v3
	v_mov_b32_e32 v3, s89
	v_lshl_add_u64 v[104:105], v[104:105], 0, s[2:3]
	v_cndmask_b32_e32 v5, v230, v5, vcc
	v_add_f32_e32 v26, v5, v4
	v_cndmask_b32_e64 v5, v3, v5, s[12:13]
	v_cndmask_b32_e64 v3, v4, v26, s[12:13]
	v_sub_f32_e32 v26, v28, v34
	v_mul_f32_e32 v28, 0x3fb8aa3b, v26
	v_fma_f32 v29, v26, s66, -v28
	v_rndne_f32_e32 v30, v28
	v_fmac_f32_e32 v29, 0x32a5705f, v26
	v_sub_f32_e32 v28, v28, v30
	v_add_f32_e32 v28, v28, v29
	v_exp_f32_e32 v28, v28
	v_cvt_i32_f32_e32 v29, v30
	v_cmp_ngt_f32_e32 vcc, s33, v26
	v_cvt_f16_f32_e32 v4, v4
	v_cvt_f16_f32_e32 v5, v5
	v_ldexp_f32 v28, v28, v29
	v_cndmask_b32_e32 v28, 0, v28, vcc
	v_cmp_nlt_f32_e32 vcc, s67, v26
	v_mov_b32_e32 v26, s89
	v_lshl_add_u64 v[106:107], v[106:107], 0, s[2:3]
	v_cndmask_b32_e32 v28, v230, v28, vcc
	v_add_f32_e32 v29, v3, v28
	v_cndmask_b32_e64 v158, v26, v28, s[14:15]
	v_cndmask_b32_e64 v26, v3, v29, s[14:15]
	v_sub_f32_e32 v3, v27, v34
	v_mul_f32_e32 v27, 0x3fb8aa3b, v3
	v_fma_f32 v28, v3, s66, -v27
	v_rndne_f32_e32 v29, v27
	v_fmac_f32_e32 v28, 0x32a5705f, v3
	v_sub_f32_e32 v27, v27, v29
	v_add_f32_e32 v27, v27, v28
	v_exp_f32_e32 v27, v27
	v_cvt_i32_f32_e32 v28, v29
	v_cmp_ngt_f32_e32 vcc, s33, v3
	v_lshl_add_u64 v[108:109], v[108:109], 0, s[2:3]
	v_lshl_add_u64 v[110:111], v[110:111], 0, s[2:3]
	v_ldexp_f32 v27, v27, v28
	v_cndmask_b32_e32 v27, 0, v27, vcc
	v_cmp_nlt_f32_e32 vcc, s67, v3
	v_mov_b32_e32 v3, s89
	v_lshl_add_u64 v[112:113], v[112:113], 0, s[2:3]
	v_cndmask_b32_e32 v27, v230, v27, vcc
	v_add_f32_e32 v28, v26, v27
	v_cndmask_b32_e64 v159, v3, v27, s[16:17]
	v_cndmask_b32_e64 v3, v26, v28, s[16:17]
	v_mul_f32_e32 v26, 0x3fb8aa3b, v22
	v_fma_f32 v27, v22, s66, -v26
	v_rndne_f32_e32 v28, v26
	v_fmac_f32_e32 v27, 0x32a5705f, v22
	v_sub_f32_e32 v26, v26, v28
	v_add_f32_e32 v26, v26, v27
	v_exp_f32_e32 v26, v26
	v_cvt_i32_f32_e32 v27, v28
	v_cmp_ngt_f32_e32 vcc, s33, v22
	v_lshl_add_u64 v[114:115], v[114:115], 0, s[2:3]
	v_ldexp_f32 v26, v26, v27
	v_cndmask_b32_e32 v26, 0, v26, vcc
	v_cmp_nlt_f32_e32 vcc, s67, v22
	v_mov_b32_e32 v22, s89
	s_nop 0
	v_cndmask_b32_e32 v26, v230, v26, vcc
	v_add_f32_e32 v27, v26, v3
	v_cndmask_b32_e64 v160, v22, v26, s[18:19]
	v_cndmask_b32_e64 v22, v3, v27, s[18:19]
	v_sub_f32_e32 v3, v23, v34
	v_mul_f32_e32 v23, 0x3fb8aa3b, v3
	v_fma_f32 v26, v3, s66, -v23
	v_rndne_f32_e32 v27, v23
	v_fmac_f32_e32 v26, 0x32a5705f, v3
	v_sub_f32_e32 v23, v23, v27
	v_add_f32_e32 v23, v23, v26
	v_exp_f32_e32 v23, v23
	v_cvt_i32_f32_e32 v26, v27
	v_cmp_ngt_f32_e32 vcc, s33, v3
	v_ldexp_f32 v23, v23, v26
	s_nop 0
	v_cndmask_b32_e32 v23, 0, v23, vcc
	v_cmp_nlt_f32_e32 vcc, s67, v3
	v_mov_b32_e32 v3, s89
	s_nop 0
	v_cndmask_b32_e32 v23, v230, v23, vcc
	v_add_f32_e32 v26, v23, v22
	v_cndmask_b32_e64 v23, v3, v23, s[20:21]
	v_cndmask_b32_e64 v3, v22, v26, s[20:21]
	v_sub_f32_e32 v22, v24, v34
	v_mul_f32_e32 v24, 0x3fb8aa3b, v22
	v_fma_f32 v26, v22, s66, -v24
	v_rndne_f32_e32 v27, v24
	v_fmac_f32_e32 v26, 0x32a5705f, v22
	v_sub_f32_e32 v24, v24, v27
	v_add_f32_e32 v24, v24, v26
	v_exp_f32_e32 v24, v24
	v_cvt_i32_f32_e32 v26, v27
	v_cmp_ngt_f32_e32 vcc, s33, v22
	v_ldexp_f32 v24, v24, v26
	s_nop 0
	;; [unrolled: 20-line block ×3, first 2 shown]
	v_cndmask_b32_e32 v24, 0, v24, vcc
	v_cmp_nlt_f32_e32 vcc, s67, v3
	v_mov_b32_e32 v3, s89
	s_nop 0
	v_cndmask_b32_e32 v24, v230, v24, vcc
	v_add_f32_e32 v25, v24, v22
	v_cndmask_b32_e64 v30, v22, v25, s[24:25]
	v_sub_f32_e32 v22, v166, v34
	v_cndmask_b32_e64 v3, v3, v24, s[24:25]
	v_mul_f32_e32 v24, 0x3fb8aa3b, v22
	v_fma_f32 v25, v22, s66, -v24
	v_rndne_f32_e32 v26, v24
	v_fmac_f32_e32 v25, 0x32a5705f, v22
	v_sub_f32_e32 v24, v24, v26
	v_add_f32_e32 v24, v24, v25
	v_exp_f32_e32 v24, v24
	v_cvt_i32_f32_e32 v25, v26
	v_cmp_ngt_f32_e32 vcc, s33, v22
	v_cvt_f16_f32_e32 v3, v3
	v_ldexp_f32 v24, v24, v25
	v_cndmask_b32_e32 v24, 0, v24, vcc
	v_cmp_nlt_f32_e32 vcc, s67, v22
	s_nop 1
	v_cndmask_b32_e32 v24, v230, v24, vcc
	v_cmp_le_f32_e32 vcc, s71, v22
	s_nop 1
	v_cndmask_b32_e32 v22, 0, v24, vcc
	v_pack_b32_f16 v24, v4, v5
	v_cvt_f16_f32_e32 v4, v158
	v_cvt_f16_f32_e32 v5, v159
	v_fmac_f32_e32 v30, v163, v22
	v_cvt_f16_f32_e32 v22, v22
	v_mov_b32_e32 v158, s28
	v_pack_b32_f16 v25, v4, v5
	v_cvt_f16_f32_e32 v4, v160
	v_cvt_f16_f32_e32 v5, v23
	v_pk_mul_f16 v220, v22, v220 op_sel_hi:[0,1]
	v_pk_mul_f16 v166, v22, v223 op_sel_hi:[0,1]
	;; [unrolled: 1-line block ×16, first 2 shown]
	v_pack_b32_f16 v22, v4, v5
	v_cvt_f16_f32_e32 v4, v161
	v_cmp_ne_u32_e32 vcc, 0, v221
	s_and_b64 vcc, exec, vcc
	v_pack_b32_f16 v23, v4, v3
	v_lshl_add_u64 v[4:5], v[84:85], 0, v[62:63]
	v_mov_b32_e32 v3, s29
	v_cndmask_b32_e64 v161, v3, v5, s[78:79]
	v_cndmask_b32_e64 v160, v158, v4, s[78:79]
	v_lshl_add_u64 v[4:5], v[86:87], 0, v[62:63]
	v_cndmask_b32_e64 v165, v3, v5, s[4:5]
	v_cndmask_b32_e64 v164, v158, v4, s[4:5]
	v_lshl_add_u64 v[4:5], v[88:89], 0, v[62:63]
	;; [unrolled: 3-line block ×3, first 2 shown]
	v_cndmask_b32_e64 v159, v3, v5, s[8:9]
	v_cndmask_b32_e64 v158, v158, v4, s[8:9]
	v_mov_b32_e32 v3, v2
	v_mov_b32_e32 v4, v2
	;; [unrolled: 1-line block ×3, first 2 shown]
	scratch_store_dwordx4 off, v[2:5], off
	flat_load_dwordx4 v[206:209], v[160:161]
	v_lshl_add_u64 v[84:85], v[84:85], 0, s[34:35]
	v_add_u32_e32 v3, v129, v176
	v_lshl_add_u64 v[86:87], v[86:87], 0, s[34:35]
	v_lshl_add_u64 v[88:89], v[88:89], 0, s[34:35]
	;; [unrolled: 1-line block ×3, first 2 shown]
	s_waitcnt vmcnt(0) lgkmcnt(0)
	ds_write_b128 v128, v[206:209]
	flat_load_dwordx4 v[206:209], v[164:165]
	v_add_u32_e32 v164, v178, v176
	s_waitcnt vmcnt(0) lgkmcnt(0)
	ds_write_b128 v241, v[206:209]
	flat_load_dwordx4 v[206:209], v[210:211]
	s_waitcnt vmcnt(0) lgkmcnt(0)
	ds_write_b128 v243, v[206:209]
	flat_load_dwordx4 v[206:209], v[158:159]
	s_waitcnt vmcnt(0) lgkmcnt(0)
	ds_write_b128 v245, v[206:209]
	s_waitcnt lgkmcnt(0)
	s_barrier
	ds_read_u16 v4, v3 offset:272
	ds_read_u16 v5, v186 offset:544
	v_add_u32_e32 v3, v129, v177
	ds_read_u16 v158, v3
	ds_read_u16 v159, v3 offset:32
	v_cvt_f32_f16_e32 v206, v220
	v_cvt_f32_f16_sdwa v207, v220 dst_sel:DWORD dst_unused:UNUSED_PAD src0_sel:WORD_1
	v_cvt_f32_f16_e32 v208, v166
	s_waitcnt lgkmcnt(1)
	v_perm_b32 v5, v158, v5, s72
	ds_read_u16 v158, v137
	ds_read_u16 v160, v137 offset:32
	v_cvt_f32_f16_sdwa v209, v166 dst_sel:DWORD dst_unused:UNUSED_PAD src0_sel:WORD_1
	ds_read_u16 v162, v137 offset:8704
	ds_read_u16 v164, v164 offset:272
	;; [unrolled: 1-line block ×4, first 2 shown]
	s_waitcnt lgkmcnt(5)
	v_perm_b32 v4, v4, v158, s72
	s_nop 1
	v_mfma_f32_16x16x16_f16 v[206:209], v[4:5], v[24:25], v[206:209]
	s_nop 6
	v_cvt_f16_f32_e32 v4, v206
	v_cvt_f16_f32_e32 v5, v207
	;; [unrolled: 1-line block ×4, first 2 shown]
	v_cvt_f32_f16_e32 v206, v4
	v_cvt_f32_f16_e32 v207, v5
	s_waitcnt lgkmcnt(0)
	v_perm_b32 v5, v166, v165, s72
	v_perm_b32 v4, v164, v162, s72
	v_cvt_f32_f16_e32 v208, v158
	v_cvt_f32_f16_e32 v209, v161
	;; [unrolled: 1-line block ×3, first 2 shown]
	v_cvt_f32_f16_sdwa v165, v31 dst_sel:DWORD dst_unused:UNUSED_PAD src0_sel:WORD_1
	v_mfma_f32_16x16x16_f16 v[206:209], v[4:5], v[22:23], v[206:209]
	s_nop 6
	v_cvt_f16_f32_e32 v4, v206
	v_cvt_f16_f32_e32 v5, v207
	v_cvt_f16_f32_e32 v158, v208
	v_cvt_f16_f32_e32 v161, v209
	v_cvt_f32_f16_e32 v206, v219
	v_pack_b32_f16 v220, v4, v5
	v_add_u32_e32 v4, v179, v176
	ds_read_u16 v4, v4 offset:272
	ds_read_u16 v5, v188 offset:544
	v_cvt_f32_f16_sdwa v207, v219 dst_sel:DWORD dst_unused:UNUSED_PAD src0_sel:WORD_1
	v_cvt_f32_f16_e32 v208, v163
	v_cvt_f32_f16_sdwa v209, v163 dst_sel:DWORD dst_unused:UNUSED_PAD src0_sel:WORD_1
	s_waitcnt lgkmcnt(1)
	v_perm_b32 v4, v4, v160, s72
	s_waitcnt lgkmcnt(0)
	v_perm_b32 v5, v159, v5, s72
	v_pack_b32_f16 v223, v158, v161
	v_add_u32_e32 v161, v130, v176
	v_mfma_f32_16x16x16_f16 v[206:209], v[4:5], v[24:25], v[206:209]
	v_add_u32_e32 v163, v179, v177
	ds_read_u16 v160, v138 offset:8704
	ds_read_u16 v161, v161 offset:272
	;; [unrolled: 1-line block ×4, first 2 shown]
	s_nop 1
	v_cvt_f16_f32_e32 v4, v206
	v_cvt_f16_f32_e32 v5, v207
	;; [unrolled: 1-line block ×4, first 2 shown]
	v_cvt_f32_f16_e32 v206, v4
	v_cvt_f32_f16_e32 v207, v5
	s_waitcnt lgkmcnt(0)
	v_perm_b32 v5, v163, v162, s72
	v_perm_b32 v4, v161, v160, s72
	v_cvt_f32_f16_e32 v208, v158
	v_cvt_f32_f16_e32 v209, v159
	v_add_u32_e32 v160, v131, v176
	v_add_u32_e32 v162, v180, v177
	v_mfma_f32_16x16x16_f16 v[206:209], v[4:5], v[22:23], v[206:209]
	v_cvt_f32_f16_sdwa v163, v32 dst_sel:DWORD dst_unused:UNUSED_PAD src0_sel:WORD_1
	s_nop 5
	v_cvt_f16_f32_e32 v4, v206
	v_cvt_f16_f32_e32 v5, v207
	;; [unrolled: 1-line block ×4, first 2 shown]
	v_cvt_f32_f16_e32 v206, v212
	v_pack_b32_f16 v219, v4, v5
	v_add_u32_e32 v5, v180, v176
	v_pack_b32_f16 v218, v158, v159
	ds_read_u16 v4, v137 offset:64
	ds_read_u16 v158, v5 offset:272
	;; [unrolled: 1-line block ×4, first 2 shown]
	v_cvt_f32_f16_sdwa v207, v212 dst_sel:DWORD dst_unused:UNUSED_PAD src0_sel:WORD_1
	v_cvt_f32_f16_e32 v208, v81
	v_cvt_f32_f16_sdwa v209, v81 dst_sel:DWORD dst_unused:UNUSED_PAD src0_sel:WORD_1
	s_waitcnt lgkmcnt(2)
	v_perm_b32 v4, v158, v4, s72
	s_waitcnt lgkmcnt(0)
	v_perm_b32 v5, v159, v5, s72
	ds_read_u16 v159, v140 offset:8704
	ds_read_u16 v160, v160 offset:272
	;; [unrolled: 1-line block ×3, first 2 shown]
	v_mfma_f32_16x16x16_f16 v[206:209], v[4:5], v[24:25], v[206:209]
	ds_read_u16 v162, v162 offset:8704
	s_nop 5
	v_cvt_f16_f32_e32 v4, v206
	v_cvt_f16_f32_e32 v5, v207
	;; [unrolled: 1-line block ×4, first 2 shown]
	v_cvt_f32_f16_e32 v206, v4
	v_cvt_f32_f16_e32 v207, v5
	s_waitcnt lgkmcnt(0)
	v_perm_b32 v5, v162, v161, s72
	v_perm_b32 v4, v160, v159, s72
	v_cvt_f32_f16_e32 v208, v81
	v_cvt_f32_f16_e32 v209, v158
	v_add_u32_e32 v160, v181, v177
	v_cvt_f32_f16_e32 v162, v32
	v_mfma_f32_16x16x16_f16 v[206:209], v[4:5], v[22:23], v[206:209]
	s_nop 6
	v_cvt_f16_f32_e32 v4, v206
	v_cvt_f16_f32_e32 v5, v207
	;; [unrolled: 1-line block ×4, first 2 shown]
	v_cvt_f32_f16_e32 v206, v37
	v_pack_b32_f16 v212, v4, v5
	v_add_u32_e32 v5, v181, v176
	v_pack_b32_f16 v215, v81, v158
	ds_read_u16 v4, v137 offset:96
	ds_read_u16 v5, v5 offset:272
	;; [unrolled: 1-line block ×4, first 2 shown]
	v_cvt_f32_f16_sdwa v207, v37 dst_sel:DWORD dst_unused:UNUSED_PAD src0_sel:WORD_1
	v_cvt_f32_f16_e32 v208, v36
	v_cvt_f32_f16_sdwa v209, v36 dst_sel:DWORD dst_unused:UNUSED_PAD src0_sel:WORD_1
	s_waitcnt lgkmcnt(2)
	v_perm_b32 v36, v5, v4, s72
	s_waitcnt lgkmcnt(0)
	v_perm_b32 v37, v158, v81, s72
	v_add_u32_e32 v158, v132, v176
	ds_read_u16 v81, v142 offset:8704
	v_mfma_f32_16x16x16_f16 v[206:209], v[36:37], v[24:25], v[206:209]
	ds_read_u16 v158, v158 offset:272
	ds_read_u16 v159, v143 offset:544
	;; [unrolled: 1-line block ×3, first 2 shown]
	s_nop 3
	v_cvt_f16_f32_e32 v4, v206
	v_cvt_f16_f32_e32 v5, v207
	;; [unrolled: 1-line block ×4, first 2 shown]
	v_cvt_f32_f16_e32 v206, v4
	v_cvt_f32_f16_e32 v207, v5
	s_waitcnt lgkmcnt(0)
	v_perm_b32 v5, v160, v159, s72
	v_perm_b32 v4, v158, v81, s72
	v_cvt_f32_f16_e32 v208, v36
	v_cvt_f32_f16_e32 v209, v37
	v_add_u32_e32 v158, v182, v177
	s_nop 0
	v_mfma_f32_16x16x16_f16 v[206:209], v[4:5], v[22:23], v[206:209]
	s_nop 6
	v_cvt_f16_f32_e32 v4, v206
	v_cvt_f16_f32_e32 v5, v207
	;; [unrolled: 1-line block ×4, first 2 shown]
	v_cvt_f32_f16_e32 v206, v35
	v_pack_b32_f16 v210, v4, v5
	v_add_u32_e32 v5, v182, v176
	v_pack_b32_f16 v213, v36, v37
	ds_read_u16 v4, v137 offset:128
	ds_read_u16 v36, v5 offset:272
	;; [unrolled: 1-line block ×4, first 2 shown]
	v_cvt_f32_f16_sdwa v207, v35 dst_sel:DWORD dst_unused:UNUSED_PAD src0_sel:WORD_1
	v_cvt_f32_f16_e32 v208, v33
	v_cvt_f32_f16_sdwa v209, v33 dst_sel:DWORD dst_unused:UNUSED_PAD src0_sel:WORD_1
	s_waitcnt lgkmcnt(2)
	v_perm_b32 v4, v36, v4, s72
	s_waitcnt lgkmcnt(0)
	v_perm_b32 v5, v37, v5, s72
	v_add_u32_e32 v37, v133, v176
	ds_read_u16 v36, v144 offset:8704
	v_mfma_f32_16x16x16_f16 v[206:209], v[4:5], v[24:25], v[206:209]
	ds_read_u16 v37, v37 offset:272
	ds_read_u16 v81, v145 offset:544
	;; [unrolled: 1-line block ×3, first 2 shown]
	s_nop 3
	v_cvt_f16_f32_e32 v4, v206
	v_cvt_f16_f32_e32 v5, v207
	;; [unrolled: 1-line block ×4, first 2 shown]
	v_cvt_f32_f16_e32 v206, v4
	v_cvt_f32_f16_e32 v207, v5
	s_waitcnt lgkmcnt(0)
	v_perm_b32 v5, v158, v81, s72
	v_perm_b32 v4, v37, v36, s72
	v_cvt_f32_f16_e32 v208, v33
	v_cvt_f32_f16_e32 v209, v35
	v_add_u32_e32 v37, v183, v177
	s_nop 0
	v_mfma_f32_16x16x16_f16 v[206:209], v[4:5], v[22:23], v[206:209]
	s_nop 6
	v_cvt_f16_f32_e32 v4, v206
	v_cvt_f16_f32_e32 v5, v207
	;; [unrolled: 1-line block ×4, first 2 shown]
	v_pack_b32_f16 v208, v4, v5
	v_add_u32_e32 v5, v183, v176
	v_pack_b32_f16 v211, v33, v35
	ds_read_u16 v4, v137 offset:160
	ds_read_u16 v33, v5 offset:272
	;; [unrolled: 1-line block ×4, first 2 shown]
	s_waitcnt lgkmcnt(2)
	v_perm_b32 v4, v33, v4, s72
	s_waitcnt lgkmcnt(0)
	v_perm_b32 v5, v35, v5, s72
	v_add_u32_e32 v35, v134, v176
	ds_read_u16 v33, v146 offset:8704
	v_mfma_f32_16x16x16_f16 v[162:165], v[4:5], v[24:25], v[162:165]
	ds_read_u16 v35, v35 offset:272
	ds_read_u16 v36, v147 offset:544
	;; [unrolled: 1-line block ×3, first 2 shown]
	s_nop 3
	v_cvt_f16_f32_e32 v4, v162
	v_cvt_f16_f32_e32 v5, v163
	;; [unrolled: 1-line block ×4, first 2 shown]
	v_cvt_f32_f16_e32 v162, v4
	v_cvt_f32_f16_e32 v163, v5
	s_waitcnt lgkmcnt(0)
	v_perm_b32 v5, v37, v36, s72
	v_perm_b32 v4, v35, v33, s72
	v_cvt_f32_f16_e32 v164, v31
	v_cvt_f32_f16_e32 v165, v32
	v_add_u32_e32 v35, v184, v177
	s_nop 0
	v_mfma_f32_16x16x16_f16 v[162:165], v[4:5], v[22:23], v[162:165]
	s_nop 6
	v_cvt_f16_f32_e32 v4, v162
	v_cvt_f16_f32_e32 v5, v163
	;; [unrolled: 1-line block ×4, first 2 shown]
	v_cvt_f32_f16_e32 v162, v29
	v_pack_b32_f16 v199, v4, v5
	v_add_u32_e32 v5, v184, v176
	v_pack_b32_f16 v209, v31, v32
	ds_read_u16 v4, v137 offset:192
	ds_read_u16 v31, v5 offset:272
	;; [unrolled: 1-line block ×4, first 2 shown]
	v_cvt_f32_f16_sdwa v163, v29 dst_sel:DWORD dst_unused:UNUSED_PAD src0_sel:WORD_1
	v_cvt_f32_f16_e32 v164, v28
	v_cvt_f32_f16_sdwa v165, v28 dst_sel:DWORD dst_unused:UNUSED_PAD src0_sel:WORD_1
	s_waitcnt lgkmcnt(2)
	v_perm_b32 v4, v31, v4, s72
	s_waitcnt lgkmcnt(0)
	v_perm_b32 v5, v32, v5, s72
	v_add_u32_e32 v32, v135, v176
	ds_read_u16 v31, v148 offset:8704
	v_mfma_f32_16x16x16_f16 v[162:165], v[4:5], v[24:25], v[162:165]
	ds_read_u16 v32, v32 offset:272
	ds_read_u16 v33, v149 offset:544
	;; [unrolled: 1-line block ×3, first 2 shown]
	s_nop 3
	v_cvt_f16_f32_e32 v4, v162
	v_cvt_f16_f32_e32 v5, v163
	;; [unrolled: 1-line block ×4, first 2 shown]
	v_cvt_f32_f16_e32 v162, v4
	v_cvt_f32_f16_e32 v163, v5
	s_waitcnt lgkmcnt(0)
	v_perm_b32 v5, v35, v33, s72
	v_perm_b32 v4, v32, v31, s72
	v_cvt_f32_f16_e32 v164, v28
	v_cvt_f32_f16_e32 v165, v29
	s_nop 1
	v_mfma_f32_16x16x16_f16 v[162:165], v[4:5], v[22:23], v[162:165]
	s_nop 6
	v_cvt_f16_f32_e32 v4, v162
	v_cvt_f16_f32_e32 v5, v163
	;; [unrolled: 1-line block ×4, first 2 shown]
	v_cvt_f32_f16_e32 v162, v27
	v_pack_b32_f16 v207, v4, v5
	v_add_u32_e32 v5, v185, v176
	v_pack_b32_f16 v206, v28, v29
	ds_read_u16 v4, v137 offset:224
	ds_read_u16 v28, v5 offset:272
	ds_read_u16 v5, v194 offset:544
	ds_read_u16 v3, v3 offset:224
	v_cvt_f32_f16_sdwa v163, v27 dst_sel:DWORD dst_unused:UNUSED_PAD src0_sel:WORD_1
	v_cvt_f32_f16_e32 v164, v26
	v_cvt_f32_f16_sdwa v165, v26 dst_sel:DWORD dst_unused:UNUSED_PAD src0_sel:WORD_1
	s_waitcnt lgkmcnt(2)
	v_perm_b32 v4, v28, v4, s72
	s_waitcnt lgkmcnt(0)
	v_perm_b32 v5, v3, v5, s72
	ds_read_u16 v28, v150 offset:8704
	s_nop 0
	v_mfma_f32_16x16x16_f16 v[24:27], v[4:5], v[24:25], v[162:165]
	s_nop 6
	v_cvt_f16_f32_e32 v3, v24
	v_add_u32_e32 v24, v136, v176
	ds_read_u16 v29, v24 offset:272
	ds_read_u16 v31, v151 offset:544
	v_add_u32_e32 v24, v185, v177
	ds_read_u16 v32, v24 offset:8704
	v_cvt_f16_f32_e32 v4, v25
	v_cvt_f16_f32_e32 v5, v26
	;; [unrolled: 1-line block ×3, first 2 shown]
	v_cvt_f32_f16_e32 v24, v3
	v_cvt_f32_f16_e32 v25, v4
	;; [unrolled: 1-line block ×3, first 2 shown]
	s_waitcnt lgkmcnt(0)
	v_perm_b32 v5, v32, v31, s72
	v_perm_b32 v4, v29, v28, s72
	v_cvt_f32_f16_e32 v27, v27
	s_barrier
	s_nop 0
	v_mfma_f32_16x16x16_f16 v[22:25], v[4:5], v[22:23], v[24:27]
	s_nop 6
	v_cvt_f16_f32_e32 v3, v22
	v_cvt_f16_f32_e32 v4, v23
	;; [unrolled: 1-line block ×4, first 2 shown]
	v_pack_b32_f16 v165, v3, v4
	v_pack_b32_f16 v164, v5, v22
	s_cbranch_vccz .LBB25_314
; %bb.311:                              ;   in Loop: Header=BB25_275 Depth=2
	v_mov_b32_e32 v163, v30
	v_mov_b32_e32 v166, v34
	s_andn2_b64 vcc, exec, s[36:37]
	s_cbranch_vccz .LBB25_270
	s_branch .LBB25_275
.LBB25_312:                             ;   in Loop: Header=BB25_275 Depth=2
                                        ; implicit-def: $vgpr30_vgpr31_vgpr32_vgpr33
                                        ; implicit-def: $vgpr22_vgpr23_vgpr24_vgpr25
	s_branch .LBB25_309
.LBB25_313:                             ;   in Loop: Header=BB25_14 Depth=1
	v_mov_b32_e32 v30, 0
	v_mov_b32_e32 v34, 0xfeffffff
	;; [unrolled: 1-line block ×18, first 2 shown]
.LBB25_314:                             ;   in Loop: Header=BB25_14 Depth=1
	v_lshlrev_b32_e32 v26, 6, v214
	v_readlane_b32 s36, v254, 4
	s_cmp_lg_u64 s[86:87], 0
	s_cselect_b64 s[44:45], -1, 0
	v_sub_u32_e32 v31, s36, v26
	s_cmp_eq_u64 s[86:87], 0
	v_readlane_b32 s37, v254, 5
	s_cbranch_scc1 .LBB25_324
; %bb.315:                              ;   in Loop: Header=BB25_14 Depth=1
	v_mov_b32_e32 v27, v2
	v_cmp_ge_i32_e32 vcc, v38, v31
                                        ; implicit-def: $sgpr38
	s_and_saveexec_b64 s[36:37], vcc
	s_xor_b64 s[36:37], exec, s[36:37]
	s_cbranch_execz .LBB25_317
; %bb.316:                              ;   in Loop: Header=BB25_14 Depth=1
	ds_write_b16 v167, v2 offset:17408
	ds_write_b16 v233, v2 offset:17408
	s_mov_b32 s38, 0
                                        ; implicit-def: $vgpr228
                                        ; implicit-def: $vgpr227
                                        ; implicit-def: $vgpr225
                                        ; implicit-def: $vgpr224
.LBB25_317:                             ;   in Loop: Header=BB25_14 Depth=1
	s_or_saveexec_b64 s[36:37], s[36:37]
	v_lshlrev_b64 v[4:5], 1, v[26:27]
	v_lshl_add_u64 v[4:5], s[86:87], 0, v[4:5]
	v_lshlrev_b32_e32 v22, 1, v38
	v_mov_b32_e32 v23, v2
	v_lshl_add_u64 v[4:5], v[4:5], 0, v[22:23]
	v_mov_b32_e32 v3, s38
	v_mov_b32_e32 v22, s38
	s_xor_b64 exec, exec, s[36:37]
	s_cbranch_execz .LBB25_319
; %bb.318:                              ;   in Loop: Header=BB25_14 Depth=1
	v_mul_hi_u32 v3, s96, v228
	v_add_u32_e32 v3, v228, v3
	v_lshrrev_b32_e32 v3, s97, v3
	v_mul_lo_u32 v3, v3, s80
	v_sub_u32_e32 v3, v228, v3
	v_mad_i64_i32 v[22:23], s[38:39], v3, s74, 0
	v_lshl_add_u64 v[22:23], v[22:23], 1, v[4:5]
	flat_load_ushort v3, v[22:23]
	v_mul_hi_u32 v22, s96, v227
	v_add_u32_e32 v22, v227, v22
	v_lshrrev_b32_e32 v22, s97, v22
	v_mul_lo_u32 v22, v22, s80
	v_sub_u32_e32 v22, v227, v22
	v_mad_i64_i32 v[22:23], s[38:39], v22, s74, 0
	v_lshl_add_u64 v[22:23], v[22:23], 1, v[4:5]
	flat_load_ushort v22, v[22:23]
	s_waitcnt vmcnt(0) lgkmcnt(0)
	ds_write_b16 v167, v3 offset:17408
	ds_write_b16 v233, v22 offset:17408
	v_mul_hi_u32 v3, s96, v225
	v_add_u32_e32 v3, v225, v3
	v_lshrrev_b32_e32 v3, s97, v3
	v_mul_lo_u32 v3, v3, s80
	v_sub_u32_e32 v3, v225, v3
	v_mad_i64_i32 v[22:23], s[38:39], v3, s74, 0
	v_lshl_add_u64 v[22:23], v[22:23], 1, v[4:5]
	flat_load_ushort v3, v[22:23]
	v_mul_hi_u32 v22, s96, v224
	v_add_u32_e32 v22, v224, v22
	v_lshrrev_b32_e32 v22, s97, v22
	v_mul_lo_u32 v22, v22, s80
	v_sub_u32_e32 v22, v224, v22
	v_mad_i64_i32 v[22:23], s[38:39], v22, s74, 0
	v_lshl_add_u64 v[22:23], v[22:23], 1, v[4:5]
	flat_load_ushort v22, v[22:23]
.LBB25_319:                             ;   in Loop: Header=BB25_14 Depth=1
	s_or_b64 exec, exec, s[36:37]
	s_waitcnt vmcnt(0) lgkmcnt(0)
	ds_write_b16 v234, v3 offset:17408
	ds_write_b16 v235, v22 offset:17408
                                        ; implicit-def: $sgpr38
	s_and_saveexec_b64 s[36:37], vcc
	s_xor_b64 s[36:37], exec, s[36:37]
	s_cbranch_execz .LBB25_321
; %bb.320:                              ;   in Loop: Header=BB25_14 Depth=1
	ds_write_b16 v236, v2 offset:17408
	ds_write_b16 v237, v2 offset:17408
	s_mov_b32 s38, 0
                                        ; implicit-def: $vgpr1
                                        ; implicit-def: $vgpr4_vgpr5
                                        ; implicit-def: $vgpr229
                                        ; implicit-def: $vgpr226
                                        ; implicit-def: $vgpr222
.LBB25_321:                             ;   in Loop: Header=BB25_14 Depth=1
	s_or_saveexec_b64 s[36:37], s[36:37]
	v_mov_b32_e32 v3, s38
	v_mov_b32_e32 v22, s38
	s_xor_b64 exec, exec, s[36:37]
	s_cbranch_execz .LBB25_323
; %bb.322:                              ;   in Loop: Header=BB25_14 Depth=1
	v_mul_hi_u32 v3, s96, v1
	v_add_u32_e32 v3, v1, v3
	v_lshrrev_b32_e32 v3, s97, v3
	v_mul_lo_u32 v3, v3, s80
	v_sub_u32_e32 v1, v1, v3
	v_mul_hi_u32 v3, s96, v229
	v_add_u32_e32 v3, v229, v3
	v_lshrrev_b32_e32 v3, s97, v3
	v_mad_i64_i32 v[22:23], s[38:39], v1, s74, 0
	v_mul_lo_u32 v3, v3, s80
	v_lshl_add_u64 v[22:23], v[22:23], 1, v[4:5]
	v_sub_u32_e32 v3, v229, v3
	flat_load_ushort v1, v[22:23]
	v_mad_i64_i32 v[22:23], s[38:39], v3, s74, 0
	v_lshl_add_u64 v[22:23], v[22:23], 1, v[4:5]
	flat_load_ushort v3, v[22:23]
	s_waitcnt vmcnt(0) lgkmcnt(0)
	ds_write_b16 v236, v1 offset:17408
	ds_write_b16 v237, v3 offset:17408
	v_mul_hi_u32 v1, s96, v226
	v_add_u32_e32 v1, v226, v1
	v_lshrrev_b32_e32 v1, s97, v1
	v_mul_lo_u32 v1, v1, s80
	v_sub_u32_e32 v1, v226, v1
	v_mad_i64_i32 v[22:23], s[38:39], v1, s74, 0
	v_mul_hi_u32 v1, s96, v222
	v_add_u32_e32 v1, v222, v1
	v_lshrrev_b32_e32 v1, s97, v1
	v_mul_lo_u32 v1, v1, s80
	v_lshl_add_u64 v[22:23], v[22:23], 1, v[4:5]
	v_sub_u32_e32 v1, v222, v1
	flat_load_ushort v3, v[22:23]
	v_mad_i64_i32 v[22:23], s[38:39], v1, s74, 0
	v_lshl_add_u64 v[4:5], v[22:23], 1, v[4:5]
	flat_load_ushort v22, v[4:5]
.LBB25_323:                             ;   in Loop: Header=BB25_14 Depth=1
	s_or_b64 exec, exec, s[36:37]
	s_waitcnt vmcnt(0) lgkmcnt(0)
	ds_write_b16 v238, v3 offset:17408
	ds_write_b16 v239, v22 offset:17408
.LBB25_324:                             ;   in Loop: Header=BB25_14 Depth=1
	v_mul_lo_u32 v1, v26, s83
	v_mul_hi_u32 v3, v26, s82
	v_add_u32_e32 v5, v3, v1
	v_mul_lo_u32 v4, v26, s82
	v_lshlrev_b64 v[4:5], 2, v[4:5]
	v_lshl_add_u64 v[32:33], s[94:95], 0, v[4:5]
	v_mov_b32_e32 v3, v2
	v_mov_b32_e32 v4, v2
	;; [unrolled: 1-line block ×3, first 2 shown]
	scratch_store_dwordx4 off, v[2:5], off
	v_lshlrev_b32_e32 v28, 2, v40
	v_mov_b32_e32 v29, v2
	v_lshl_add_u64 v[4:5], v[44:45], 2, v[32:33]
	v_cmp_lt_i32_e64 s[36:37], v127, v31
	v_lshl_add_u64 v[4:5], v[4:5], 0, v[28:29]
	v_mov_b32_e32 v1, s29
	v_mov_b32_e32 v3, s28
	v_cndmask_b32_e64 v5, v1, v5, s[36:37]
	v_cndmask_b32_e64 v4, v3, v4, s[36:37]
	flat_load_dwordx4 v[22:25], v[4:5]
	v_lshl_add_u64 v[4:5], v[46:47], 2, v[32:33]
	v_cmp_lt_i32_e64 s[38:39], v240, v31
	v_lshl_add_u64 v[4:5], v[4:5], 0, v[28:29]
	v_cmp_lt_i32_e64 s[40:41], v242, v31
	v_cndmask_b32_e64 v5, v1, v5, s[38:39]
	v_cndmask_b32_e64 v4, v3, v4, s[38:39]
	v_cmp_lt_i32_e64 s[42:43], v244, v31
	s_waitcnt vmcnt(0) lgkmcnt(0)
	ds_write_b128 v128, v[22:25]
	flat_load_dwordx4 v[22:25], v[4:5]
	v_lshl_add_u64 v[4:5], v[48:49], 2, v[32:33]
	v_lshl_add_u64 v[4:5], v[4:5], 0, v[28:29]
	v_cndmask_b32_e64 v5, v1, v5, s[40:41]
	v_cndmask_b32_e64 v4, v3, v4, s[40:41]
	s_waitcnt vmcnt(0) lgkmcnt(0)
	ds_write_b128 v241, v[22:25]
	flat_load_dwordx4 v[22:25], v[4:5]
	v_lshl_add_u64 v[4:5], v[50:51], 2, v[32:33]
	v_lshl_add_u64 v[4:5], v[4:5], 0, v[28:29]
	v_cndmask_b32_e64 v5, v1, v5, s[42:43]
	v_cndmask_b32_e64 v4, v3, v4, s[42:43]
	v_add_u32_e32 v1, v126, v169
	s_waitcnt vmcnt(0) lgkmcnt(0)
	ds_write_b128 v243, v[22:25]
	flat_load_dwordx4 v[22:25], v[4:5]
	s_waitcnt vmcnt(0) lgkmcnt(0)
	ds_write_b128 v245, v[22:25]
	s_waitcnt lgkmcnt(0)
	s_barrier
	ds_read2_b64 v[22:25], v1 offset1:4
	s_waitcnt lgkmcnt(0)
	v_mfma_f32_16x16x16_f16 v[82:85], v[22:23], v[18:19], 0
	v_mfma_f32_16x16x16_f16 v[22:25], v[24:25], v[20:21], v[82:85]
	s_nop 5
	ds_read2_b64 v[82:85], v1 offset0:8 offset1:12
	s_waitcnt lgkmcnt(0)
	v_mfma_f32_16x16x16_f16 v[22:25], v[82:83], v[14:15], v[22:25]
	v_mfma_f32_16x16x16_f16 v[22:25], v[84:85], v[16:17], v[22:25]
	ds_read2_b64 v[82:85], v1 offset0:16 offset1:20
	s_waitcnt lgkmcnt(0)
	v_mfma_f32_16x16x16_f16 v[22:25], v[82:83], v[10:11], v[22:25]
	v_mfma_f32_16x16x16_f16 v[22:25], v[84:85], v[12:13], v[22:25]
	ds_read2_b64 v[82:85], v1 offset0:24 offset1:28
	v_add_u32_e32 v1, 0x2000, v1
	s_waitcnt lgkmcnt(0)
	v_mfma_f32_16x16x16_f16 v[22:25], v[82:83], v[6:7], v[22:25]
	v_mfma_f32_16x16x16_f16 v[22:25], v[84:85], v[8:9], v[22:25]
	ds_read2_b64 v[82:85], v1 offset0:64 offset1:68
	s_waitcnt lgkmcnt(0)
	v_mfma_f32_16x16x16_f16 v[86:89], v[82:83], v[18:19], 0
	s_nop 3
	v_cmp_nlt_f32_e64 s[46:47], |v22|, s70
	v_mfma_f32_16x16x16_f16 v[18:21], v[84:85], v[20:21], v[86:89]
	ds_read2_b64 v[82:85], v1 offset0:72 offset1:76
	s_waitcnt lgkmcnt(0)
	v_mfma_f32_16x16x16_f16 v[18:21], v[82:83], v[14:15], v[18:21]
	v_mfma_f32_16x16x16_f16 v[14:17], v[84:85], v[16:17], v[18:21]
	s_nop 5
	ds_read2_b64 v[18:21], v1 offset0:80 offset1:84
	s_waitcnt lgkmcnt(0)
	v_mfma_f32_16x16x16_f16 v[14:17], v[18:19], v[10:11], v[14:17]
	v_mfma_f32_16x16x16_f16 v[10:13], v[20:21], v[12:13], v[14:17]
	s_nop 5
	ds_read2_b64 v[14:17], v1 offset0:88 offset1:92
	s_waitcnt lgkmcnt(0)
	v_mfma_f32_16x16x16_f16 v[4:7], v[14:15], v[6:7], v[10:13]
	s_barrier
	v_mfma_f32_16x16x16_f16 v[4:7], v[16:17], v[8:9], v[4:7]
                                        ; implicit-def: $vgpr1
	s_and_saveexec_b64 s[48:49], s[46:47]
	s_xor_b64 s[46:47], exec, s[48:49]
	s_cbranch_execz .LBB25_326
; %bb.325:                              ;   in Loop: Header=BB25_14 Depth=1
	v_add_f32_e64 v1, |v22|, |v22|
	v_mul_f32_e32 v3, 0x3fb8aa3b, v1
	v_rndne_f32_e32 v8, v3
	v_sub_f32_e32 v9, v3, v8
	v_fma_f32 v3, v1, s66, -v3
	v_fmac_f32_e32 v3, 0x32a5705f, v1
	v_add_f32_e32 v3, v9, v3
	v_cvt_i32_f32_e32 v8, v8
	v_exp_f32_e32 v3, v3
	v_cmp_ngt_f32_e32 vcc, s33, v1
	v_ldexp_f32 v3, v3, v8
	s_nop 0
	v_cndmask_b32_e32 v3, 0, v3, vcc
	v_cmp_nlt_f32_e32 vcc, s67, v1
	s_nop 1
	v_cndmask_b32_e32 v1, v230, v3, vcc
	v_add_f32_e32 v1, 1.0, v1
	v_rcp_f32_e32 v1, v1
	s_nop 0
	v_fma_f32 v1, v1, -2.0, 1.0
.LBB25_326:                             ;   in Loop: Header=BB25_14 Depth=1
	s_andn2_saveexec_b64 s[46:47], s[46:47]
; %bb.327:                              ;   in Loop: Header=BB25_14 Depth=1
	v_mul_f32_e32 v1, v22, v22
	v_fmamk_f32 v3, v1, 0xbbbac73d, v252
	v_fmaak_f32 v3, v1, v3, 0xbd5c1c4e
	v_fmaak_f32 v3, v1, v3, 0x3e088382
	;; [unrolled: 1-line block ×3, first 2 shown]
	v_mul_f32_e64 v3, |v22|, v3
	v_fma_f32 v1, v1, v3, |v22|
; %bb.328:                              ;   in Loop: Header=BB25_14 Depth=1
	s_or_b64 exec, exec, s[46:47]
	v_cmp_nlt_f32_e64 s[46:47], |v23|, s70
                                        ; implicit-def: $vgpr3
	s_and_saveexec_b64 s[48:49], s[46:47]
	s_xor_b64 s[46:47], exec, s[48:49]
	s_cbranch_execz .LBB25_330
; %bb.329:                              ;   in Loop: Header=BB25_14 Depth=1
	v_add_f32_e64 v3, |v23|, |v23|
	v_mul_f32_e32 v8, 0x3fb8aa3b, v3
	v_rndne_f32_e32 v9, v8
	v_sub_f32_e32 v10, v8, v9
	v_fma_f32 v8, v3, s66, -v8
	v_fmac_f32_e32 v8, 0x32a5705f, v3
	v_add_f32_e32 v8, v10, v8
	v_cvt_i32_f32_e32 v9, v9
	v_exp_f32_e32 v8, v8
	v_cmp_ngt_f32_e32 vcc, s33, v3
	v_ldexp_f32 v8, v8, v9
	s_nop 0
	v_cndmask_b32_e32 v8, 0, v8, vcc
	v_cmp_nlt_f32_e32 vcc, s67, v3
	s_nop 1
	v_cndmask_b32_e32 v3, v230, v8, vcc
	v_add_f32_e32 v3, 1.0, v3
	v_rcp_f32_e32 v3, v3
	s_nop 0
	v_fma_f32 v3, v3, -2.0, 1.0
.LBB25_330:                             ;   in Loop: Header=BB25_14 Depth=1
	s_andn2_saveexec_b64 s[46:47], s[46:47]
; %bb.331:                              ;   in Loop: Header=BB25_14 Depth=1
	v_mul_f32_e32 v3, v23, v23
	v_fmamk_f32 v8, v3, 0xbbbac73d, v252
	v_fmaak_f32 v8, v3, v8, 0xbd5c1c4e
	v_fmaak_f32 v8, v3, v8, 0x3e088382
	;; [unrolled: 1-line block ×3, first 2 shown]
	v_mul_f32_e64 v8, |v23|, v8
	v_fma_f32 v3, v3, v8, |v23|
; %bb.332:                              ;   in Loop: Header=BB25_14 Depth=1
	s_or_b64 exec, exec, s[46:47]
	v_cmp_nlt_f32_e64 s[46:47], |v24|, s70
                                        ; implicit-def: $vgpr8
	s_and_saveexec_b64 s[48:49], s[46:47]
	s_xor_b64 s[46:47], exec, s[48:49]
	s_cbranch_execz .LBB25_334
; %bb.333:                              ;   in Loop: Header=BB25_14 Depth=1
	v_add_f32_e64 v8, |v24|, |v24|
	v_mul_f32_e32 v9, 0x3fb8aa3b, v8
	v_rndne_f32_e32 v10, v9
	v_sub_f32_e32 v11, v9, v10
	v_fma_f32 v9, v8, s66, -v9
	v_fmac_f32_e32 v9, 0x32a5705f, v8
	v_add_f32_e32 v9, v11, v9
	v_cvt_i32_f32_e32 v10, v10
	v_exp_f32_e32 v9, v9
	v_cmp_ngt_f32_e32 vcc, s33, v8
	v_ldexp_f32 v9, v9, v10
	s_nop 0
	v_cndmask_b32_e32 v9, 0, v9, vcc
	v_cmp_nlt_f32_e32 vcc, s67, v8
	s_nop 1
	v_cndmask_b32_e32 v8, v230, v9, vcc
	v_add_f32_e32 v8, 1.0, v8
	v_rcp_f32_e32 v8, v8
	s_nop 0
	v_fma_f32 v8, v8, -2.0, 1.0
.LBB25_334:                             ;   in Loop: Header=BB25_14 Depth=1
	s_andn2_saveexec_b64 s[46:47], s[46:47]
; %bb.335:                              ;   in Loop: Header=BB25_14 Depth=1
	v_mul_f32_e32 v8, v24, v24
	v_fmamk_f32 v9, v8, 0xbbbac73d, v252
	v_fmaak_f32 v9, v8, v9, 0xbd5c1c4e
	v_fmaak_f32 v9, v8, v9, 0x3e088382
	;; [unrolled: 1-line block ×3, first 2 shown]
	v_mul_f32_e64 v9, |v24|, v9
	v_fma_f32 v8, v8, v9, |v24|
; %bb.336:                              ;   in Loop: Header=BB25_14 Depth=1
	s_or_b64 exec, exec, s[46:47]
	v_cmp_nlt_f32_e64 s[46:47], |v25|, s70
                                        ; implicit-def: $vgpr9
	s_and_saveexec_b64 s[48:49], s[46:47]
	s_xor_b64 s[46:47], exec, s[48:49]
	s_cbranch_execz .LBB25_338
; %bb.337:                              ;   in Loop: Header=BB25_14 Depth=1
	v_add_f32_e64 v9, |v25|, |v25|
	v_mul_f32_e32 v10, 0x3fb8aa3b, v9
	v_rndne_f32_e32 v11, v10
	v_sub_f32_e32 v12, v10, v11
	v_fma_f32 v10, v9, s66, -v10
	v_fmac_f32_e32 v10, 0x32a5705f, v9
	v_add_f32_e32 v10, v12, v10
	v_cvt_i32_f32_e32 v11, v11
	v_exp_f32_e32 v10, v10
	v_cmp_ngt_f32_e32 vcc, s33, v9
	v_ldexp_f32 v10, v10, v11
	s_nop 0
	v_cndmask_b32_e32 v10, 0, v10, vcc
	v_cmp_nlt_f32_e32 vcc, s67, v9
	s_nop 1
	v_cndmask_b32_e32 v9, v230, v10, vcc
	v_add_f32_e32 v9, 1.0, v9
	v_rcp_f32_e32 v9, v9
	s_nop 0
	v_fma_f32 v9, v9, -2.0, 1.0
.LBB25_338:                             ;   in Loop: Header=BB25_14 Depth=1
	s_andn2_saveexec_b64 s[46:47], s[46:47]
; %bb.339:                              ;   in Loop: Header=BB25_14 Depth=1
	v_mul_f32_e32 v9, v25, v25
	v_fmamk_f32 v10, v9, 0xbbbac73d, v252
	v_fmaak_f32 v10, v9, v10, 0xbd5c1c4e
	v_fmaak_f32 v10, v9, v10, 0x3e088382
	;; [unrolled: 1-line block ×3, first 2 shown]
	v_mul_f32_e64 v10, |v25|, v10
	v_fma_f32 v9, v9, v10, |v25|
; %bb.340:                              ;   in Loop: Header=BB25_14 Depth=1
	s_or_b64 exec, exec, s[46:47]
	v_cmp_nlt_f32_e64 s[46:47], |v4|, s70
                                        ; implicit-def: $vgpr10
	s_and_saveexec_b64 s[48:49], s[46:47]
	s_xor_b64 s[46:47], exec, s[48:49]
	s_cbranch_execz .LBB25_342
; %bb.341:                              ;   in Loop: Header=BB25_14 Depth=1
	v_add_f32_e64 v10, |v4|, |v4|
	v_mul_f32_e32 v11, 0x3fb8aa3b, v10
	v_rndne_f32_e32 v12, v11
	v_sub_f32_e32 v13, v11, v12
	v_fma_f32 v11, v10, s66, -v11
	v_fmac_f32_e32 v11, 0x32a5705f, v10
	v_add_f32_e32 v11, v13, v11
	v_cvt_i32_f32_e32 v12, v12
	v_exp_f32_e32 v11, v11
	v_cmp_ngt_f32_e32 vcc, s33, v10
	v_ldexp_f32 v11, v11, v12
	s_nop 0
	v_cndmask_b32_e32 v11, 0, v11, vcc
	v_cmp_nlt_f32_e32 vcc, s67, v10
	s_nop 1
	v_cndmask_b32_e32 v10, v230, v11, vcc
	v_add_f32_e32 v10, 1.0, v10
	v_rcp_f32_e32 v10, v10
	s_nop 0
	v_fma_f32 v10, v10, -2.0, 1.0
.LBB25_342:                             ;   in Loop: Header=BB25_14 Depth=1
	s_andn2_saveexec_b64 s[46:47], s[46:47]
; %bb.343:                              ;   in Loop: Header=BB25_14 Depth=1
	v_mul_f32_e32 v10, v4, v4
	v_fmamk_f32 v11, v10, 0xbbbac73d, v252
	v_fmaak_f32 v11, v10, v11, 0xbd5c1c4e
	v_fmaak_f32 v11, v10, v11, 0x3e088382
	;; [unrolled: 1-line block ×3, first 2 shown]
	v_mul_f32_e64 v11, |v4|, v11
	v_fma_f32 v10, v10, v11, |v4|
; %bb.344:                              ;   in Loop: Header=BB25_14 Depth=1
	s_or_b64 exec, exec, s[46:47]
	v_cmp_nlt_f32_e64 s[46:47], |v5|, s70
                                        ; implicit-def: $vgpr11
	s_and_saveexec_b64 s[48:49], s[46:47]
	s_xor_b64 s[46:47], exec, s[48:49]
	s_cbranch_execz .LBB25_346
; %bb.345:                              ;   in Loop: Header=BB25_14 Depth=1
	v_add_f32_e64 v11, |v5|, |v5|
	v_mul_f32_e32 v12, 0x3fb8aa3b, v11
	v_rndne_f32_e32 v13, v12
	v_sub_f32_e32 v14, v12, v13
	v_fma_f32 v12, v11, s66, -v12
	v_fmac_f32_e32 v12, 0x32a5705f, v11
	v_add_f32_e32 v12, v14, v12
	v_cvt_i32_f32_e32 v13, v13
	v_exp_f32_e32 v12, v12
	v_cmp_ngt_f32_e32 vcc, s33, v11
	v_ldexp_f32 v12, v12, v13
	s_nop 0
	v_cndmask_b32_e32 v12, 0, v12, vcc
	v_cmp_nlt_f32_e32 vcc, s67, v11
	s_nop 1
	v_cndmask_b32_e32 v11, v230, v12, vcc
	v_add_f32_e32 v11, 1.0, v11
	v_rcp_f32_e32 v11, v11
	s_nop 0
	v_fma_f32 v11, v11, -2.0, 1.0
.LBB25_346:                             ;   in Loop: Header=BB25_14 Depth=1
	s_andn2_saveexec_b64 s[46:47], s[46:47]
; %bb.347:                              ;   in Loop: Header=BB25_14 Depth=1
	v_mul_f32_e32 v11, v5, v5
	v_fmamk_f32 v12, v11, 0xbbbac73d, v252
	v_fmaak_f32 v12, v11, v12, 0xbd5c1c4e
	v_fmaak_f32 v12, v11, v12, 0x3e088382
	;; [unrolled: 1-line block ×3, first 2 shown]
	v_mul_f32_e64 v12, |v5|, v12
	v_fma_f32 v11, v11, v12, |v5|
; %bb.348:                              ;   in Loop: Header=BB25_14 Depth=1
	s_or_b64 exec, exec, s[46:47]
	v_cmp_nlt_f32_e64 s[46:47], |v6|, s70
                                        ; implicit-def: $vgpr14
	s_and_saveexec_b64 s[48:49], s[46:47]
	s_xor_b64 s[46:47], exec, s[48:49]
	s_cbranch_execz .LBB25_350
; %bb.349:                              ;   in Loop: Header=BB25_14 Depth=1
	v_add_f32_e64 v12, |v6|, |v6|
	v_mul_f32_e32 v13, 0x3fb8aa3b, v12
	v_rndne_f32_e32 v14, v13
	v_sub_f32_e32 v15, v13, v14
	v_fma_f32 v13, v12, s66, -v13
	v_fmac_f32_e32 v13, 0x32a5705f, v12
	v_add_f32_e32 v13, v15, v13
	v_cvt_i32_f32_e32 v14, v14
	v_exp_f32_e32 v13, v13
	v_cmp_ngt_f32_e32 vcc, s33, v12
	v_ldexp_f32 v13, v13, v14
	s_nop 0
	v_cndmask_b32_e32 v13, 0, v13, vcc
	v_cmp_nlt_f32_e32 vcc, s67, v12
	s_nop 1
	v_cndmask_b32_e32 v12, v230, v13, vcc
	v_add_f32_e32 v12, 1.0, v12
	v_rcp_f32_e32 v12, v12
	s_nop 0
	v_fma_f32 v14, v12, -2.0, 1.0
.LBB25_350:                             ;   in Loop: Header=BB25_14 Depth=1
	s_andn2_saveexec_b64 s[46:47], s[46:47]
; %bb.351:                              ;   in Loop: Header=BB25_14 Depth=1
	v_mul_f32_e32 v12, v6, v6
	v_fmamk_f32 v13, v12, 0xbbbac73d, v252
	v_fmaak_f32 v13, v12, v13, 0xbd5c1c4e
	v_fmaak_f32 v13, v12, v13, 0x3e088382
	v_fmaak_f32 v13, v12, v13, 0xbeaaaa99
	v_mul_f32_e64 v13, |v6|, v13
	v_fma_f32 v14, v12, v13, |v6|
; %bb.352:                              ;   in Loop: Header=BB25_14 Depth=1
	s_or_b64 exec, exec, s[46:47]
	v_cmp_nlt_f32_e64 s[46:47], |v7|, s70
                                        ; implicit-def: $vgpr15
	s_and_saveexec_b64 s[48:49], s[46:47]
	s_xor_b64 s[46:47], exec, s[48:49]
	s_cbranch_execz .LBB25_354
; %bb.353:                              ;   in Loop: Header=BB25_14 Depth=1
	v_add_f32_e64 v12, |v7|, |v7|
	v_mul_f32_e32 v13, 0x3fb8aa3b, v12
	v_rndne_f32_e32 v15, v13
	v_sub_f32_e32 v16, v13, v15
	v_fma_f32 v13, v12, s66, -v13
	v_fmac_f32_e32 v13, 0x32a5705f, v12
	v_add_f32_e32 v13, v16, v13
	v_cvt_i32_f32_e32 v15, v15
	v_exp_f32_e32 v13, v13
	v_cmp_ngt_f32_e32 vcc, s33, v12
	v_ldexp_f32 v13, v13, v15
	s_nop 0
	v_cndmask_b32_e32 v13, 0, v13, vcc
	v_cmp_nlt_f32_e32 vcc, s67, v12
	s_nop 1
	v_cndmask_b32_e32 v12, v230, v13, vcc
	v_add_f32_e32 v12, 1.0, v12
	v_rcp_f32_e32 v12, v12
	s_nop 0
	v_fma_f32 v15, v12, -2.0, 1.0
.LBB25_354:                             ;   in Loop: Header=BB25_14 Depth=1
	s_andn2_saveexec_b64 s[46:47], s[46:47]
; %bb.355:                              ;   in Loop: Header=BB25_14 Depth=1
	v_mul_f32_e32 v12, v7, v7
	v_fmamk_f32 v13, v12, 0xbbbac73d, v252
	v_fmaak_f32 v13, v12, v13, 0xbd5c1c4e
	v_fmaak_f32 v13, v12, v13, 0x3e088382
	v_fmaak_f32 v13, v12, v13, 0xbeaaaa99
	v_mul_f32_e64 v13, |v7|, v13
	v_fma_f32 v15, v12, v13, |v7|
; %bb.356:                              ;   in Loop: Header=BB25_14 Depth=1
	s_or_b64 exec, exec, s[46:47]
	v_bfi_b32 v1, s81, v1, v22
	v_mul_f32_e32 v16, s93, v1
	v_bfi_b32 v1, s81, v3, v23
	v_bfi_b32 v4, s81, v10, v4
	v_mul_f32_e32 v17, s93, v1
	v_bfi_b32 v1, s81, v8, v24
	v_mul_f32_e32 v12, s93, v4
	;; [unrolled: 2-line block ×6, first 2 shown]
	v_mul_f32_e32 v15, s93, v1
	s_and_b64 vcc, exec, s[44:45]
	s_cbranch_vccz .LBB25_448
; %bb.357:                              ;   in Loop: Header=BB25_14 Depth=1
	v_add_u32_e32 v1, 0x4400, v171
	ds_read2_b32 v[4:5], v1 offset1:1
	ds_read_b32 v1, v173 offset:17408
	ds_read_b32 v3, v175 offset:17408
	s_waitcnt lgkmcnt(2)
	v_cvt_f32_f16_e32 v6, v4
	v_cvt_f32_f16_sdwa v7, v4 dst_sel:DWORD dst_unused:UNUSED_PAD src0_sel:WORD_1
	v_cvt_f32_f16_e32 v4, v5
	v_cvt_f32_f16_sdwa v5, v5 dst_sel:DWORD dst_unused:UNUSED_PAD src0_sel:WORD_1
	s_waitcnt lgkmcnt(1)
	v_cvt_f32_f16_sdwa v21, v1 dst_sel:DWORD dst_unused:UNUSED_PAD src0_sel:WORD_1
	s_waitcnt lgkmcnt(0)
	v_cvt_f32_f16_sdwa v23, v3 dst_sel:DWORD dst_unused:UNUSED_PAD src0_sel:WORD_1
	v_cvt_f32_f16_e32 v22, v3
	v_cvt_f32_f16_e32 v20, v1
	v_pk_fma_f32 v[10:11], v[80:81], v[4:5], v[18:19] op_sel_hi:[0,1,1]
	v_pk_fma_f32 v[8:9], v[80:81], v[6:7], v[16:17] op_sel_hi:[0,1,1]
	;; [unrolled: 1-line block ×4, first 2 shown]
	s_cbranch_execnz .LBB25_359
.LBB25_358:                             ;   in Loop: Header=BB25_14 Depth=1
	v_mov_b64_e32 v[4:5], v[12:13]
	v_mov_b64_e32 v[8:9], v[16:17]
	;; [unrolled: 1-line block ×4, first 2 shown]
.LBB25_359:                             ;   in Loop: Header=BB25_14 Depth=1
	v_add_f32_e32 v1, 0x40051340, v8
	v_max_f32_e32 v3, v34, v34
	v_cmp_lt_u32_e64 s[54:55], v170, v31
	v_max_f32_e32 v1, v3, v1
	v_add_f32_e32 v3, 0x40051340, v9
	v_cndmask_b32_e64 v1, v34, v1, s[54:55]
	v_max_f32_e32 v12, v1, v1
	v_cmp_lt_u32_e64 s[56:57], v246, v31
	v_max_f32_e32 v3, v12, v3
	v_cmp_lt_u32_e64 s[58:59], v247, v31
	v_cndmask_b32_e64 v1, v1, v3, s[56:57]
	v_add_f32_e32 v3, 0x40051340, v10
	v_max_f32_e32 v12, v1, v1
	v_max_f32_e32 v3, v12, v3
	v_cndmask_b32_e64 v1, v1, v3, s[58:59]
	v_add_f32_e32 v3, 0x40051340, v11
	v_max_f32_e32 v12, v1, v1
	v_cmp_lt_u32_e64 s[50:51], v248, v31
	v_max_f32_e32 v3, v12, v3
	v_cmp_lt_u32_e64 s[48:49], v172, v31
	v_cndmask_b32_e64 v1, v1, v3, s[50:51]
	v_add_f32_e32 v3, 0x40051340, v4
	v_max_f32_e32 v12, v1, v1
	v_max_f32_e32 v3, v12, v3
	v_cndmask_b32_e64 v1, v1, v3, s[48:49]
	v_add_f32_e32 v3, 0x40051340, v5
	v_max_f32_e32 v12, v1, v1
	v_cmp_lt_u32_e64 s[46:47], v249, v31
	v_max_f32_e32 v3, v12, v3
	v_cmp_lt_u32_e64 s[44:45], v174, v31
	v_cndmask_b32_e64 v1, v1, v3, s[46:47]
	v_add_f32_e32 v3, 0x40051340, v6
	v_max_f32_e32 v12, v1, v1
	v_max_f32_e32 v3, v12, v3
	v_cndmask_b32_e64 v1, v1, v3, s[44:45]
	v_add_f32_e32 v3, 0x40051340, v7
	v_max_f32_e32 v12, v1, v1
	v_cmp_lt_u32_e32 vcc, v250, v31
	v_max_f32_e32 v3, v12, v3
	v_xor_b32_e32 v12, 32, v232
	v_cndmask_b32_e32 v1, v1, v3, vcc
	v_and_b32_e32 v3, 64, v232
	v_add_u32_e32 v3, 64, v3
	v_cmp_lt_i32_e64 s[60:61], v12, v3
	v_cndmask_b32_e64 v10, v10, v10, s[56:57]
	v_cndmask_b32_e64 v11, v11, v11, s[56:57]
	;; [unrolled: 1-line block ×3, first 2 shown]
	v_lshlrev_b32_e32 v13, 2, v12
	ds_bpermute_b32 v12, v13, v1
	v_max_f32_e32 v1, v1, v1
	v_cndmask_b32_e64 v5, v5, v5, s[48:49]
	v_cndmask_b32_e64 v7, v7, v7, s[48:49]
	v_cndmask_b32_e64 v6, v6, v6, s[48:49]
	s_waitcnt lgkmcnt(0)
	v_max_f32_e32 v12, v12, v12
	v_max_f32_e32 v1, v1, v12
	v_xor_b32_e32 v12, 16, v232
	v_cmp_lt_i32_e64 s[60:61], v12, v3
	s_cmp_eq_u64 s[26:27], 0
	s_nop 0
	v_cndmask_b32_e64 v3, v232, v12, s[60:61]
	v_lshlrev_b32_e32 v21, 2, v3
	ds_bpermute_b32 v3, v21, v1
	s_waitcnt lgkmcnt(0)
	v_max_f32_e32 v3, v3, v3
	v_max_f32_e32 v12, v1, v3
	v_sub_f32_e32 v1, v8, v12
	v_mul_f32_e32 v3, 0x3fb8aa3b, v1
	v_fma_f32 v8, v1, s66, -v3
	v_rndne_f32_e32 v14, v3
	v_fmac_f32_e32 v8, 0x32a5705f, v1
	v_sub_f32_e32 v3, v3, v14
	v_add_f32_e32 v3, v3, v8
	v_exp_f32_e32 v3, v3
	v_cvt_i32_f32_e32 v8, v14
	v_cmp_ngt_f32_e64 s[60:61], s33, v1
	v_ldexp_f32 v3, v3, v8
	s_nop 0
	v_cndmask_b32_e64 v3, 0, v3, s[60:61]
	v_cmp_nlt_f32_e64 s[60:61], s67, v1
	s_nop 1
	v_cndmask_b32_e64 v1, v230, v3, s[60:61]
	v_cndmask_b32_e64 v8, 0, v1, s[54:55]
	v_sub_f32_e32 v1, v9, v12
	v_mul_f32_e32 v3, 0x3fb8aa3b, v1
	v_fma_f32 v9, v1, s66, -v3
	v_rndne_f32_e32 v14, v3
	v_fmac_f32_e32 v9, 0x32a5705f, v1
	v_sub_f32_e32 v3, v3, v14
	v_add_f32_e32 v3, v3, v9
	v_exp_f32_e32 v3, v3
	v_cvt_i32_f32_e32 v9, v14
	v_cmp_ngt_f32_e64 s[54:55], s33, v1
	v_ldexp_f32 v3, v3, v9
	s_nop 0
	v_cndmask_b32_e64 v3, 0, v3, s[54:55]
	v_cmp_nlt_f32_e64 s[54:55], s67, v1
	v_mov_b32_e32 v1, s89
	s_nop 0
	v_cndmask_b32_e64 v3, v230, v3, s[54:55]
	v_add_f32_e32 v9, v3, v8
	v_cndmask_b32_e64 v29, v1, v3, s[56:57]
	v_sub_f32_e32 v3, v10, v12
	v_cndmask_b32_e64 v1, v8, v9, s[56:57]
	v_mul_f32_e32 v9, 0x3fb8aa3b, v3
	v_fma_f32 v10, v3, s66, -v9
	v_rndne_f32_e32 v14, v9
	v_fmac_f32_e32 v10, 0x32a5705f, v3
	v_sub_f32_e32 v9, v9, v14
	v_add_f32_e32 v9, v9, v10
	v_exp_f32_e32 v9, v9
	v_cvt_i32_f32_e32 v10, v14
	v_cmp_ngt_f32_e64 s[54:55], s33, v3
	v_ldexp_f32 v9, v9, v10
	s_nop 0
	v_cndmask_b32_e64 v9, 0, v9, s[54:55]
	v_cmp_nlt_f32_e64 s[54:55], s67, v3
	v_mov_b32_e32 v10, s89
	s_nop 0
	v_cndmask_b32_e64 v3, v230, v9, s[54:55]
	v_add_f32_e32 v9, v1, v3
	v_cndmask_b32_e64 v32, v10, v3, s[58:59]
	v_sub_f32_e32 v3, v11, v12
	v_cndmask_b32_e64 v1, v1, v9, s[58:59]
	v_mul_f32_e32 v9, 0x3fb8aa3b, v3
	v_fma_f32 v10, v3, s66, -v9
	v_rndne_f32_e32 v11, v9
	v_fmac_f32_e32 v10, 0x32a5705f, v3
	v_sub_f32_e32 v9, v9, v11
	v_add_f32_e32 v9, v9, v10
	v_exp_f32_e32 v9, v9
	v_cvt_i32_f32_e32 v10, v11
	v_cmp_ngt_f32_e64 s[54:55], s33, v3
	v_ldexp_f32 v9, v9, v10
	s_nop 0
	v_cndmask_b32_e64 v9, 0, v9, s[54:55]
	v_cmp_nlt_f32_e64 s[54:55], s67, v3
	v_mov_b32_e32 v3, s89
	s_nop 0
	v_cndmask_b32_e64 v9, v230, v9, s[54:55]
	v_add_f32_e32 v10, v1, v9
	v_cndmask_b32_e64 v9, v3, v9, s[50:51]
	v_sub_f32_e32 v3, v4, v12
	v_mul_f32_e32 v4, 0x3fb8aa3b, v3
	v_cndmask_b32_e64 v1, v1, v10, s[50:51]
	v_fma_f32 v10, v3, s66, -v4
	v_rndne_f32_e32 v11, v4
	v_fmac_f32_e32 v10, 0x32a5705f, v3
	v_sub_f32_e32 v4, v4, v11
	v_add_f32_e32 v4, v4, v10
	v_exp_f32_e32 v4, v4
	v_cvt_i32_f32_e32 v10, v11
	v_cmp_ngt_f32_e64 s[50:51], s33, v3
	v_ldexp_f32 v4, v4, v10
	s_nop 0
	v_cndmask_b32_e64 v4, 0, v4, s[50:51]
	v_cmp_nlt_f32_e64 s[50:51], s67, v3
	s_nop 1
	v_cndmask_b32_e64 v3, v230, v4, s[50:51]
	v_add_f32_e32 v10, v3, v1
	v_mov_b32_e32 v4, s89
	v_cndmask_b32_e64 v33, v4, v3, s[48:49]
	v_cndmask_b32_e64 v3, v1, v10, s[48:49]
	v_sub_f32_e32 v1, v5, v12
	v_mul_f32_e32 v4, 0x3fb8aa3b, v1
	v_fma_f32 v5, v1, s66, -v4
	v_rndne_f32_e32 v10, v4
	v_fmac_f32_e32 v5, 0x32a5705f, v1
	v_sub_f32_e32 v4, v4, v10
	v_add_f32_e32 v4, v4, v5
	v_exp_f32_e32 v4, v4
	v_cvt_i32_f32_e32 v5, v10
	v_cmp_ngt_f32_e64 s[48:49], s33, v1
	v_ldexp_f32 v4, v4, v5
	s_nop 0
	v_cndmask_b32_e64 v4, 0, v4, s[48:49]
	v_cmp_nlt_f32_e64 s[48:49], s67, v1
	v_mov_b32_e32 v1, s89
	s_nop 0
	v_cndmask_b32_e64 v4, v230, v4, s[48:49]
	v_add_f32_e32 v5, v4, v3
	v_cndmask_b32_e64 v35, v1, v4, s[46:47]
	v_cndmask_b32_e64 v1, v3, v5, s[46:47]
	v_sub_f32_e32 v3, v6, v12
	v_mul_f32_e32 v4, 0x3fb8aa3b, v3
	v_fma_f32 v5, v3, s66, -v4
	v_rndne_f32_e32 v6, v4
	v_fmac_f32_e32 v5, 0x32a5705f, v3
	v_sub_f32_e32 v4, v4, v6
	v_add_f32_e32 v4, v4, v5
	v_exp_f32_e32 v4, v4
	v_cvt_i32_f32_e32 v5, v6
	v_cmp_ngt_f32_e64 s[46:47], s33, v3
	v_ldexp_f32 v4, v4, v5
	s_nop 0
	v_cndmask_b32_e64 v4, 0, v4, s[46:47]
	v_cmp_nlt_f32_e64 s[46:47], s67, v3
	s_nop 1
	v_cndmask_b32_e64 v3, v230, v4, s[46:47]
	v_mov_b32_e32 v4, s89
	v_add_f32_e32 v5, v3, v1
	v_cndmask_b32_e64 v4, v4, v3, s[44:45]
	v_sub_f32_e32 v3, v7, v12
	v_cndmask_b32_e64 v1, v1, v5, s[44:45]
	v_mul_f32_e32 v5, 0x3fb8aa3b, v3
	v_fma_f32 v6, v3, s66, -v5
	v_rndne_f32_e32 v7, v5
	v_fmac_f32_e32 v6, 0x32a5705f, v3
	v_sub_f32_e32 v5, v5, v7
	v_add_f32_e32 v5, v5, v6
	v_exp_f32_e32 v5, v5
	v_cvt_i32_f32_e32 v6, v7
	v_cmp_ngt_f32_e64 s[44:45], s33, v3
	v_cvt_f16_f32_e32 v4, v4
	v_ldexp_f32 v5, v5, v6
	v_cndmask_b32_e64 v5, 0, v5, s[44:45]
	v_cmp_nlt_f32_e64 s[44:45], s67, v3
	v_mov_b32_e32 v3, s89
	s_nop 0
	v_cndmask_b32_e64 v5, v230, v5, s[44:45]
	v_add_f32_e32 v6, v5, v1
	v_cndmask_b32_e32 v23, v1, v6, vcc
	v_sub_f32_e32 v1, v34, v12
	v_cndmask_b32_e32 v3, v3, v5, vcc
	v_mul_f32_e32 v5, 0x3fb8aa3b, v1
	v_fma_f32 v6, v1, s66, -v5
	v_rndne_f32_e32 v7, v5
	v_fmac_f32_e32 v6, 0x32a5705f, v1
	v_sub_f32_e32 v5, v5, v7
	v_add_f32_e32 v5, v5, v6
	v_exp_f32_e32 v5, v5
	v_cvt_i32_f32_e32 v6, v7
	v_cmp_ngt_f32_e32 vcc, s33, v1
	v_cvt_f16_f32_e32 v3, v3
	v_ldexp_f32 v5, v5, v6
	v_cndmask_b32_e32 v5, 0, v5, vcc
	v_cmp_nlt_f32_e32 vcc, s67, v1
	v_cvt_f16_f32_e32 v6, v29
	v_pack_b32_f16 v7, v4, v3
	v_cndmask_b32_e32 v5, v230, v5, vcc
	v_cmp_le_f32_e32 vcc, s71, v1
	v_mul_lo_u32 v3, v26, s77
	v_mul_hi_u32 v4, v26, s76
	v_cndmask_b32_e32 v1, 0, v5, vcc
	v_cvt_f16_f32_e32 v5, v1
	v_fmac_f32_e32 v23, v30, v1
	v_mov_b32_e32 v29, v2
	v_pk_mul_f16 v31, v5, v220 op_sel_hi:[0,1]
	v_pk_mul_f16 v1, v5, v223 op_sel_hi:[0,1]
	;; [unrolled: 1-line block ×16, first 2 shown]
	v_cvt_f16_f32_e32 v5, v8
	v_pack_b32_f16 v8, v5, v6
	v_cvt_f16_f32_e32 v5, v32
	v_cvt_f16_f32_e32 v6, v9
	v_pack_b32_f16 v9, v5, v6
	v_cvt_f16_f32_e32 v5, v33
	v_cvt_f16_f32_e32 v6, v35
	v_pack_b32_f16 v6, v5, v6
	v_add_u32_e32 v5, v4, v3
	v_mul_lo_u32 v4, v26, s76
	v_lshlrev_b64 v[4:5], 2, v[4:5]
	v_lshl_add_u64 v[4:5], s[84:85], 0, v[4:5]
	v_lshl_add_u64 v[34:35], v[54:55], 2, v[4:5]
	v_mov_b32_e32 v3, s29
	v_mov_b32_e32 v26, s28
	v_lshl_add_u64 v[34:35], v[34:35], 0, v[28:29]
	v_lshl_add_u64 v[32:33], v[52:53], 2, v[4:5]
	v_cndmask_b32_e64 v37, v3, v35, s[38:39]
	v_cndmask_b32_e64 v36, v26, v34, s[38:39]
	v_lshl_add_u64 v[34:35], v[56:57], 2, v[4:5]
	v_lshl_add_u64 v[4:5], v[58:59], 2, v[4:5]
	;; [unrolled: 1-line block ×5, first 2 shown]
	v_cndmask_b32_e64 v33, v3, v33, s[36:37]
	v_cndmask_b32_e64 v81, v3, v35, s[40:41]
	;; [unrolled: 1-line block ×4, first 2 shown]
	v_mov_b32_e32 v3, v2
	v_mov_b32_e32 v4, v2
	;; [unrolled: 1-line block ×3, first 2 shown]
	v_cndmask_b32_e64 v32, v26, v32, s[36:37]
	scratch_store_dwordx4 off, v[2:5], off
	v_cndmask_b32_e64 v80, v26, v34, s[40:41]
	flat_load_dwordx4 v[32:35], v[32:33]
	v_add_u32_e32 v3, v129, v176
	v_add_u32_e32 v26, v129, v177
	v_readlane_b32 s38, v255, 6
	v_readlane_b32 s39, v255, 7
	s_cselect_b64 s[36:37], -1, 0
	s_xor_b64 s[38:39], s[38:39], -1
	s_or_b64 s[36:37], s[38:39], s[36:37]
	s_waitcnt vmcnt(0) lgkmcnt(0)
	ds_write_b128 v128, v[32:35]
	flat_load_dwordx4 v[32:35], v[36:37]
	s_waitcnt vmcnt(0) lgkmcnt(0)
	ds_write_b128 v241, v[32:35]
	flat_load_dwordx4 v[32:35], v[80:81]
	;; [unrolled: 3-line block ×3, first 2 shown]
	v_add_u32_e32 v29, v178, v176
	s_waitcnt vmcnt(0) lgkmcnt(0)
	ds_write_b128 v245, v[32:35]
	s_waitcnt lgkmcnt(0)
	s_barrier
	ds_read_u16 v3, v3 offset:272
	ds_read_u16 v4, v186 offset:544
	v_cvt_f32_f16_e32 v34, v1
	v_cvt_f32_f16_sdwa v35, v1 dst_sel:DWORD dst_unused:UNUSED_PAD src0_sel:WORD_1
	ds_read_u16 v1, v26
	ds_read_u16 v36, v26 offset:32
	v_cvt_f32_f16_e32 v32, v31
	v_cvt_f32_f16_sdwa v33, v31 dst_sel:DWORD dst_unused:UNUSED_PAD src0_sel:WORD_1
	s_waitcnt lgkmcnt(1)
	v_perm_b32 v5, v1, v4, s72
	ds_read_u16 v1, v137
	ds_read_u16 v37, v137 offset:32
	ds_read_u16 v28, v137 offset:8704
	;; [unrolled: 1-line block ×5, first 2 shown]
	s_waitcnt lgkmcnt(5)
	v_perm_b32 v4, v3, v1, s72
	s_nop 1
	v_mfma_f32_16x16x16_f16 v[32:35], v[4:5], v[8:9], v[32:35]
	s_nop 6
	v_cvt_f16_f32_e32 v4, v34
	v_cvt_f16_f32_e32 v5, v35
	;; [unrolled: 1-line block ×4, first 2 shown]
	v_cvt_f32_f16_e32 v34, v4
	v_cvt_f32_f16_e32 v35, v5
	s_waitcnt lgkmcnt(0)
	v_perm_b32 v5, v80, v31, s72
	v_perm_b32 v4, v29, v28, s72
	v_cvt_f32_f16_e32 v32, v1
	v_cvt_f32_f16_e32 v33, v3
	v_cvt_f32_f16_sdwa v29, v30 dst_sel:DWORD dst_unused:UNUSED_PAD src0_sel:WORD_1
	v_cvt_f32_f16_sdwa v31, v10 dst_sel:DWORD dst_unused:UNUSED_PAD src0_sel:WORD_1
	v_mfma_f32_16x16x16_f16 v[32:35], v[4:5], v[6:7], v[32:35]
	s_nop 6
	v_cvt_f16_f32_e32 v1, v32
	v_cvt_f16_f32_e32 v3, v33
	;; [unrolled: 1-line block ×4, first 2 shown]
	v_pack_b32_f16 v4, v1, v3
	v_add_u32_e32 v3, v179, v176
	v_pack_b32_f16 v1, v5, v28
	ds_read_u16 v3, v3 offset:272
	ds_read_u16 v5, v188 offset:544
	v_cvt_f32_f16_e32 v28, v30
	v_cvt_f32_f16_e32 v30, v10
	s_waitcnt lgkmcnt(1)
	v_perm_b32 v32, v3, v37, s72
	s_waitcnt lgkmcnt(0)
	v_perm_b32 v33, v36, v5, s72
	s_nop 1
	v_mfma_f32_16x16x16_f16 v[28:31], v[32:33], v[8:9], v[28:31]
	ds_read_u16 v32, v138 offset:8704
	s_nop 5
	v_cvt_f16_f32_e32 v3, v28
	v_add_u32_e32 v28, v130, v176
	ds_read_u16 v34, v28 offset:272
	ds_read_u16 v33, v139 offset:544
	v_add_u32_e32 v28, v179, v177
	ds_read_u16 v35, v28 offset:8704
	v_cvt_f16_f32_e32 v5, v29
	v_cvt_f16_f32_e32 v10, v30
	;; [unrolled: 1-line block ×3, first 2 shown]
	s_waitcnt lgkmcnt(2)
	v_perm_b32 v32, v34, v32, s72
	s_waitcnt lgkmcnt(0)
	v_perm_b32 v33, v35, v33, s72
	v_cvt_f32_f16_e32 v28, v3
	v_cvt_f32_f16_e32 v29, v5
	;; [unrolled: 1-line block ×4, first 2 shown]
	s_nop 1
	v_mfma_f32_16x16x16_f16 v[28:31], v[32:33], v[6:7], v[28:31]
	s_nop 6
	v_cvt_f16_f32_e32 v3, v28
	v_cvt_f16_f32_e32 v5, v29
	;; [unrolled: 1-line block ×4, first 2 shown]
	v_cvt_f32_f16_e32 v30, v14
	v_pack_b32_f16 v10, v3, v5
	ds_read_u16 v5, v137 offset:64
	v_pack_b32_f16 v3, v28, v29
	v_add_u32_e32 v28, v180, v176
	ds_read_u16 v32, v28 offset:272
	ds_read_u16 v33, v189 offset:544
	;; [unrolled: 1-line block ×3, first 2 shown]
	v_cvt_f32_f16_e32 v28, v27
	v_cvt_f32_f16_sdwa v29, v27 dst_sel:DWORD dst_unused:UNUSED_PAD src0_sel:WORD_1
	s_waitcnt lgkmcnt(2)
	v_perm_b32 v32, v32, v5, s72
	v_cvt_f32_f16_sdwa v31, v14 dst_sel:DWORD dst_unused:UNUSED_PAD src0_sel:WORD_1
	s_waitcnt lgkmcnt(0)
	v_perm_b32 v33, v34, v33, s72
	ds_read_u16 v5, v140 offset:8704
	s_nop 0
	v_mfma_f32_16x16x16_f16 v[28:31], v[32:33], v[8:9], v[28:31]
	s_nop 6
	v_cvt_f16_f32_e32 v14, v28
	v_cvt_f16_f32_e32 v28, v30
	v_add_u32_e32 v30, v131, v176
	ds_read_u16 v34, v30 offset:272
	ds_read_u16 v35, v141 offset:544
	v_add_u32_e32 v30, v180, v177
	ds_read_u16 v36, v30 offset:8704
	v_cvt_f16_f32_e32 v27, v29
	v_cvt_f16_f32_e32 v29, v31
	v_cvt_f32_f16_e32 v32, v28
	s_waitcnt lgkmcnt(2)
	v_perm_b32 v28, v34, v5, s72
	v_cvt_f32_f16_e32 v30, v14
	v_cvt_f32_f16_e32 v33, v29
	s_waitcnt lgkmcnt(0)
	v_perm_b32 v29, v36, v35, s72
	v_cvt_f32_f16_e32 v31, v27
	s_nop 1
	v_mfma_f32_16x16x16_f16 v[28:31], v[28:29], v[6:7], v[30:33]
	s_nop 6
	v_cvt_f16_f32_e32 v5, v28
	v_cvt_f16_f32_e32 v14, v29
	v_cvt_f16_f32_e32 v27, v30
	v_cvt_f16_f32_e32 v28, v31
	v_cvt_f32_f16_sdwa v29, v16 dst_sel:DWORD dst_unused:UNUSED_PAD src0_sel:WORD_1
	v_pack_b32_f16 v14, v5, v14
	v_cvt_f32_f16_e32 v30, v11
	v_pack_b32_f16 v5, v27, v28
	v_add_u32_e32 v28, v181, v176
	ds_read_u16 v27, v137 offset:96
	ds_read_u16 v32, v28 offset:272
	ds_read_u16 v33, v190 offset:544
	ds_read_u16 v34, v26 offset:96
	v_cvt_f32_f16_e32 v28, v16
	v_cvt_f32_f16_sdwa v31, v11 dst_sel:DWORD dst_unused:UNUSED_PAD src0_sel:WORD_1
	s_waitcnt lgkmcnt(2)
	v_perm_b32 v32, v32, v27, s72
	s_waitcnt lgkmcnt(0)
	v_perm_b32 v33, v34, v33, s72
	s_nop 1
	v_mfma_f32_16x16x16_f16 v[28:31], v[32:33], v[8:9], v[28:31]
	ds_read_u16 v32, v142 offset:8704
	s_nop 5
	v_cvt_f16_f32_e32 v11, v28
	v_add_u32_e32 v28, v132, v176
	ds_read_u16 v34, v28 offset:272
	ds_read_u16 v33, v143 offset:544
	v_add_u32_e32 v28, v181, v177
	ds_read_u16 v35, v28 offset:8704
	v_cvt_f16_f32_e32 v16, v29
	v_cvt_f16_f32_e32 v27, v30
	v_cvt_f16_f32_e32 v31, v31
	s_waitcnt lgkmcnt(2)
	v_perm_b32 v32, v34, v32, s72
	s_waitcnt lgkmcnt(0)
	v_perm_b32 v33, v35, v33, s72
	v_cvt_f32_f16_e32 v28, v11
	v_cvt_f32_f16_e32 v29, v16
	v_cvt_f32_f16_e32 v30, v27
	v_cvt_f32_f16_e32 v31, v31
	s_nop 1
	v_mfma_f32_16x16x16_f16 v[28:31], v[32:33], v[6:7], v[28:31]
	s_nop 6
	v_cvt_f16_f32_e32 v11, v28
	v_cvt_f16_f32_e32 v16, v29
	v_cvt_f16_f32_e32 v27, v30
	v_cvt_f16_f32_e32 v28, v31
	v_cvt_f32_f16_sdwa v29, v18 dst_sel:DWORD dst_unused:UNUSED_PAD src0_sel:WORD_1
	v_pack_b32_f16 v16, v11, v16
	v_cvt_f32_f16_e32 v30, v15
	v_pack_b32_f16 v11, v27, v28
	v_add_u32_e32 v28, v182, v176
	ds_read_u16 v27, v137 offset:128
	ds_read_u16 v32, v28 offset:272
	ds_read_u16 v33, v191 offset:544
	ds_read_u16 v34, v26 offset:128
	v_cvt_f32_f16_e32 v28, v18
	v_cvt_f32_f16_sdwa v31, v15 dst_sel:DWORD dst_unused:UNUSED_PAD src0_sel:WORD_1
	s_waitcnt lgkmcnt(2)
	v_perm_b32 v32, v32, v27, s72
	s_waitcnt lgkmcnt(0)
	v_perm_b32 v33, v34, v33, s72
	s_nop 1
	v_mfma_f32_16x16x16_f16 v[28:31], v[32:33], v[8:9], v[28:31]
	ds_read_u16 v32, v144 offset:8704
	s_nop 5
	v_cvt_f16_f32_e32 v15, v28
	v_add_u32_e32 v28, v133, v176
	ds_read_u16 v34, v28 offset:272
	ds_read_u16 v33, v145 offset:544
	v_add_u32_e32 v28, v182, v177
	ds_read_u16 v35, v28 offset:8704
	v_cvt_f16_f32_e32 v18, v29
	v_cvt_f16_f32_e32 v27, v30
	v_cvt_f16_f32_e32 v31, v31
	s_waitcnt lgkmcnt(2)
	v_perm_b32 v32, v34, v32, s72
	s_waitcnt lgkmcnt(0)
	v_perm_b32 v33, v35, v33, s72
	v_cvt_f32_f16_e32 v28, v15
	v_cvt_f32_f16_e32 v29, v18
	v_cvt_f32_f16_e32 v30, v27
	;; [unrolled: 43-line block ×4, first 2 shown]
	v_cvt_f32_f16_e32 v31, v31
	s_nop 1
	v_mfma_f32_16x16x16_f16 v[28:31], v[32:33], v[6:7], v[28:31]
	s_nop 6
	v_cvt_f16_f32_e32 v19, v28
	v_cvt_f16_f32_e32 v22, v29
	;; [unrolled: 1-line block ×4, first 2 shown]
	ds_read_u16 v30, v137 offset:224
	v_pack_b32_f16 v22, v19, v22
	v_cvt_f32_f16_sdwa v29, v24 dst_sel:DWORD dst_unused:UNUSED_PAD src0_sel:WORD_1
	v_pack_b32_f16 v19, v27, v28
	v_add_u32_e32 v27, v185, v176
	ds_read_u16 v31, v27 offset:272
	ds_read_u16 v32, v194 offset:544
	;; [unrolled: 1-line block ×3, first 2 shown]
	v_cvt_f32_f16_e32 v26, v25
	v_cvt_f32_f16_sdwa v27, v25 dst_sel:DWORD dst_unused:UNUSED_PAD src0_sel:WORD_1
	v_cvt_f32_f16_e32 v28, v24
	s_waitcnt lgkmcnt(2)
	v_perm_b32 v24, v31, v30, s72
	s_waitcnt lgkmcnt(0)
	v_perm_b32 v25, v33, v32, s72
	s_nop 1
	v_mfma_f32_16x16x16_f16 v[24:27], v[24:25], v[8:9], v[26:29]
	s_nop 2
	ds_read_u16 v28, v150 offset:8704
	s_nop 2
	v_cvt_f16_f32_e32 v8, v24
	v_add_u32_e32 v24, v136, v176
	ds_read_u16 v29, v24 offset:272
	ds_read_u16 v30, v151 offset:544
	v_add_u32_e32 v24, v185, v177
	ds_read_u16 v31, v24 offset:8704
	v_cvt_f16_f32_e32 v9, v25
	v_cvt_f16_f32_e32 v26, v26
	;; [unrolled: 1-line block ×3, first 2 shown]
	v_cvt_f32_f16_e32 v24, v8
	v_cvt_f32_f16_e32 v25, v9
	s_waitcnt lgkmcnt(0)
	v_perm_b32 v9, v31, v30, s72
	v_perm_b32 v8, v29, v28, s72
	v_cvt_f32_f16_e32 v26, v26
	v_cvt_f32_f16_e32 v27, v27
	s_barrier
	s_nop 0
	v_mfma_f32_16x16x16_f16 v[6:9], v[8:9], v[6:7], v[24:27]
	s_nop 6
	v_cvt_f16_f32_e32 v6, v6
	v_cvt_f16_f32_e32 v7, v7
	;; [unrolled: 1-line block ×4, first 2 shown]
	v_pack_b32_f16 v6, v6, v7
	v_pack_b32_f16 v7, v8, v9
	ds_bpermute_b32 v8, v13, v23
	s_waitcnt lgkmcnt(0)
	v_add_f32_e32 v8, v23, v8
	ds_bpermute_b32 v9, v21, v8
	s_waitcnt lgkmcnt(0)
	v_add_f32_e32 v13, v8, v9
	s_and_saveexec_b64 s[38:39], s[36:37]
	s_xor_b64 s[36:37], exec, s[38:39]
	s_andn2_saveexec_b64 s[36:37], s[36:37]
	s_cbranch_execz .LBB25_361
; %bb.360:                              ;   in Loop: Header=BB25_14 Depth=1
	global_load_dword v9, v2, s[26:27]
	v_max_f32_e32 v23, v12, v12
	s_waitcnt vmcnt(0)
	v_max_f32_e32 v8, v9, v9
	v_max_f32_e32 v8, v23, v8
	v_sub_f32_e32 v12, v12, v8
	v_mul_f32_e32 v23, 0x3fb8aa3b, v12
	v_fma_f32 v24, v12, s66, -v23
	v_rndne_f32_e32 v25, v23
	v_fmac_f32_e32 v24, 0x32a5705f, v12
	v_sub_f32_e32 v23, v23, v25
	v_add_f32_e32 v23, v23, v24
	v_exp_f32_e32 v23, v23
	v_cvt_i32_f32_e32 v24, v25
	v_cmp_ngt_f32_e32 vcc, s33, v12
	v_sub_f32_e32 v9, v9, v8
	v_ldexp_f32 v23, v23, v24
	v_cndmask_b32_e32 v23, 0, v23, vcc
	v_cmp_nlt_f32_e32 vcc, s67, v12
	s_nop 1
	v_cndmask_b32_e32 v23, v230, v23, vcc
	v_cmp_le_f32_e32 vcc, s71, v12
	s_nop 1
	v_cndmask_b32_e32 v12, 0, v23, vcc
	v_cvt_f16_f32_e32 v23, v12
	v_cmp_ngt_f32_e32 vcc, s33, v9
	v_pk_mul_f16 v4, v23, v4 op_sel_hi:[0,1]
	v_pk_mul_f16 v1, v23, v1 op_sel_hi:[0,1]
	;; [unrolled: 1-line block ×16, first 2 shown]
	v_mul_f32_e32 v23, 0x3fb8aa3b, v9
	v_fma_f32 v24, v9, s66, -v23
	v_rndne_f32_e32 v25, v23
	v_fmac_f32_e32 v24, 0x32a5705f, v9
	v_sub_f32_e32 v23, v23, v25
	v_add_f32_e32 v23, v23, v24
	v_exp_f32_e32 v23, v23
	v_cvt_i32_f32_e32 v24, v25
	v_ldexp_f32 v23, v23, v24
	v_cndmask_b32_e32 v23, 0, v23, vcc
	v_cmp_nlt_f32_e32 vcc, s67, v9
	s_nop 1
	v_cndmask_b32_e32 v9, v230, v23, vcc
	v_fmac_f32_e32 v9, v13, v12
	v_mov_b64_e32 v[12:13], v[8:9]
.LBB25_361:                             ;   in Loop: Header=BB25_14 Depth=1
	s_or_b64 exec, exec, s[36:37]
	s_mov_b64 s[26:27], exec
	v_readlane_b32 s36, v255, 10
	v_readlane_b32 s37, v255, 11
	s_and_b64 s[36:37], s[26:27], s[36:37]
	s_mov_b64 exec, s[36:37]
	s_cbranch_execz .LBB25_363
; %bb.362:                              ;   in Loop: Header=BB25_14 Depth=1
	v_add_u32_e32 v8, 0, v195
	ds_write2_b32 v8, v12, v13 offset0:64 offset1:65
.LBB25_363:                             ;   in Loop: Header=BB25_14 Depth=1
	s_or_b64 exec, exec, s[26:27]
	s_waitcnt lgkmcnt(0)
	s_barrier
	s_mov_b64 s[26:27], exec
	v_readlane_b32 s36, v255, 8
	v_readlane_b32 s37, v255, 9
	s_and_b64 s[36:37], s[26:27], s[36:37]
	s_xor_b64 s[26:27], s[36:37], s[26:27]
	s_mov_b64 exec, s[36:37]
	s_cbranch_execz .LBB25_365
; %bb.364:                              ;   in Loop: Header=BB25_14 Depth=1
	s_barrier
	s_waitcnt lgkmcnt(0)
                                        ; implicit-def: $vgpr21
.LBB25_365:                             ;   in Loop: Header=BB25_14 Depth=1
	s_andn2_saveexec_b64 s[26:27], s[26:27]
	s_cbranch_execz .LBB25_369
; %bb.366:                              ;   in Loop: Header=BB25_14 Depth=1
	v_add_u32_e32 v12, 0, v196
	ds_read_b64 v[8:9], v12 offset:256
	s_waitcnt lgkmcnt(0)
	s_barrier
	ds_bpermute_b32 v13, v21, v8
	v_max_f32_e32 v23, v8, v8
	s_waitcnt lgkmcnt(0)
	v_max_f32_e32 v13, v13, v13
	v_max_f32_e32 v13, v23, v13
	v_sub_f32_e32 v8, v8, v13
	v_mul_f32_e32 v13, 0x3fb8aa3b, v8
	v_fma_f32 v23, v8, s66, -v13
	v_rndne_f32_e32 v24, v13
	v_fmac_f32_e32 v23, 0x32a5705f, v8
	v_sub_f32_e32 v13, v13, v24
	v_add_f32_e32 v13, v13, v23
	v_cvt_i32_f32_e32 v24, v24
	v_exp_f32_e32 v13, v13
	v_cmp_ngt_f32_e32 vcc, s33, v8
	v_ldexp_f32 v13, v13, v24
	s_nop 0
	v_cndmask_b32_e32 v13, 0, v13, vcc
	v_cmp_nlt_f32_e32 vcc, s67, v8
	s_nop 1
	v_cndmask_b32_e32 v8, v230, v13, vcc
	v_mul_f32_e32 v9, v9, v8
	ds_bpermute_b32 v13, v21, v9
	s_mov_b64 s[36:37], exec
	v_readlane_b32 s38, v255, 12
	v_readlane_b32 s39, v255, 13
	s_and_b64 s[38:39], s[36:37], s[38:39]
	s_mov_b64 exec, s[38:39]
	s_cbranch_execz .LBB25_368
; %bb.367:                              ;   in Loop: Header=BB25_14 Depth=1
	s_waitcnt lgkmcnt(0)
	v_add_f32_e32 v9, v9, v13
	ds_write_b64 v12, v[8:9] offset:256
.LBB25_368:                             ;   in Loop: Header=BB25_14 Depth=1
	s_or_b64 exec, exec, s[36:37]
.LBB25_369:                             ;   in Loop: Header=BB25_14 Depth=1
	s_or_b64 exec, exec, s[26:27]
	ds_write2_b32 v197, v4, v1 offset1:1
	ds_write2_b32 v197, v10, v3 offset0:8 offset1:9
	ds_write2_b32 v197, v14, v5 offset0:16 offset1:17
	;; [unrolled: 1-line block ×7, first 2 shown]
	s_waitcnt lgkmcnt(0)
	s_barrier
	s_mov_b64 s[26:27], exec
	v_readlane_b32 s36, v255, 6
	v_readlane_b32 s37, v255, 7
	s_and_b64 s[36:37], s[26:27], s[36:37]
	s_mov_b64 exec, s[36:37]
	s_cbranch_execz .LBB25_12
; %bb.370:                              ;   in Loop: Header=BB25_14 Depth=1
	v_add_u32_e32 v1, s64, v152
	v_cmp_gt_i32_e32 vcc, s80, v1
	v_mov_b32_e32 v3, 0x47
	s_and_saveexec_b64 s[36:37], vcc
	s_cbranch_execz .LBB25_372
; %bb.371:                              ;   in Loop: Header=BB25_14 Depth=1
	v_add_u32_e32 v3, 0, v200
	ds_read2_b32 v[4:5], v3 offset0:64 offset1:65
	ds_read2st64_b32 v[6:7], v201 offset1:17
	ds_read_b32 v8, v3 offset:4608
	v_readlane_b32 s38, v254, 58
	s_waitcnt lgkmcnt(1)
	v_cvt_f32_f16_sdwa v13, v6 dst_sel:DWORD dst_unused:UNUSED_PAD src0_sel:WORD_1
	v_cvt_f32_f16_e32 v12, v6
	v_cvt_f32_f16_sdwa v15, v7 dst_sel:DWORD dst_unused:UNUSED_PAD src0_sel:WORD_1
	v_cvt_f32_f16_e32 v14, v7
	v_mad_u64_u32 v[10:11], s[38:39], s38, v1, v[38:39]
	v_readlane_b32 s38, v255, 18
	v_pk_fma_f32 v[12:13], v[4:5], v[12:13], 0 op_sel_hi:[0,1,0]
	v_ashrrev_i32_e32 v11, 31, v10
	v_readlane_b32 s39, v255, 19
	s_waitcnt lgkmcnt(0)
	v_pk_fma_f32 v[6:7], v[8:9], v[14:15], v[12:13] op_sel_hi:[0,1,1]
	v_lshl_add_u64 v[10:11], v[10:11], 3, s[38:39]
	v_div_scale_f32 v1, s[38:39], v5, v5, v7
	v_rcp_f32_e32 v3, v1
	s_nop 0
	v_fma_f32 v4, -v1, v3, 1.0
	v_fmac_f32_e32 v3, v4, v3
	v_div_scale_f32 v4, vcc, v7, v5, v7
	v_mul_f32_e32 v8, v4, v3
	v_fma_f32 v9, -v1, v8, v4
	v_fmac_f32_e32 v8, v9, v3
	v_fma_f32 v1, -v1, v8, v4
	v_div_fmas_f32 v1, v1, v3, v8
	v_div_fixup_f32 v7, v1, v5, v7
	v_div_scale_f32 v1, s[38:39], v5, v5, v6
	v_rcp_f32_e32 v3, v1
	s_nop 0
	v_fma_f32 v4, -v1, v3, 1.0
	v_fmac_f32_e32 v3, v4, v3
	v_div_scale_f32 v4, vcc, v6, v5, v6
	v_mul_f32_e32 v8, v4, v3
	v_fma_f32 v9, -v1, v8, v4
	v_fmac_f32_e32 v8, v9, v3
	v_fma_f32 v1, -v1, v8, v4
	v_div_fmas_f32 v1, v1, v3, v8
	v_div_fixup_f32 v6, v1, v5, v6
	v_mov_b32_e32 v3, 0
	global_store_dwordx2 v[10:11], v[6:7], off
.LBB25_372:                             ;   in Loop: Header=BB25_14 Depth=1
	s_or_b64 exec, exec, s[36:37]
	s_movk_i32 s36, 0x47
	v_cmp_gt_i32_e32 vcc, s36, v3
	s_mov_b64 s[36:37], -1
	s_and_saveexec_b64 s[38:39], vcc
; %bb.373:                              ;   in Loop: Header=BB25_14 Depth=1
	v_cmp_eq_u32_e32 vcc, 0, v3
	s_orn2_b64 s[36:37], vcc, exec
; %bb.374:                              ;   in Loop: Header=BB25_14 Depth=1
	s_or_b64 exec, exec, s[38:39]
	s_and_b64 exec, exec, s[36:37]
	s_cbranch_execz .LBB25_12
; %bb.375:                              ;   in Loop: Header=BB25_14 Depth=1
	v_add_u32_e32 v1, s64, v153
	v_cmp_gt_i32_e32 vcc, s80, v1
	v_mov_b32_e32 v3, 0x47
	s_and_saveexec_b64 s[36:37], vcc
	s_cbranch_execz .LBB25_377
; %bb.376:                              ;   in Loop: Header=BB25_14 Depth=1
	v_add_u32_e32 v3, 0, v202
	ds_read2_b32 v[4:5], v3 offset0:64 offset1:65
	ds_read2st64_b32 v[6:7], v203 offset1:17
	ds_read_b32 v8, v3 offset:4608
	v_readlane_b32 s38, v254, 58
	s_waitcnt lgkmcnt(1)
	v_cvt_f32_f16_sdwa v13, v6 dst_sel:DWORD dst_unused:UNUSED_PAD src0_sel:WORD_1
	v_cvt_f32_f16_e32 v12, v6
	v_cvt_f32_f16_sdwa v15, v7 dst_sel:DWORD dst_unused:UNUSED_PAD src0_sel:WORD_1
	v_cvt_f32_f16_e32 v14, v7
	v_mad_u64_u32 v[10:11], s[38:39], s38, v1, v[38:39]
	v_readlane_b32 s38, v255, 18
	v_pk_fma_f32 v[12:13], v[4:5], v[12:13], 0 op_sel_hi:[0,1,0]
	v_ashrrev_i32_e32 v11, 31, v10
	v_readlane_b32 s39, v255, 19
	s_waitcnt lgkmcnt(0)
	v_pk_fma_f32 v[6:7], v[8:9], v[14:15], v[12:13] op_sel_hi:[0,1,1]
	v_lshl_add_u64 v[10:11], v[10:11], 3, s[38:39]
	v_div_scale_f32 v1, s[38:39], v5, v5, v7
	v_rcp_f32_e32 v3, v1
	s_nop 0
	v_fma_f32 v4, -v1, v3, 1.0
	v_fmac_f32_e32 v3, v4, v3
	v_div_scale_f32 v4, vcc, v7, v5, v7
	v_mul_f32_e32 v8, v4, v3
	v_fma_f32 v9, -v1, v8, v4
	v_fmac_f32_e32 v8, v9, v3
	v_fma_f32 v1, -v1, v8, v4
	v_div_fmas_f32 v1, v1, v3, v8
	v_div_fixup_f32 v7, v1, v5, v7
	v_div_scale_f32 v1, s[38:39], v5, v5, v6
	v_rcp_f32_e32 v3, v1
	s_nop 0
	v_fma_f32 v4, -v1, v3, 1.0
	v_fmac_f32_e32 v3, v4, v3
	v_div_scale_f32 v4, vcc, v6, v5, v6
	v_mul_f32_e32 v8, v4, v3
	v_fma_f32 v9, -v1, v8, v4
	v_fmac_f32_e32 v8, v9, v3
	v_fma_f32 v1, -v1, v8, v4
	v_div_fmas_f32 v1, v1, v3, v8
	v_div_fixup_f32 v6, v1, v5, v6
	v_mov_b32_e32 v3, 0
	global_store_dwordx2 v[10:11], v[6:7], off
.LBB25_377:                             ;   in Loop: Header=BB25_14 Depth=1
	s_or_b64 exec, exec, s[36:37]
	s_movk_i32 s36, 0x47
	v_cmp_gt_i32_e32 vcc, s36, v3
	s_mov_b64 s[36:37], -1
	s_and_saveexec_b64 s[38:39], vcc
; %bb.378:                              ;   in Loop: Header=BB25_14 Depth=1
	v_cmp_eq_u32_e32 vcc, 0, v3
	s_orn2_b64 s[36:37], vcc, exec
; %bb.379:                              ;   in Loop: Header=BB25_14 Depth=1
	s_or_b64 exec, exec, s[38:39]
	s_and_b64 exec, exec, s[36:37]
	;; [unrolled: 64-line block ×3, first 2 shown]
	s_cbranch_execz .LBB25_12
; %bb.385:                              ;   in Loop: Header=BB25_14 Depth=1
	v_add_u32_e32 v1, s64, v155
	v_cmp_gt_i32_e32 vcc, s80, v1
	v_mov_b32_e32 v3, 0x47
	s_and_saveexec_b64 s[36:37], vcc
	s_cbranch_execz .LBB25_387
; %bb.386:                              ;   in Loop: Header=BB25_14 Depth=1
	scratch_load_dword v3, off, off offset:16 ; 4-byte Folded Reload
	scratch_load_dword v6, off, off offset:20 ; 4-byte Folded Reload
	v_readlane_b32 s38, v254, 58
	s_waitcnt vmcnt(1)
	v_add_u32_e32 v3, 0, v3
	ds_read2_b32 v[4:5], v3 offset0:64 offset1:65
	s_waitcnt vmcnt(0)
	ds_read2st64_b32 v[6:7], v6 offset1:17
	ds_read_b32 v8, v3 offset:4608
	v_mad_u64_u32 v[10:11], s[38:39], s38, v1, v[38:39]
	v_readlane_b32 s38, v255, 18
	s_waitcnt lgkmcnt(1)
	v_cvt_f32_f16_sdwa v13, v6 dst_sel:DWORD dst_unused:UNUSED_PAD src0_sel:WORD_1
	v_cvt_f32_f16_e32 v12, v6
	v_cvt_f32_f16_sdwa v15, v7 dst_sel:DWORD dst_unused:UNUSED_PAD src0_sel:WORD_1
	v_cvt_f32_f16_e32 v14, v7
	v_ashrrev_i32_e32 v11, 31, v10
	v_pk_fma_f32 v[12:13], v[4:5], v[12:13], 0 op_sel_hi:[0,1,0]
	v_readlane_b32 s39, v255, 19
	s_waitcnt lgkmcnt(0)
	v_pk_fma_f32 v[6:7], v[8:9], v[14:15], v[12:13] op_sel_hi:[0,1,1]
	v_lshl_add_u64 v[10:11], v[10:11], 3, s[38:39]
	v_div_scale_f32 v1, s[38:39], v5, v5, v7
	v_rcp_f32_e32 v3, v1
	s_nop 0
	v_fma_f32 v4, -v1, v3, 1.0
	v_fmac_f32_e32 v3, v4, v3
	v_div_scale_f32 v4, vcc, v7, v5, v7
	v_mul_f32_e32 v8, v4, v3
	v_fma_f32 v9, -v1, v8, v4
	v_fmac_f32_e32 v8, v9, v3
	v_fma_f32 v1, -v1, v8, v4
	v_div_fmas_f32 v1, v1, v3, v8
	v_div_fixup_f32 v7, v1, v5, v7
	v_div_scale_f32 v1, s[38:39], v5, v5, v6
	v_rcp_f32_e32 v3, v1
	s_nop 0
	v_fma_f32 v4, -v1, v3, 1.0
	v_fmac_f32_e32 v3, v4, v3
	v_div_scale_f32 v4, vcc, v6, v5, v6
	v_mul_f32_e32 v8, v4, v3
	v_fma_f32 v9, -v1, v8, v4
	v_fmac_f32_e32 v8, v9, v3
	v_fma_f32 v1, -v1, v8, v4
	v_div_fmas_f32 v1, v1, v3, v8
	v_div_fixup_f32 v6, v1, v5, v6
	v_mov_b32_e32 v3, 0
	global_store_dwordx2 v[10:11], v[6:7], off
.LBB25_387:                             ;   in Loop: Header=BB25_14 Depth=1
	s_or_b64 exec, exec, s[36:37]
	s_movk_i32 s36, 0x47
	v_cmp_gt_i32_e32 vcc, s36, v3
	s_mov_b64 s[36:37], -1
	s_and_saveexec_b64 s[38:39], vcc
; %bb.388:                              ;   in Loop: Header=BB25_14 Depth=1
	v_cmp_eq_u32_e32 vcc, 0, v3
	s_orn2_b64 s[36:37], vcc, exec
; %bb.389:                              ;   in Loop: Header=BB25_14 Depth=1
	s_or_b64 exec, exec, s[38:39]
	s_and_b64 exec, exec, s[36:37]
	s_cbranch_execz .LBB25_12
; %bb.390:                              ;   in Loop: Header=BB25_14 Depth=1
	v_add_u32_e32 v1, s64, v156
	v_cmp_gt_i32_e32 vcc, s80, v1
	v_mov_b32_e32 v3, 0x47
	s_and_saveexec_b64 s[36:37], vcc
	s_cbranch_execz .LBB25_392
; %bb.391:                              ;   in Loop: Header=BB25_14 Depth=1
	scratch_load_dword v3, off, off offset:24 ; 4-byte Folded Reload
	scratch_load_dword v6, off, off offset:28 ; 4-byte Folded Reload
	v_readlane_b32 s38, v254, 58
	s_waitcnt vmcnt(1)
	v_add_u32_e32 v3, 0, v3
	ds_read2_b32 v[4:5], v3 offset0:64 offset1:65
	s_waitcnt vmcnt(0)
	ds_read2st64_b32 v[6:7], v6 offset1:17
	ds_read_b32 v8, v3 offset:4608
	v_mad_u64_u32 v[10:11], s[38:39], s38, v1, v[38:39]
	v_readlane_b32 s38, v255, 18
	s_waitcnt lgkmcnt(1)
	v_cvt_f32_f16_sdwa v13, v6 dst_sel:DWORD dst_unused:UNUSED_PAD src0_sel:WORD_1
	v_cvt_f32_f16_e32 v12, v6
	v_cvt_f32_f16_sdwa v15, v7 dst_sel:DWORD dst_unused:UNUSED_PAD src0_sel:WORD_1
	v_cvt_f32_f16_e32 v14, v7
	v_ashrrev_i32_e32 v11, 31, v10
	v_pk_fma_f32 v[12:13], v[4:5], v[12:13], 0 op_sel_hi:[0,1,0]
	v_readlane_b32 s39, v255, 19
	s_waitcnt lgkmcnt(0)
	v_pk_fma_f32 v[6:7], v[8:9], v[14:15], v[12:13] op_sel_hi:[0,1,1]
	v_lshl_add_u64 v[10:11], v[10:11], 3, s[38:39]
	v_div_scale_f32 v1, s[38:39], v5, v5, v7
	v_rcp_f32_e32 v3, v1
	s_nop 0
	v_fma_f32 v4, -v1, v3, 1.0
	v_fmac_f32_e32 v3, v4, v3
	v_div_scale_f32 v4, vcc, v7, v5, v7
	v_mul_f32_e32 v8, v4, v3
	v_fma_f32 v9, -v1, v8, v4
	v_fmac_f32_e32 v8, v9, v3
	v_fma_f32 v1, -v1, v8, v4
	v_div_fmas_f32 v1, v1, v3, v8
	v_div_fixup_f32 v7, v1, v5, v7
	v_div_scale_f32 v1, s[38:39], v5, v5, v6
	v_rcp_f32_e32 v3, v1
	s_nop 0
	v_fma_f32 v4, -v1, v3, 1.0
	v_fmac_f32_e32 v3, v4, v3
	v_div_scale_f32 v4, vcc, v6, v5, v6
	v_mul_f32_e32 v8, v4, v3
	v_fma_f32 v9, -v1, v8, v4
	v_fmac_f32_e32 v8, v9, v3
	v_fma_f32 v1, -v1, v8, v4
	v_div_fmas_f32 v1, v1, v3, v8
	v_div_fixup_f32 v6, v1, v5, v6
	v_mov_b32_e32 v3, 0
	global_store_dwordx2 v[10:11], v[6:7], off
.LBB25_392:                             ;   in Loop: Header=BB25_14 Depth=1
	s_or_b64 exec, exec, s[36:37]
	s_movk_i32 s36, 0x47
	v_cmp_gt_i32_e32 vcc, s36, v3
	s_mov_b64 s[36:37], -1
	s_and_saveexec_b64 s[38:39], vcc
; %bb.393:                              ;   in Loop: Header=BB25_14 Depth=1
	v_cmp_eq_u32_e32 vcc, 0, v3
	s_orn2_b64 s[36:37], vcc, exec
; %bb.394:                              ;   in Loop: Header=BB25_14 Depth=1
	s_or_b64 exec, exec, s[38:39]
	s_and_b64 exec, exec, s[36:37]
	s_cbranch_execz .LBB25_12
; %bb.395:                              ;   in Loop: Header=BB25_14 Depth=1
	v_add_u32_e32 v1, s64, v157
	v_cmp_gt_i32_e32 vcc, s80, v1
	v_mov_b32_e32 v3, 0x47
	s_and_saveexec_b64 s[36:37], vcc
	s_cbranch_execz .LBB25_397
; %bb.396:                              ;   in Loop: Header=BB25_14 Depth=1
	scratch_load_dword v3, off, off offset:32 ; 4-byte Folded Reload
	scratch_load_dword v6, off, off offset:36 ; 4-byte Folded Reload
	v_readlane_b32 s38, v254, 58
	s_waitcnt vmcnt(1)
	v_add_u32_e32 v3, 0, v3
	ds_read2_b32 v[4:5], v3 offset0:64 offset1:65
	s_waitcnt vmcnt(0)
	ds_read2st64_b32 v[6:7], v6 offset1:17
	ds_read_b32 v8, v3 offset:4608
	v_mad_u64_u32 v[10:11], s[38:39], s38, v1, v[38:39]
	v_readlane_b32 s38, v255, 18
	s_waitcnt lgkmcnt(1)
	v_cvt_f32_f16_sdwa v13, v6 dst_sel:DWORD dst_unused:UNUSED_PAD src0_sel:WORD_1
	v_cvt_f32_f16_e32 v12, v6
	v_cvt_f32_f16_sdwa v15, v7 dst_sel:DWORD dst_unused:UNUSED_PAD src0_sel:WORD_1
	v_cvt_f32_f16_e32 v14, v7
	v_ashrrev_i32_e32 v11, 31, v10
	v_pk_fma_f32 v[12:13], v[4:5], v[12:13], 0 op_sel_hi:[0,1,0]
	v_readlane_b32 s39, v255, 19
	s_waitcnt lgkmcnt(0)
	v_pk_fma_f32 v[6:7], v[8:9], v[14:15], v[12:13] op_sel_hi:[0,1,1]
	v_lshl_add_u64 v[10:11], v[10:11], 3, s[38:39]
	v_div_scale_f32 v1, s[38:39], v5, v5, v7
	v_rcp_f32_e32 v3, v1
	s_nop 0
	v_fma_f32 v4, -v1, v3, 1.0
	v_fmac_f32_e32 v3, v4, v3
	v_div_scale_f32 v4, vcc, v7, v5, v7
	v_mul_f32_e32 v8, v4, v3
	v_fma_f32 v9, -v1, v8, v4
	v_fmac_f32_e32 v8, v9, v3
	v_fma_f32 v1, -v1, v8, v4
	v_div_fmas_f32 v1, v1, v3, v8
	v_div_fixup_f32 v7, v1, v5, v7
	v_div_scale_f32 v1, s[38:39], v5, v5, v6
	v_rcp_f32_e32 v3, v1
	s_nop 0
	v_fma_f32 v4, -v1, v3, 1.0
	v_fmac_f32_e32 v3, v4, v3
	v_div_scale_f32 v4, vcc, v6, v5, v6
	v_mul_f32_e32 v8, v4, v3
	v_fma_f32 v9, -v1, v8, v4
	v_fmac_f32_e32 v8, v9, v3
	v_fma_f32 v1, -v1, v8, v4
	v_div_fmas_f32 v1, v1, v3, v8
	v_div_fixup_f32 v6, v1, v5, v6
	v_mov_b32_e32 v3, 0
	global_store_dwordx2 v[10:11], v[6:7], off
.LBB25_397:                             ;   in Loop: Header=BB25_14 Depth=1
	s_or_b64 exec, exec, s[36:37]
	s_movk_i32 s36, 0x47
	v_cmp_gt_i32_e32 vcc, s36, v3
	s_mov_b64 s[36:37], -1
	s_and_saveexec_b64 s[38:39], vcc
; %bb.398:                              ;   in Loop: Header=BB25_14 Depth=1
	v_cmp_eq_u32_e32 vcc, 0, v3
	s_orn2_b64 s[36:37], vcc, exec
; %bb.399:                              ;   in Loop: Header=BB25_14 Depth=1
	s_or_b64 exec, exec, s[38:39]
	s_and_b64 exec, exec, s[36:37]
	s_cbranch_execz .LBB25_12
; %bb.400:                              ;   in Loop: Header=BB25_14 Depth=1
	v_add_u32_e32 v1, 12, v152
	v_add_u32_e32 v1, s64, v1
	v_cmp_gt_i32_e32 vcc, s80, v1
	v_mov_b32_e32 v3, 0x47
	s_and_saveexec_b64 s[36:37], vcc
	s_cbranch_execz .LBB25_402
; %bb.401:                              ;   in Loop: Header=BB25_14 Depth=1
	scratch_load_dword v3, off, off offset:40 ; 4-byte Folded Reload
	scratch_load_dword v6, off, off offset:44 ; 4-byte Folded Reload
	v_readlane_b32 s38, v254, 58
	s_waitcnt vmcnt(1)
	v_add_u32_e32 v3, 0, v3
	ds_read2_b32 v[4:5], v3 offset0:64 offset1:65
	s_waitcnt vmcnt(0)
	ds_read2st64_b32 v[6:7], v6 offset1:17
	ds_read_b32 v8, v3 offset:4608
	v_mad_u64_u32 v[10:11], s[38:39], s38, v1, v[38:39]
	v_readlane_b32 s38, v255, 18
	s_waitcnt lgkmcnt(1)
	v_cvt_f32_f16_sdwa v13, v6 dst_sel:DWORD dst_unused:UNUSED_PAD src0_sel:WORD_1
	v_cvt_f32_f16_e32 v12, v6
	v_cvt_f32_f16_sdwa v15, v7 dst_sel:DWORD dst_unused:UNUSED_PAD src0_sel:WORD_1
	v_cvt_f32_f16_e32 v14, v7
	v_ashrrev_i32_e32 v11, 31, v10
	v_pk_fma_f32 v[12:13], v[4:5], v[12:13], 0 op_sel_hi:[0,1,0]
	v_readlane_b32 s39, v255, 19
	s_waitcnt lgkmcnt(0)
	v_pk_fma_f32 v[6:7], v[8:9], v[14:15], v[12:13] op_sel_hi:[0,1,1]
	v_lshl_add_u64 v[10:11], v[10:11], 3, s[38:39]
	v_div_scale_f32 v1, s[38:39], v5, v5, v7
	v_rcp_f32_e32 v3, v1
	s_nop 0
	v_fma_f32 v4, -v1, v3, 1.0
	v_fmac_f32_e32 v3, v4, v3
	v_div_scale_f32 v4, vcc, v7, v5, v7
	v_mul_f32_e32 v8, v4, v3
	v_fma_f32 v9, -v1, v8, v4
	v_fmac_f32_e32 v8, v9, v3
	v_fma_f32 v1, -v1, v8, v4
	v_div_fmas_f32 v1, v1, v3, v8
	v_div_fixup_f32 v7, v1, v5, v7
	v_div_scale_f32 v1, s[38:39], v5, v5, v6
	v_rcp_f32_e32 v3, v1
	s_nop 0
	v_fma_f32 v4, -v1, v3, 1.0
	v_fmac_f32_e32 v3, v4, v3
	v_div_scale_f32 v4, vcc, v6, v5, v6
	v_mul_f32_e32 v8, v4, v3
	v_fma_f32 v9, -v1, v8, v4
	v_fmac_f32_e32 v8, v9, v3
	v_fma_f32 v1, -v1, v8, v4
	v_div_fmas_f32 v1, v1, v3, v8
	v_div_fixup_f32 v6, v1, v5, v6
	v_mov_b32_e32 v3, 0
	global_store_dwordx2 v[10:11], v[6:7], off
.LBB25_402:                             ;   in Loop: Header=BB25_14 Depth=1
	s_or_b64 exec, exec, s[36:37]
	s_movk_i32 s36, 0x47
	v_cmp_gt_i32_e32 vcc, s36, v3
	s_mov_b64 s[36:37], -1
	s_and_saveexec_b64 s[38:39], vcc
; %bb.403:                              ;   in Loop: Header=BB25_14 Depth=1
	v_cmp_eq_u32_e32 vcc, 0, v3
	s_orn2_b64 s[36:37], vcc, exec
; %bb.404:                              ;   in Loop: Header=BB25_14 Depth=1
	s_or_b64 exec, exec, s[38:39]
	s_and_b64 exec, exec, s[36:37]
	s_cbranch_execz .LBB25_12
; %bb.405:                              ;   in Loop: Header=BB25_14 Depth=1
	v_add_u32_e32 v1, 14, v152
	v_add_u32_e32 v1, s64, v1
	v_cmp_gt_i32_e32 vcc, s80, v1
	v_mov_b32_e32 v3, 0x47
	s_and_saveexec_b64 s[36:37], vcc
	s_cbranch_execz .LBB25_407
; %bb.406:                              ;   in Loop: Header=BB25_14 Depth=1
	scratch_load_dword v3, off, off offset:48 ; 4-byte Folded Reload
	scratch_load_dword v6, off, off offset:52 ; 4-byte Folded Reload
	v_readlane_b32 s38, v254, 58
	s_waitcnt vmcnt(1)
	v_add_u32_e32 v3, 0, v3
	ds_read2_b32 v[4:5], v3 offset0:64 offset1:65
	s_waitcnt vmcnt(0)
	ds_read2st64_b32 v[6:7], v6 offset1:17
	ds_read_b32 v8, v3 offset:4608
	v_mad_u64_u32 v[10:11], s[38:39], s38, v1, v[38:39]
	v_readlane_b32 s38, v255, 18
	s_waitcnt lgkmcnt(1)
	v_cvt_f32_f16_sdwa v13, v6 dst_sel:DWORD dst_unused:UNUSED_PAD src0_sel:WORD_1
	v_cvt_f32_f16_e32 v12, v6
	v_cvt_f32_f16_sdwa v15, v7 dst_sel:DWORD dst_unused:UNUSED_PAD src0_sel:WORD_1
	v_cvt_f32_f16_e32 v14, v7
	v_ashrrev_i32_e32 v11, 31, v10
	v_pk_fma_f32 v[12:13], v[4:5], v[12:13], 0 op_sel_hi:[0,1,0]
	v_readlane_b32 s39, v255, 19
	s_waitcnt lgkmcnt(0)
	v_pk_fma_f32 v[6:7], v[8:9], v[14:15], v[12:13] op_sel_hi:[0,1,1]
	v_lshl_add_u64 v[10:11], v[10:11], 3, s[38:39]
	v_div_scale_f32 v1, s[38:39], v5, v5, v7
	v_rcp_f32_e32 v3, v1
	s_nop 0
	v_fma_f32 v4, -v1, v3, 1.0
	v_fmac_f32_e32 v3, v4, v3
	v_div_scale_f32 v4, vcc, v7, v5, v7
	v_mul_f32_e32 v8, v4, v3
	v_fma_f32 v9, -v1, v8, v4
	v_fmac_f32_e32 v8, v9, v3
	v_fma_f32 v1, -v1, v8, v4
	v_div_fmas_f32 v1, v1, v3, v8
	v_div_fixup_f32 v7, v1, v5, v7
	v_div_scale_f32 v1, s[38:39], v5, v5, v6
	v_rcp_f32_e32 v3, v1
	s_nop 0
	v_fma_f32 v4, -v1, v3, 1.0
	v_fmac_f32_e32 v3, v4, v3
	v_div_scale_f32 v4, vcc, v6, v5, v6
	v_mul_f32_e32 v8, v4, v3
	v_fma_f32 v9, -v1, v8, v4
	v_fmac_f32_e32 v8, v9, v3
	v_fma_f32 v1, -v1, v8, v4
	v_div_fmas_f32 v1, v1, v3, v8
	v_div_fixup_f32 v6, v1, v5, v6
	v_mov_b32_e32 v3, 0
	global_store_dwordx2 v[10:11], v[6:7], off
.LBB25_407:                             ;   in Loop: Header=BB25_14 Depth=1
	s_or_b64 exec, exec, s[36:37]
	s_movk_i32 s36, 0x47
	v_cmp_gt_i32_e32 vcc, s36, v3
	s_mov_b64 s[36:37], -1
	s_and_saveexec_b64 s[38:39], vcc
; %bb.408:                              ;   in Loop: Header=BB25_14 Depth=1
	v_cmp_eq_u32_e32 vcc, 0, v3
	s_orn2_b64 s[36:37], vcc, exec
; %bb.409:                              ;   in Loop: Header=BB25_14 Depth=1
	s_or_b64 exec, exec, s[38:39]
	s_and_b64 exec, exec, s[36:37]
	s_cbranch_execz .LBB25_12
; %bb.410:                              ;   in Loop: Header=BB25_14 Depth=1
	v_add_u32_e32 v1, 16, v152
	v_add_u32_e32 v1, s64, v1
	v_cmp_gt_i32_e32 vcc, s80, v1
	v_mov_b32_e32 v3, 0x47
	s_and_saveexec_b64 s[36:37], vcc
	s_cbranch_execz .LBB25_412
; %bb.411:                              ;   in Loop: Header=BB25_14 Depth=1
	scratch_load_dword v3, off, off offset:56 ; 4-byte Folded Reload
	scratch_load_dword v6, off, off offset:60 ; 4-byte Folded Reload
	v_readlane_b32 s38, v254, 58
	s_waitcnt vmcnt(1)
	v_add_u32_e32 v3, 0, v3
	ds_read2_b32 v[4:5], v3 offset0:64 offset1:65
	s_waitcnt vmcnt(0)
	ds_read2st64_b32 v[6:7], v6 offset1:17
	ds_read_b32 v8, v3 offset:4608
	v_mad_u64_u32 v[10:11], s[38:39], s38, v1, v[38:39]
	v_readlane_b32 s38, v255, 18
	s_waitcnt lgkmcnt(1)
	v_cvt_f32_f16_sdwa v13, v6 dst_sel:DWORD dst_unused:UNUSED_PAD src0_sel:WORD_1
	v_cvt_f32_f16_e32 v12, v6
	v_cvt_f32_f16_sdwa v15, v7 dst_sel:DWORD dst_unused:UNUSED_PAD src0_sel:WORD_1
	v_cvt_f32_f16_e32 v14, v7
	v_ashrrev_i32_e32 v11, 31, v10
	v_pk_fma_f32 v[12:13], v[4:5], v[12:13], 0 op_sel_hi:[0,1,0]
	v_readlane_b32 s39, v255, 19
	s_waitcnt lgkmcnt(0)
	v_pk_fma_f32 v[6:7], v[8:9], v[14:15], v[12:13] op_sel_hi:[0,1,1]
	v_lshl_add_u64 v[10:11], v[10:11], 3, s[38:39]
	v_div_scale_f32 v1, s[38:39], v5, v5, v7
	v_rcp_f32_e32 v3, v1
	s_nop 0
	v_fma_f32 v4, -v1, v3, 1.0
	v_fmac_f32_e32 v3, v4, v3
	v_div_scale_f32 v4, vcc, v7, v5, v7
	v_mul_f32_e32 v8, v4, v3
	v_fma_f32 v9, -v1, v8, v4
	v_fmac_f32_e32 v8, v9, v3
	v_fma_f32 v1, -v1, v8, v4
	v_div_fmas_f32 v1, v1, v3, v8
	v_div_fixup_f32 v7, v1, v5, v7
	v_div_scale_f32 v1, s[38:39], v5, v5, v6
	v_rcp_f32_e32 v3, v1
	s_nop 0
	v_fma_f32 v4, -v1, v3, 1.0
	v_fmac_f32_e32 v3, v4, v3
	v_div_scale_f32 v4, vcc, v6, v5, v6
	v_mul_f32_e32 v8, v4, v3
	v_fma_f32 v9, -v1, v8, v4
	v_fmac_f32_e32 v8, v9, v3
	v_fma_f32 v1, -v1, v8, v4
	v_div_fmas_f32 v1, v1, v3, v8
	v_div_fixup_f32 v6, v1, v5, v6
	v_mov_b32_e32 v3, 0
	global_store_dwordx2 v[10:11], v[6:7], off
.LBB25_412:                             ;   in Loop: Header=BB25_14 Depth=1
	s_or_b64 exec, exec, s[36:37]
	s_movk_i32 s36, 0x47
	v_cmp_gt_i32_e32 vcc, s36, v3
	s_mov_b64 s[36:37], -1
	s_and_saveexec_b64 s[38:39], vcc
; %bb.413:                              ;   in Loop: Header=BB25_14 Depth=1
	v_cmp_eq_u32_e32 vcc, 0, v3
	s_orn2_b64 s[36:37], vcc, exec
; %bb.414:                              ;   in Loop: Header=BB25_14 Depth=1
	s_or_b64 exec, exec, s[38:39]
	s_and_b64 exec, exec, s[36:37]
	s_cbranch_execz .LBB25_12
; %bb.415:                              ;   in Loop: Header=BB25_14 Depth=1
	v_add_u32_e32 v1, 18, v152
	v_add_u32_e32 v1, s64, v1
	v_cmp_gt_i32_e32 vcc, s80, v1
	v_mov_b32_e32 v3, 0x47
	s_and_saveexec_b64 s[36:37], vcc
	s_cbranch_execz .LBB25_417
; %bb.416:                              ;   in Loop: Header=BB25_14 Depth=1
	scratch_load_dword v3, off, off offset:64 ; 4-byte Folded Reload
	scratch_load_dword v6, off, off offset:68 ; 4-byte Folded Reload
	v_readlane_b32 s38, v254, 58
	s_waitcnt vmcnt(1)
	v_add_u32_e32 v3, 0, v3
	ds_read2_b32 v[4:5], v3 offset0:64 offset1:65
	s_waitcnt vmcnt(0)
	ds_read2st64_b32 v[6:7], v6 offset1:17
	ds_read_b32 v8, v3 offset:4608
	v_mad_u64_u32 v[10:11], s[38:39], s38, v1, v[38:39]
	v_readlane_b32 s38, v255, 18
	s_waitcnt lgkmcnt(1)
	v_cvt_f32_f16_sdwa v13, v6 dst_sel:DWORD dst_unused:UNUSED_PAD src0_sel:WORD_1
	v_cvt_f32_f16_e32 v12, v6
	v_cvt_f32_f16_sdwa v15, v7 dst_sel:DWORD dst_unused:UNUSED_PAD src0_sel:WORD_1
	v_cvt_f32_f16_e32 v14, v7
	v_ashrrev_i32_e32 v11, 31, v10
	v_pk_fma_f32 v[12:13], v[4:5], v[12:13], 0 op_sel_hi:[0,1,0]
	v_readlane_b32 s39, v255, 19
	s_waitcnt lgkmcnt(0)
	v_pk_fma_f32 v[6:7], v[8:9], v[14:15], v[12:13] op_sel_hi:[0,1,1]
	v_lshl_add_u64 v[10:11], v[10:11], 3, s[38:39]
	v_div_scale_f32 v1, s[38:39], v5, v5, v7
	v_rcp_f32_e32 v3, v1
	s_nop 0
	v_fma_f32 v4, -v1, v3, 1.0
	v_fmac_f32_e32 v3, v4, v3
	v_div_scale_f32 v4, vcc, v7, v5, v7
	v_mul_f32_e32 v8, v4, v3
	v_fma_f32 v9, -v1, v8, v4
	v_fmac_f32_e32 v8, v9, v3
	v_fma_f32 v1, -v1, v8, v4
	v_div_fmas_f32 v1, v1, v3, v8
	v_div_fixup_f32 v7, v1, v5, v7
	v_div_scale_f32 v1, s[38:39], v5, v5, v6
	v_rcp_f32_e32 v3, v1
	s_nop 0
	v_fma_f32 v4, -v1, v3, 1.0
	v_fmac_f32_e32 v3, v4, v3
	v_div_scale_f32 v4, vcc, v6, v5, v6
	v_mul_f32_e32 v8, v4, v3
	v_fma_f32 v9, -v1, v8, v4
	v_fmac_f32_e32 v8, v9, v3
	v_fma_f32 v1, -v1, v8, v4
	v_div_fmas_f32 v1, v1, v3, v8
	v_div_fixup_f32 v6, v1, v5, v6
	v_mov_b32_e32 v3, 0
	global_store_dwordx2 v[10:11], v[6:7], off
.LBB25_417:                             ;   in Loop: Header=BB25_14 Depth=1
	s_or_b64 exec, exec, s[36:37]
	s_movk_i32 s36, 0x47
	v_cmp_gt_i32_e32 vcc, s36, v3
	s_mov_b64 s[36:37], -1
	s_and_saveexec_b64 s[38:39], vcc
; %bb.418:                              ;   in Loop: Header=BB25_14 Depth=1
	v_cmp_eq_u32_e32 vcc, 0, v3
	s_orn2_b64 s[36:37], vcc, exec
; %bb.419:                              ;   in Loop: Header=BB25_14 Depth=1
	s_or_b64 exec, exec, s[38:39]
	s_and_b64 exec, exec, s[36:37]
	s_cbranch_execz .LBB25_12
; %bb.420:                              ;   in Loop: Header=BB25_14 Depth=1
	v_add_u32_e32 v1, 20, v152
	v_add_u32_e32 v1, s64, v1
	v_cmp_gt_i32_e32 vcc, s80, v1
	v_mov_b32_e32 v3, 0x47
	s_and_saveexec_b64 s[36:37], vcc
	s_cbranch_execz .LBB25_422
; %bb.421:                              ;   in Loop: Header=BB25_14 Depth=1
	scratch_load_dword v3, off, off offset:72 ; 4-byte Folded Reload
	scratch_load_dword v6, off, off offset:76 ; 4-byte Folded Reload
	v_readlane_b32 s38, v254, 58
	s_waitcnt vmcnt(1)
	v_add_u32_e32 v3, 0, v3
	ds_read2_b32 v[4:5], v3 offset0:64 offset1:65
	s_waitcnt vmcnt(0)
	ds_read2st64_b32 v[6:7], v6 offset1:17
	ds_read_b32 v8, v3 offset:4608
	v_mad_u64_u32 v[10:11], s[38:39], s38, v1, v[38:39]
	v_readlane_b32 s38, v255, 18
	s_waitcnt lgkmcnt(1)
	v_cvt_f32_f16_sdwa v13, v6 dst_sel:DWORD dst_unused:UNUSED_PAD src0_sel:WORD_1
	v_cvt_f32_f16_e32 v12, v6
	v_cvt_f32_f16_sdwa v15, v7 dst_sel:DWORD dst_unused:UNUSED_PAD src0_sel:WORD_1
	v_cvt_f32_f16_e32 v14, v7
	v_ashrrev_i32_e32 v11, 31, v10
	v_pk_fma_f32 v[12:13], v[4:5], v[12:13], 0 op_sel_hi:[0,1,0]
	v_readlane_b32 s39, v255, 19
	s_waitcnt lgkmcnt(0)
	v_pk_fma_f32 v[6:7], v[8:9], v[14:15], v[12:13] op_sel_hi:[0,1,1]
	v_lshl_add_u64 v[10:11], v[10:11], 3, s[38:39]
	v_div_scale_f32 v1, s[38:39], v5, v5, v7
	v_rcp_f32_e32 v3, v1
	s_nop 0
	v_fma_f32 v4, -v1, v3, 1.0
	v_fmac_f32_e32 v3, v4, v3
	v_div_scale_f32 v4, vcc, v7, v5, v7
	v_mul_f32_e32 v8, v4, v3
	v_fma_f32 v9, -v1, v8, v4
	v_fmac_f32_e32 v8, v9, v3
	v_fma_f32 v1, -v1, v8, v4
	v_div_fmas_f32 v1, v1, v3, v8
	v_div_fixup_f32 v7, v1, v5, v7
	v_div_scale_f32 v1, s[38:39], v5, v5, v6
	v_rcp_f32_e32 v3, v1
	s_nop 0
	v_fma_f32 v4, -v1, v3, 1.0
	v_fmac_f32_e32 v3, v4, v3
	v_div_scale_f32 v4, vcc, v6, v5, v6
	v_mul_f32_e32 v8, v4, v3
	v_fma_f32 v9, -v1, v8, v4
	v_fmac_f32_e32 v8, v9, v3
	v_fma_f32 v1, -v1, v8, v4
	v_div_fmas_f32 v1, v1, v3, v8
	v_div_fixup_f32 v6, v1, v5, v6
	v_mov_b32_e32 v3, 0
	global_store_dwordx2 v[10:11], v[6:7], off
.LBB25_422:                             ;   in Loop: Header=BB25_14 Depth=1
	s_or_b64 exec, exec, s[36:37]
	s_movk_i32 s36, 0x47
	v_cmp_gt_i32_e32 vcc, s36, v3
	s_mov_b64 s[36:37], -1
	s_and_saveexec_b64 s[38:39], vcc
; %bb.423:                              ;   in Loop: Header=BB25_14 Depth=1
	v_cmp_eq_u32_e32 vcc, 0, v3
	s_orn2_b64 s[36:37], vcc, exec
; %bb.424:                              ;   in Loop: Header=BB25_14 Depth=1
	s_or_b64 exec, exec, s[38:39]
	s_and_b64 exec, exec, s[36:37]
	s_cbranch_execz .LBB25_12
; %bb.425:                              ;   in Loop: Header=BB25_14 Depth=1
	v_add_u32_e32 v1, 22, v152
	v_add_u32_e32 v1, s64, v1
	v_cmp_gt_i32_e32 vcc, s80, v1
	v_mov_b32_e32 v3, 0x47
	s_and_saveexec_b64 s[36:37], vcc
	s_cbranch_execz .LBB25_427
; %bb.426:                              ;   in Loop: Header=BB25_14 Depth=1
	scratch_load_dword v3, off, off offset:80 ; 4-byte Folded Reload
	scratch_load_dword v6, off, off offset:84 ; 4-byte Folded Reload
	v_readlane_b32 s38, v254, 58
	s_waitcnt vmcnt(1)
	v_add_u32_e32 v3, 0, v3
	ds_read2_b32 v[4:5], v3 offset0:64 offset1:65
	s_waitcnt vmcnt(0)
	ds_read2st64_b32 v[6:7], v6 offset1:17
	ds_read_b32 v8, v3 offset:4608
	v_mad_u64_u32 v[10:11], s[38:39], s38, v1, v[38:39]
	v_readlane_b32 s38, v255, 18
	s_waitcnt lgkmcnt(1)
	v_cvt_f32_f16_sdwa v13, v6 dst_sel:DWORD dst_unused:UNUSED_PAD src0_sel:WORD_1
	v_cvt_f32_f16_e32 v12, v6
	v_cvt_f32_f16_sdwa v15, v7 dst_sel:DWORD dst_unused:UNUSED_PAD src0_sel:WORD_1
	v_cvt_f32_f16_e32 v14, v7
	v_ashrrev_i32_e32 v11, 31, v10
	v_pk_fma_f32 v[12:13], v[4:5], v[12:13], 0 op_sel_hi:[0,1,0]
	v_readlane_b32 s39, v255, 19
	s_waitcnt lgkmcnt(0)
	v_pk_fma_f32 v[6:7], v[8:9], v[14:15], v[12:13] op_sel_hi:[0,1,1]
	v_lshl_add_u64 v[10:11], v[10:11], 3, s[38:39]
	v_div_scale_f32 v1, s[38:39], v5, v5, v7
	v_rcp_f32_e32 v3, v1
	s_nop 0
	v_fma_f32 v4, -v1, v3, 1.0
	v_fmac_f32_e32 v3, v4, v3
	v_div_scale_f32 v4, vcc, v7, v5, v7
	v_mul_f32_e32 v8, v4, v3
	v_fma_f32 v9, -v1, v8, v4
	v_fmac_f32_e32 v8, v9, v3
	v_fma_f32 v1, -v1, v8, v4
	v_div_fmas_f32 v1, v1, v3, v8
	v_div_fixup_f32 v7, v1, v5, v7
	v_div_scale_f32 v1, s[38:39], v5, v5, v6
	v_rcp_f32_e32 v3, v1
	s_nop 0
	v_fma_f32 v4, -v1, v3, 1.0
	v_fmac_f32_e32 v3, v4, v3
	v_div_scale_f32 v4, vcc, v6, v5, v6
	v_mul_f32_e32 v8, v4, v3
	v_fma_f32 v9, -v1, v8, v4
	v_fmac_f32_e32 v8, v9, v3
	v_fma_f32 v1, -v1, v8, v4
	v_div_fmas_f32 v1, v1, v3, v8
	v_div_fixup_f32 v6, v1, v5, v6
	v_mov_b32_e32 v3, 0
	global_store_dwordx2 v[10:11], v[6:7], off
.LBB25_427:                             ;   in Loop: Header=BB25_14 Depth=1
	s_or_b64 exec, exec, s[36:37]
	s_movk_i32 s36, 0x47
	v_cmp_gt_i32_e32 vcc, s36, v3
	s_mov_b64 s[36:37], -1
	s_and_saveexec_b64 s[38:39], vcc
; %bb.428:                              ;   in Loop: Header=BB25_14 Depth=1
	v_cmp_eq_u32_e32 vcc, 0, v3
	s_orn2_b64 s[36:37], vcc, exec
; %bb.429:                              ;   in Loop: Header=BB25_14 Depth=1
	s_or_b64 exec, exec, s[38:39]
	s_and_b64 exec, exec, s[36:37]
	s_cbranch_execz .LBB25_12
; %bb.430:                              ;   in Loop: Header=BB25_14 Depth=1
	v_add_u32_e32 v1, 24, v152
	v_add_u32_e32 v1, s64, v1
	v_cmp_gt_i32_e32 vcc, s80, v1
	v_mov_b32_e32 v3, 0x47
	s_and_saveexec_b64 s[36:37], vcc
	s_cbranch_execz .LBB25_432
; %bb.431:                              ;   in Loop: Header=BB25_14 Depth=1
	scratch_load_dword v3, off, off offset:88 ; 4-byte Folded Reload
	scratch_load_dword v6, off, off offset:92 ; 4-byte Folded Reload
	v_readlane_b32 s38, v254, 58
	s_waitcnt vmcnt(1)
	v_add_u32_e32 v3, 0, v3
	ds_read2_b32 v[4:5], v3 offset0:64 offset1:65
	s_waitcnt vmcnt(0)
	ds_read2st64_b32 v[6:7], v6 offset1:17
	ds_read_b32 v8, v3 offset:4608
	v_mad_u64_u32 v[10:11], s[38:39], s38, v1, v[38:39]
	v_readlane_b32 s38, v255, 18
	s_waitcnt lgkmcnt(1)
	v_cvt_f32_f16_sdwa v13, v6 dst_sel:DWORD dst_unused:UNUSED_PAD src0_sel:WORD_1
	v_cvt_f32_f16_e32 v12, v6
	v_cvt_f32_f16_sdwa v15, v7 dst_sel:DWORD dst_unused:UNUSED_PAD src0_sel:WORD_1
	v_cvt_f32_f16_e32 v14, v7
	v_ashrrev_i32_e32 v11, 31, v10
	v_pk_fma_f32 v[12:13], v[4:5], v[12:13], 0 op_sel_hi:[0,1,0]
	v_readlane_b32 s39, v255, 19
	s_waitcnt lgkmcnt(0)
	v_pk_fma_f32 v[6:7], v[8:9], v[14:15], v[12:13] op_sel_hi:[0,1,1]
	v_lshl_add_u64 v[10:11], v[10:11], 3, s[38:39]
	v_div_scale_f32 v1, s[38:39], v5, v5, v7
	v_rcp_f32_e32 v3, v1
	s_nop 0
	v_fma_f32 v4, -v1, v3, 1.0
	v_fmac_f32_e32 v3, v4, v3
	v_div_scale_f32 v4, vcc, v7, v5, v7
	v_mul_f32_e32 v8, v4, v3
	v_fma_f32 v9, -v1, v8, v4
	v_fmac_f32_e32 v8, v9, v3
	v_fma_f32 v1, -v1, v8, v4
	v_div_fmas_f32 v1, v1, v3, v8
	v_div_fixup_f32 v7, v1, v5, v7
	v_div_scale_f32 v1, s[38:39], v5, v5, v6
	v_rcp_f32_e32 v3, v1
	s_nop 0
	v_fma_f32 v4, -v1, v3, 1.0
	v_fmac_f32_e32 v3, v4, v3
	v_div_scale_f32 v4, vcc, v6, v5, v6
	v_mul_f32_e32 v8, v4, v3
	v_fma_f32 v9, -v1, v8, v4
	v_fmac_f32_e32 v8, v9, v3
	v_fma_f32 v1, -v1, v8, v4
	v_div_fmas_f32 v1, v1, v3, v8
	v_div_fixup_f32 v6, v1, v5, v6
	v_mov_b32_e32 v3, 0
	global_store_dwordx2 v[10:11], v[6:7], off
.LBB25_432:                             ;   in Loop: Header=BB25_14 Depth=1
	s_or_b64 exec, exec, s[36:37]
	s_movk_i32 s36, 0x47
	v_cmp_gt_i32_e32 vcc, s36, v3
	s_mov_b64 s[36:37], -1
	s_and_saveexec_b64 s[38:39], vcc
; %bb.433:                              ;   in Loop: Header=BB25_14 Depth=1
	v_cmp_eq_u32_e32 vcc, 0, v3
	s_orn2_b64 s[36:37], vcc, exec
; %bb.434:                              ;   in Loop: Header=BB25_14 Depth=1
	s_or_b64 exec, exec, s[38:39]
	s_and_b64 exec, exec, s[36:37]
	s_cbranch_execz .LBB25_12
; %bb.435:                              ;   in Loop: Header=BB25_14 Depth=1
	v_add_u32_e32 v1, 26, v152
	v_add_u32_e32 v1, s64, v1
	v_cmp_gt_i32_e32 vcc, s80, v1
	v_mov_b32_e32 v3, 0x47
	s_and_saveexec_b64 s[36:37], vcc
	s_cbranch_execz .LBB25_437
; %bb.436:                              ;   in Loop: Header=BB25_14 Depth=1
	scratch_load_dword v3, off, off offset:96 ; 4-byte Folded Reload
	scratch_load_dword v6, off, off offset:100 ; 4-byte Folded Reload
	v_readlane_b32 s38, v254, 58
	s_waitcnt vmcnt(1)
	v_add_u32_e32 v3, 0, v3
	ds_read2_b32 v[4:5], v3 offset0:64 offset1:65
	s_waitcnt vmcnt(0)
	ds_read2st64_b32 v[6:7], v6 offset1:17
	ds_read_b32 v8, v3 offset:4608
	v_mad_u64_u32 v[10:11], s[38:39], s38, v1, v[38:39]
	v_readlane_b32 s38, v255, 18
	s_waitcnt lgkmcnt(1)
	v_cvt_f32_f16_sdwa v13, v6 dst_sel:DWORD dst_unused:UNUSED_PAD src0_sel:WORD_1
	v_cvt_f32_f16_e32 v12, v6
	v_cvt_f32_f16_sdwa v15, v7 dst_sel:DWORD dst_unused:UNUSED_PAD src0_sel:WORD_1
	v_cvt_f32_f16_e32 v14, v7
	v_ashrrev_i32_e32 v11, 31, v10
	v_pk_fma_f32 v[12:13], v[4:5], v[12:13], 0 op_sel_hi:[0,1,0]
	v_readlane_b32 s39, v255, 19
	s_waitcnt lgkmcnt(0)
	v_pk_fma_f32 v[6:7], v[8:9], v[14:15], v[12:13] op_sel_hi:[0,1,1]
	v_lshl_add_u64 v[10:11], v[10:11], 3, s[38:39]
	v_div_scale_f32 v1, s[38:39], v5, v5, v7
	v_rcp_f32_e32 v3, v1
	s_nop 0
	v_fma_f32 v4, -v1, v3, 1.0
	v_fmac_f32_e32 v3, v4, v3
	v_div_scale_f32 v4, vcc, v7, v5, v7
	v_mul_f32_e32 v8, v4, v3
	v_fma_f32 v9, -v1, v8, v4
	v_fmac_f32_e32 v8, v9, v3
	v_fma_f32 v1, -v1, v8, v4
	v_div_fmas_f32 v1, v1, v3, v8
	v_div_fixup_f32 v7, v1, v5, v7
	v_div_scale_f32 v1, s[38:39], v5, v5, v6
	v_rcp_f32_e32 v3, v1
	s_nop 0
	v_fma_f32 v4, -v1, v3, 1.0
	v_fmac_f32_e32 v3, v4, v3
	v_div_scale_f32 v4, vcc, v6, v5, v6
	v_mul_f32_e32 v8, v4, v3
	v_fma_f32 v9, -v1, v8, v4
	v_fmac_f32_e32 v8, v9, v3
	v_fma_f32 v1, -v1, v8, v4
	v_div_fmas_f32 v1, v1, v3, v8
	v_div_fixup_f32 v6, v1, v5, v6
	v_mov_b32_e32 v3, 0
	global_store_dwordx2 v[10:11], v[6:7], off
.LBB25_437:                             ;   in Loop: Header=BB25_14 Depth=1
	s_or_b64 exec, exec, s[36:37]
	s_movk_i32 s36, 0x47
	v_cmp_gt_i32_e32 vcc, s36, v3
	s_mov_b64 s[36:37], -1
	s_and_saveexec_b64 s[38:39], vcc
; %bb.438:                              ;   in Loop: Header=BB25_14 Depth=1
	v_cmp_eq_u32_e32 vcc, 0, v3
	s_orn2_b64 s[36:37], vcc, exec
; %bb.439:                              ;   in Loop: Header=BB25_14 Depth=1
	s_or_b64 exec, exec, s[38:39]
	s_and_b64 exec, exec, s[36:37]
	s_cbranch_execz .LBB25_12
; %bb.440:                              ;   in Loop: Header=BB25_14 Depth=1
	v_add_u32_e32 v1, 28, v152
	v_add_u32_e32 v1, s64, v1
	v_cmp_gt_i32_e32 vcc, s80, v1
	v_mov_b32_e32 v3, 0x47
	s_and_saveexec_b64 s[36:37], vcc
	s_cbranch_execz .LBB25_442
; %bb.441:                              ;   in Loop: Header=BB25_14 Depth=1
	scratch_load_dword v3, off, off offset:104 ; 4-byte Folded Reload
	scratch_load_dword v6, off, off offset:108 ; 4-byte Folded Reload
	v_readlane_b32 s38, v254, 58
	s_waitcnt vmcnt(1)
	v_add_u32_e32 v3, 0, v3
	ds_read2_b32 v[4:5], v3 offset0:64 offset1:65
	s_waitcnt vmcnt(0)
	ds_read2st64_b32 v[6:7], v6 offset1:17
	ds_read_b32 v8, v3 offset:4608
	v_mad_u64_u32 v[10:11], s[38:39], s38, v1, v[38:39]
	v_readlane_b32 s38, v255, 18
	s_waitcnt lgkmcnt(1)
	v_cvt_f32_f16_sdwa v13, v6 dst_sel:DWORD dst_unused:UNUSED_PAD src0_sel:WORD_1
	v_cvt_f32_f16_e32 v12, v6
	v_cvt_f32_f16_sdwa v15, v7 dst_sel:DWORD dst_unused:UNUSED_PAD src0_sel:WORD_1
	v_cvt_f32_f16_e32 v14, v7
	v_ashrrev_i32_e32 v11, 31, v10
	v_pk_fma_f32 v[12:13], v[4:5], v[12:13], 0 op_sel_hi:[0,1,0]
	v_readlane_b32 s39, v255, 19
	s_waitcnt lgkmcnt(0)
	v_pk_fma_f32 v[6:7], v[8:9], v[14:15], v[12:13] op_sel_hi:[0,1,1]
	v_lshl_add_u64 v[10:11], v[10:11], 3, s[38:39]
	v_div_scale_f32 v1, s[38:39], v5, v5, v7
	v_rcp_f32_e32 v3, v1
	s_nop 0
	v_fma_f32 v4, -v1, v3, 1.0
	v_fmac_f32_e32 v3, v4, v3
	v_div_scale_f32 v4, vcc, v7, v5, v7
	v_mul_f32_e32 v8, v4, v3
	v_fma_f32 v9, -v1, v8, v4
	v_fmac_f32_e32 v8, v9, v3
	v_fma_f32 v1, -v1, v8, v4
	v_div_fmas_f32 v1, v1, v3, v8
	v_div_fixup_f32 v7, v1, v5, v7
	v_div_scale_f32 v1, s[38:39], v5, v5, v6
	v_rcp_f32_e32 v3, v1
	s_nop 0
	v_fma_f32 v4, -v1, v3, 1.0
	v_fmac_f32_e32 v3, v4, v3
	v_div_scale_f32 v4, vcc, v6, v5, v6
	v_mul_f32_e32 v8, v4, v3
	v_fma_f32 v9, -v1, v8, v4
	v_fmac_f32_e32 v8, v9, v3
	v_fma_f32 v1, -v1, v8, v4
	v_div_fmas_f32 v1, v1, v3, v8
	v_div_fixup_f32 v6, v1, v5, v6
	v_mov_b32_e32 v3, 0
	global_store_dwordx2 v[10:11], v[6:7], off
.LBB25_442:                             ;   in Loop: Header=BB25_14 Depth=1
	s_or_b64 exec, exec, s[36:37]
	s_movk_i32 s36, 0x47
	v_cmp_gt_i32_e32 vcc, s36, v3
	s_mov_b64 s[36:37], -1
	s_and_saveexec_b64 s[38:39], vcc
; %bb.443:                              ;   in Loop: Header=BB25_14 Depth=1
	v_cmp_eq_u32_e32 vcc, 0, v3
	s_orn2_b64 s[36:37], vcc, exec
; %bb.444:                              ;   in Loop: Header=BB25_14 Depth=1
	s_or_b64 exec, exec, s[38:39]
	s_and_b64 exec, exec, s[36:37]
	s_cbranch_execz .LBB25_12
; %bb.445:                              ;   in Loop: Header=BB25_14 Depth=1
	v_add_u32_e32 v1, 30, v152
	v_add_u32_e32 v1, s64, v1
	v_cmp_gt_i32_e32 vcc, s80, v1
	s_and_b64 exec, exec, vcc
	s_cbranch_execz .LBB25_12
; %bb.446:                              ;   in Loop: Header=BB25_14 Depth=1
	scratch_load_dword v3, off, off offset:116 ; 4-byte Folded Reload
	s_waitcnt vmcnt(0)
	ds_read2st64_b32 v[4:5], v3 offset1:17
	scratch_load_dword v3, off, off offset:112 ; 4-byte Folded Reload
	s_waitcnt lgkmcnt(0)
	v_cvt_f32_f16_sdwa v11, v4 dst_sel:DWORD dst_unused:UNUSED_PAD src0_sel:WORD_1
	v_cvt_f32_f16_e32 v10, v4
	v_cvt_f32_f16_sdwa v13, v5 dst_sel:DWORD dst_unused:UNUSED_PAD src0_sel:WORD_1
	v_cvt_f32_f16_e32 v12, v5
	s_waitcnt vmcnt(0)
	v_add_u32_e32 v3, 0, v3
	ds_read2_b32 v[6:7], v3 offset0:64 offset1:65
	ds_read_b32 v8, v3 offset:4608
	s_waitcnt lgkmcnt(1)
	v_pk_fma_f32 v[4:5], v[6:7], v[10:11], 0 op_sel_hi:[0,1,0]
	s_waitcnt lgkmcnt(0)
	v_pk_fma_f32 v[4:5], v[8:9], v[12:13], v[4:5] op_sel_hi:[0,1,1]
	v_div_scale_f32 v3, s[36:37], v7, v7, v5
	v_rcp_f32_e32 v6, v3
	v_readlane_b32 s36, v254, 58
	s_nop 1
	v_mad_u64_u32 v[8:9], s[36:37], s36, v1, v[38:39]
	v_fma_f32 v1, -v3, v6, 1.0
	v_fmac_f32_e32 v6, v1, v6
	v_div_scale_f32 v1, vcc, v5, v7, v5
	v_mul_f32_e32 v10, v1, v6
	v_readlane_b32 s36, v255, 18
	v_fma_f32 v11, -v3, v10, v1
	v_ashrrev_i32_e32 v9, 31, v8
	v_readlane_b32 s37, v255, 19
	v_fmac_f32_e32 v10, v11, v6
	v_fma_f32 v1, -v3, v10, v1
	v_lshl_add_u64 v[8:9], v[8:9], 3, s[36:37]
	v_div_scale_f32 v3, s[36:37], v7, v7, v4
	v_rcp_f32_e32 v11, v3
	v_div_fmas_f32 v1, v1, v6, v10
	v_div_fixup_f32 v5, v1, v7, v5
	v_fma_f32 v1, -v3, v11, 1.0
	v_fmac_f32_e32 v11, v1, v11
	v_div_scale_f32 v1, vcc, v4, v7, v4
	v_mul_f32_e32 v6, v1, v11
	v_fma_f32 v10, -v3, v6, v1
	v_fmac_f32_e32 v6, v10, v11
	v_fma_f32 v1, -v3, v6, v1
	v_div_fmas_f32 v1, v1, v11, v6
	v_div_fixup_f32 v4, v1, v7, v4
	global_store_dwordx2 v[8:9], v[4:5], off
	s_branch .LBB25_12
.LBB25_447:                             ;   in Loop: Header=BB25_14 Depth=1
                                        ; implicit-def: $vgpr8_vgpr9_vgpr10_vgpr11
                                        ; implicit-def: $vgpr4_vgpr5_vgpr6_vgpr7
	s_branch .LBB25_144
.LBB25_448:                             ;   in Loop: Header=BB25_14 Depth=1
                                        ; implicit-def: $vgpr8_vgpr9_vgpr10_vgpr11
                                        ; implicit-def: $vgpr4_vgpr5_vgpr6_vgpr7
	s_branch .LBB25_358
.LBB25_449:
	v_readlane_b32 s36, v254, 52
	v_readlane_b32 s14, v254, 49
	;; [unrolled: 1-line block ×7, first 2 shown]
	s_mov_b32 s42, s14
	v_readlane_b32 s15, v254, 50
	s_andn2_b64 vcc, exec, s[26:27]
	s_cbranch_vccnz .LBB25_10
.LBB25_450:
	v_readlane_b32 s6, v254, 7
	s_abs_i32 s0, s6
	v_cvt_f32_u32_e32 v1, s0
	s_sub_i32 s3, 0, s0
	s_abs_i32 s2, s90
	s_xor_b32 s1, s90, s6
	v_rcp_iflag_f32_e32 v1, v1
	s_ashr_i32 s1, s1, 31
	v_readlane_b32 s10, v254, 6
	v_readlane_b32 s7, v254, 3
	v_mul_f32_e32 v1, 0x4f7ffffe, v1
	v_cvt_u32_f32_e32 v1, v1
	v_readlane_b32 s16, v254, 25
	v_readlane_b32 s22, v254, 31
	;; [unrolled: 1-line block ×3, first 2 shown]
	v_readfirstlane_b32 s4, v1
	s_mul_i32 s3, s3, s4
	s_mul_hi_u32 s3, s4, s3
	s_add_i32 s4, s4, s3
	s_mul_hi_u32 s3, s2, s4
	s_mul_i32 s4, s3, s0
	s_sub_i32 s2, s2, s4
	s_add_i32 s5, s3, 1
	s_sub_i32 s4, s2, s0
	s_cmp_ge_u32 s2, s0
	s_cselect_b32 s3, s5, s3
	s_cselect_b32 s2, s4, s2
	s_add_i32 s4, s3, 1
	s_cmp_ge_u32 s2, s0
	s_cselect_b32 s0, s4, s3
	s_abs_i32 s2, s10
	v_cvt_f32_u32_e32 v1, s2
	s_xor_b32 s0, s0, s1
	s_sub_i32 s3, 0, s2
	s_sub_i32 s8, s0, s1
	v_rcp_iflag_f32_e32 v1, v1
	s_mul_i32 s0, s8, s6
	s_sub_i32 s0, s90, s0
	s_abs_i32 s4, s0
	v_mul_f32_e32 v1, 0x4f7ffffe, v1
	v_cvt_u32_f32_e32 v1, v1
	s_xor_b32 s1, s0, s10
	s_ashr_i32 s1, s1, 31
	v_readlane_b32 s17, v254, 26
	v_readfirstlane_b32 s5, v1
	s_mul_i32 s3, s3, s5
	s_mul_hi_u32 s3, s5, s3
	s_add_i32 s5, s5, s3
	s_mul_hi_u32 s3, s4, s5
	s_mul_i32 s5, s3, s2
	s_sub_i32 s4, s4, s5
	s_add_i32 s6, s3, 1
	s_sub_i32 s5, s4, s2
	s_cmp_ge_u32 s4, s2
	s_cselect_b32 s3, s6, s3
	s_cselect_b32 s4, s5, s4
	s_add_i32 s5, s3, 1
	s_cmp_ge_u32 s4, s2
	s_cselect_b32 s2, s5, s3
	s_abs_i32 s3, s7
	v_cvt_f32_u32_e32 v1, s3
	s_xor_b32 s2, s2, s1
	s_sub_i32 s4, 0, s3
	s_sub_i32 s9, s2, s1
	v_rcp_iflag_f32_e32 v1, v1
	s_mul_i32 s1, s9, s10
	s_sub_i32 s1, s0, s1
	s_abs_i32 s2, s1
	v_mul_f32_e32 v1, 0x4f7ffffe, v1
	v_cvt_u32_f32_e32 v1, v1
	s_xor_b32 s0, s1, s7
	s_ashr_i32 s0, s0, 31
	v_readlane_b32 s18, v254, 27
	v_readfirstlane_b32 s5, v1
	s_mul_i32 s4, s4, s5
	s_mul_hi_u32 s4, s5, s4
	s_add_i32 s5, s5, s4
	s_mul_hi_u32 s4, s2, s5
	s_mul_i32 s5, s4, s3
	s_sub_i32 s2, s2, s5
	s_add_i32 s6, s4, 1
	s_sub_i32 s5, s2, s3
	s_cmp_ge_u32 s2, s3
	s_cselect_b32 s4, s6, s4
	s_cselect_b32 s2, s5, s2
	s_add_i32 s5, s4, 1
	s_cmp_ge_u32 s2, s3
	s_cselect_b32 s2, s5, s4
	s_xor_b32 s2, s2, s0
	s_sub_i32 s0, s2, s0
	s_mul_i32 s2, s0, s7
	s_sub_i32 s1, s1, s2
	s_abs_i32 s12, s1
	v_readlane_b32 s2, v254, 24
	s_ashr_i32 s10, s8, 31
	s_mul_hi_u32 s11, s12, s2
	v_readlane_b32 s19, v254, 28
	v_readlane_b32 s20, v254, 29
	;; [unrolled: 1-line block ×5, first 2 shown]
	s_cmp_eq_u64 s[22:23], 0
	s_mov_b64 s[2:3], 0
	v_readlane_b32 s24, v254, 33
	v_readlane_b32 s25, v254, 34
	;; [unrolled: 1-line block ×6, first 2 shown]
	s_cbranch_scc1 .LBB25_452
; %bb.451:
	s_abs_i32 s2, s42
	v_cvt_f32_u32_e32 v1, s2
	s_sub_i32 s4, 0, s2
	s_abs_i32 s3, s8
	v_readlane_b32 s6, v254, 14
	v_rcp_iflag_f32_e32 v1, v1
	v_readlane_b32 s7, v254, 15
	v_mul_f32_e32 v1, 0x4f7ffffe, v1
	v_cvt_u32_f32_e32 v1, v1
	s_nop 0
	v_readfirstlane_b32 s5, v1
	s_mul_i32 s4, s4, s5
	s_mul_hi_u32 s4, s5, s4
	s_add_i32 s5, s5, s4
	s_mul_hi_u32 s4, s3, s5
	s_mul_i32 s4, s4, s2
	s_sub_i32 s3, s3, s4
	s_sub_i32 s4, s3, s2
	s_cmp_ge_u32 s3, s2
	s_cselect_b32 s3, s4, s3
	s_sub_i32 s4, s3, s2
	s_cmp_ge_u32 s3, s2
	s_cselect_b32 s2, s4, s3
	s_xor_b32 s2, s2, s10
	s_sub_i32 s2, s2, s10
	s_ashr_i32 s3, s2, 31
	s_mul_i32 s4, s2, s7
	s_mul_hi_u32 s5, s2, s6
	s_add_i32 s4, s5, s4
	s_mul_i32 s3, s3, s6
	s_add_i32 s4, s4, s3
	s_mul_i32 s2, s2, s6
	s_add_u32 s2, s22, s2
	s_addc_u32 s3, s23, s4
.LBB25_452:
	s_ashr_i32 s14, s1, 31
	v_readlane_b32 s1, v254, 2
	s_mul_i32 s13, s9, s1
	s_add_i32 s13, s13, s0
	v_cmp_le_f32_e64 s[0:1], s37, 0
	s_and_b64 vcc, exec, s[0:1]
	v_mov_b32_e32 v38, 1.0
	s_cbranch_vccnz .LBB25_454
; %bb.453:
	s_sub_i32 s0, s13, s92
	s_lshl_b32 s0, s0, 1
	s_add_i32 s4, s13, 1
	s_or_b32 s5, s0, 1
	s_cmp_lt_u32 s13, s92
	s_cselect_b64 vcc, -1, 0
	s_and_b64 s[0:1], vcc, exec
	v_mov_b32_e32 v1, s39
	v_mov_b32_e32 v2, s38
	s_cselect_b32 s0, s4, s5
	v_cndmask_b32_e32 v18, v1, v2, vcc
	v_cvt_f32_i32_e32 v1, s0
	v_cmp_neq_f32_e32 vcc, 1.0, v18
	s_mov_b32 s0, 0x3f2aaaab
	s_movk_i32 s4, 0x204
	v_cndmask_b32_e32 v19, 1.0, v1, vcc
	v_cmp_eq_f32_e32 vcc, 0, v19
	s_mov_b32 s6, 0x42b17218
	s_mov_b32 s5, 0x7f800000
	v_cndmask_b32_e64 v20, |v18|, 1.0, vcc
	v_frexp_mant_f32_e32 v1, v20
	v_cmp_gt_f32_e64 s[0:1], s0, v1
	s_brev_b32 s15, -2
	s_nop 0
	v_cndmask_b32_e64 v2, 1.0, 2.0, s[0:1]
	v_mul_f32_e32 v1, v1, v2
	v_add_f32_e32 v2, 1.0, v1
	v_rcp_f32_e32 v10, v2
	v_add_f32_e32 v3, -1.0, v2
	v_sub_f32_e32 v5, v1, v3
	v_add_f32_e32 v3, -1.0, v1
	v_mul_f32_e32 v1, v3, v10
	v_mul_f32_e32 v4, v2, v1
	v_fma_f32 v6, v1, v2, -v4
	v_fmac_f32_e32 v6, v1, v5
	v_add_f32_e32 v2, v4, v6
	v_sub_f32_e32 v5, v3, v2
	v_pk_add_f32 v[8:9], v[2:3], v[4:5] neg_lo:[0,1] neg_hi:[0,1]
	v_mov_b32_e32 v7, v2
	v_pk_add_f32 v[2:3], v[8:9], v[6:7] neg_lo:[0,1] neg_hi:[0,1]
	v_mov_b32_e32 v6, 0x3e91f4c4
	v_add_f32_e32 v2, v2, v3
	v_add_f32_e32 v2, v5, v2
	v_mul_f32_e32 v3, v10, v2
	v_add_f32_e32 v2, v1, v3
	v_sub_f32_e32 v1, v2, v1
	v_sub_f32_e32 v1, v3, v1
	v_mul_f32_e32 v3, v2, v2
	v_fma_f32 v5, v2, v2, -v3
	v_add_f32_e32 v4, v1, v1
	v_fmac_f32_e32 v5, v2, v4
	v_add_f32_e32 v4, v3, v5
	v_fmac_f32_e32 v6, 0x3e76c4e1, v4
	v_fmaak_f32 v6, v4, v6, 0x3ecccdef
	v_sub_f32_e32 v3, v4, v3
	v_sub_f32_e32 v12, v5, v3
	v_mul_f32_e32 v3, v4, v6
	v_fma_f32 v5, v4, v6, -v3
	v_fmac_f32_e32 v5, v12, v6
	v_add_f32_e32 v6, v3, v5
	v_add_f32_e32 v7, 0x3f2aaaaa, v6
	v_sub_f32_e32 v3, v6, v3
	v_sub_f32_e32 v3, v5, v3
	v_add_f32_e32 v5, 0xbf2aaaaa, v7
	v_add_f32_e32 v3, 0x31739010, v3
	v_sub_f32_e32 v5, v6, v5
	v_pk_mul_f32 v[8:9], v[2:3], v[4:5]
	v_pk_add_f32 v[10:11], v[2:3], v[4:5]
	v_fma_f32 v6, v4, v2, -v8
	v_fmac_f32_e32 v6, v4, v1
	v_mov_b32_e32 v9, v11
	v_fmac_f32_e32 v6, v12, v2
	v_pk_add_f32 v[4:5], v[8:9], v[6:7]
	v_ldexp_f32 v1, v1, 1
	v_sub_f32_e32 v3, v4, v8
	v_sub_f32_e32 v3, v6, v3
	;; [unrolled: 1-line block ×3, first 2 shown]
	v_add_f32_e32 v9, v11, v6
	v_mov_b32_e32 v6, v5
	v_pk_mul_f32 v[6:7], v[4:5], v[6:7]
	v_cvt_f64_f32_e32 v[10:11], v20
	v_frexp_exp_i32_f64_e32 v7, v[10:11]
	v_subbrev_co_u32_e64 v7, s[0:1], 0, v7, s[0:1]
	v_cvt_f32_i32_e32 v7, v7
	v_fma_f32 v8, v4, v5, -v6
	v_fmac_f32_e32 v8, v4, v9
	s_mov_b32 s0, 0x3f317218
	v_mul_f32_e32 v4, 0x3f317218, v7
	v_fmac_f32_e32 v8, v3, v5
	v_fma_f32 v3, v7, s0, -v4
	v_fmamk_f32 v10, v7, 0xb102e308, v3
	v_ldexp_f32 v11, v2, 1
	v_add_f32_e32 v5, v6, v8
	v_pk_add_f32 v[2:3], v[4:5], v[10:11]
	v_mov_b32_e32 v12, v5
	v_mov_b32_e32 v13, v3
	;; [unrolled: 1-line block ×3, first 2 shown]
	v_pk_add_f32 v[6:7], v[12:13], v[6:7] neg_lo:[0,1] neg_hi:[0,1]
	v_mov_b32_e32 v9, v5
	v_pk_add_f32 v[6:7], v[8:9], v[6:7] neg_lo:[0,1] neg_hi:[0,1]
	v_mov_b32_e32 v11, v2
	v_add_f32_e32 v1, v1, v6
	v_add_f32_e32 v5, v1, v7
	v_pk_add_f32 v[6:7], v[2:3], v[4:5] neg_lo:[0,1] neg_hi:[0,1]
	v_pk_add_f32 v[8:9], v[2:3], v[4:5]
	v_mov_b32_e32 v12, v6
	v_mov_b32_e32 v13, v9
	v_pk_add_f32 v[12:13], v[10:11], v[12:13]
	v_pk_add_f32 v[6:7], v[10:11], v[6:7] neg_lo:[0,1] neg_hi:[0,1]
	v_mov_b32_e32 v4, v13
	v_pk_add_f32 v[14:15], v[4:5], v[2:3] neg_lo:[0,1] neg_hi:[0,1]
	v_mov_b32_e32 v12, v9
	v_mov_b32_e32 v1, v14
	;; [unrolled: 1-line block ×4, first 2 shown]
	v_pk_add_f32 v[16:17], v[8:9], v[0:1] neg_lo:[0,1] neg_hi:[0,1]
	v_pk_add_f32 v[2:3], v[12:13], v[2:3] neg_lo:[0,1] neg_hi:[0,1]
	v_mov_b32_e32 v10, v5
	v_pk_add_f32 v[2:3], v[10:11], v[2:3] neg_lo:[0,1] neg_hi:[0,1]
	v_mov_b32_e32 v16, v6
	v_pk_add_f32 v[8:9], v[16:17], v[2:3]
	v_mov_b32_e32 v7, v13
	v_mov_b32_e32 v10, v9
	v_pk_add_f32 v[10:11], v[8:9], v[10:11]
	s_nop 0
	v_pk_add_f32 v[4:5], v[4:5], v[10:11]
	v_mov_b32_e32 v3, v10
	v_mov_b32_e32 v9, v4
	v_pk_add_f32 v[12:13], v[8:9], v[6:7] neg_lo:[0,1] neg_hi:[0,1]
	s_nop 0
	v_sub_f32_e32 v1, v8, v12
	v_pk_add_f32 v[2:3], v[2:3], v[12:13] neg_lo:[0,1] neg_hi:[0,1]
	v_sub_f32_e32 v1, v6, v1
	v_add_f32_e32 v1, v2, v1
	v_add_f32_e32 v1, v1, v3
	;; [unrolled: 1-line block ×3, first 2 shown]
	v_sub_f32_e32 v3, v2, v4
	v_sub_f32_e32 v1, v1, v3
	v_mul_f32_e32 v3, v19, v2
	v_fma_f32 v2, v19, v2, -v3
	v_fmac_f32_e32 v2, v19, v1
	v_add_f32_e32 v1, v3, v2
	v_cmp_class_f32_e64 s[0:1], v3, s4
	v_sub_f32_e32 v4, v1, v3
	v_sub_f32_e32 v2, v2, v4
	v_cndmask_b32_e64 v1, v1, v3, s[0:1]
	v_mov_b32_e32 v3, 0x37000000
	v_cmp_eq_f32_e64 s[0:1], s6, v1
	s_nop 1
	v_cndmask_b32_e64 v3, 0, v3, s[0:1]
	v_sub_f32_e32 v4, v1, v3
	s_mov_b32 s0, 0x3fb8aa3b
	v_mul_f32_e32 v5, 0x3fb8aa3b, v4
	v_fma_f32 v6, v4, s0, -v5
	v_rndne_f32_e32 v7, v5
	v_fmamk_f32 v6, v4, 0x32a5705f, v6
	v_sub_f32_e32 v5, v5, v7
	v_add_f32_e32 v5, v5, v6
	v_exp_f32_e32 v5, v5
	v_cvt_i32_f32_e32 v6, v7
	v_cmp_neq_f32_e64 s[0:1], |v1|, s5
	s_nop 1
	v_cndmask_b32_e64 v1, 0, v2, s[0:1]
	s_mov_b32 s0, 0xc2ce8ed0
	v_ldexp_f32 v2, v5, v6
	v_cmp_ngt_f32_e64 s[0:1], s0, v4
	v_add_f32_e32 v1, v3, v1
	v_mov_b32_e32 v3, 0x7f800000
	v_cndmask_b32_e64 v2, 0, v2, s[0:1]
	v_cmp_nlt_f32_e64 s[0:1], s6, v4
	v_trunc_f32_e32 v4, v19
	v_mov_b32_e32 v5, 0x7fc00000
	v_cndmask_b32_e64 v2, v3, v2, s[0:1]
	v_fma_f32 v1, v2, v1, v2
	v_cmp_class_f32_e64 s[0:1], v2, s4
	v_cmp_gt_f32_e64 s[6:7], 0, v19
	s_nop 0
	v_cndmask_b32_e64 v1, v1, v2, s[0:1]
	v_cndmask_b32_e64 v2, v18, 1.0, vcc
	v_cmp_eq_f32_e32 vcc, v4, v19
	v_mul_f32_e32 v4, 0.5, v19
	v_trunc_f32_e32 v6, v4
	v_cmp_neq_f32_e64 s[0:1], v6, v4
	s_and_b64 s[0:1], vcc, s[0:1]
	s_nop 0
	v_cndmask_b32_e64 v4, 1.0, v2, s[0:1]
	v_bfi_b32 v1, s15, v1, v4
	v_cndmask_b32_e32 v4, v5, v1, vcc
	v_cmp_gt_f32_e32 vcc, 0, v2
	s_nop 1
	v_cndmask_b32_e32 v1, v1, v4, vcc
	v_cmp_eq_f32_e32 vcc, s5, v20
	v_cmp_eq_f32_e64 s[4:5], 0, v2
	s_xor_b64 s[6:7], s[6:7], s[4:5]
	v_cndmask_b32_e64 v3, v3, 0, s[6:7]
	v_cndmask_b32_e64 v4, 0, v2, s[0:1]
	v_bfi_b32 v3, s15, v3, v4
	s_or_b64 vcc, vcc, s[4:5]
	v_cndmask_b32_e32 v1, v1, v3, vcc
	v_cmp_o_f32_e32 vcc, v2, v2
	s_nop 1
	v_cndmask_b32_e32 v38, v5, v1, vcc
.LBB25_454:
	s_mul_i32 s1, s11, s73
	v_readlane_b32 s0, v254, 23
	s_sub_i32 s1, s12, s1
	s_xor_b32 s0, s14, s0
	s_add_i32 s4, s11, 1
	s_sub_i32 s5, s1, s73
	s_cmp_ge_u32 s1, s73
	s_cselect_b32 s4, s4, s11
	s_cselect_b32 s1, s5, s1
	s_add_i32 s5, s4, 1
	s_cmp_ge_u32 s1, s73
	s_cselect_b32 s1, s5, s4
	s_xor_b32 s1, s1, s0
	s_sub_i32 s4, s1, s0
	s_cmp_eq_u64 s[26:27], 0
	v_mov_b32_e32 v16, s43
	s_cbranch_scc1 .LBB25_456
; %bb.455:
	v_readlane_b32 s0, v254, 0
	s_mul_i32 s0, s8, s0
	s_add_i32 s0, s4, s0
	s_ashr_i32 s1, s0, 31
	s_lshl_b64 s[0:1], s[0:1], 2
	s_add_u32 s0, s26, s0
	s_addc_u32 s1, s27, s1
	v_mov_b32_e32 v1, 0
	global_load_dword v1, v1, s[0:1]
	s_waitcnt vmcnt(0)
	v_ashrrev_i32_e32 v2, 31, v1
	v_lshrrev_b32_e32 v2, 26, v2
	v_add_u32_e32 v1, v1, v2
	v_ashrrev_i32_e32 v1, 6, v1
	v_min_i32_e32 v16, s43, v1
.LBB25_456:
	v_readlane_b32 s6, v254, 8
	v_readlane_b32 s7, v254, 9
	s_mul_i32 s0, s8, s7
	s_ashr_i32 s1, s0, 31
	s_add_u32 s0, s16, s0
	s_mul_i32 s13, s13, s6
	s_addc_u32 s1, s17, s1
	s_ashr_i32 s5, s13, 31
	s_add_u32 s0, s0, s13
	s_addc_u32 s1, s1, s5
	s_lshl_b32 s6, s4, 5
	v_add_u32_e32 v103, s6, v116
	v_and_b32_e32 v36, 0x3ff, v0
	v_cmp_le_i32_e32 vcc, s80, v103
	s_and_saveexec_b64 s[4:5], vcc
	s_xor_b64 s[4:5], exec, s[4:5]
	s_cbranch_execz .LBB25_458
; %bb.457:
	s_movk_i32 s7, 0x44
	v_mad_u32_u24 v0, v116, s7, v36
	v_lshl_add_u32 v0, v0, 2, 0
	v_mov_b32_e32 v1, 0
	ds_write_b32 v0, v1
.LBB25_458:
	s_andn2_saveexec_b64 s[4:5], s[4:5]
	s_cbranch_execz .LBB25_460
; %bb.459:
	v_readlane_b32 s7, v254, 16
	s_nop 1
	v_mad_u64_u32 v[0:1], s[12:13], v103, s7, v[36:37]
	v_ashrrev_i32_e32 v1, 31, v0
	v_lshl_add_u64 v[0:1], v[0:1], 3, s[0:1]
	global_load_dwordx2 v[0:1], v[0:1], off
	s_movk_i32 s7, 0x44
	v_mad_u32_u24 v2, v116, s7, v36
	s_waitcnt vmcnt(0)
	v_cvt_f16_f32_e32 v0, v0
	v_cvt_f16_f32_e32 v1, v1
	v_pack_b32_f16 v0, v0, v1
	v_pk_mul_f16 v0, v39, v0
	v_lshl_add_u32 v1, v2, 2, 0
	ds_write_b32 v1, v0
.LBB25_460:
	s_or_b64 exec, exec, s[4:5]
	v_add_u32_e32 v104, s6, v125
	v_cmp_le_i32_e32 vcc, s80, v104
	s_and_saveexec_b64 s[4:5], vcc
	s_xor_b64 s[4:5], exec, s[4:5]
	s_cbranch_execz .LBB25_462
; %bb.461:
	s_movk_i32 s7, 0x44
	v_mad_u32_u24 v0, v125, s7, v36
	v_lshl_add_u32 v0, v0, 2, 0
	v_mov_b32_e32 v1, 0
	ds_write_b32 v0, v1
                                        ; implicit-def: $vgpr125
.LBB25_462:
	s_andn2_saveexec_b64 s[4:5], s[4:5]
	s_cbranch_execz .LBB25_464
; %bb.463:
	v_readlane_b32 s7, v254, 16
	s_nop 1
	v_mad_u64_u32 v[0:1], s[12:13], v104, s7, v[36:37]
	v_ashrrev_i32_e32 v1, 31, v0
	v_lshl_add_u64 v[0:1], v[0:1], 3, s[0:1]
	global_load_dwordx2 v[0:1], v[0:1], off
	s_movk_i32 s7, 0x44
	v_mad_u32_u24 v2, v125, s7, v36
	s_waitcnt vmcnt(0)
	v_cvt_f16_f32_e32 v0, v0
	v_cvt_f16_f32_e32 v1, v1
	v_pack_b32_f16 v0, v0, v1
	v_pk_mul_f16 v0, v39, v0
	v_lshl_add_u32 v1, v2, 2, 0
	ds_write_b32 v1, v0
.LBB25_464:
	s_or_b64 exec, exec, s[4:5]
	v_add_u32_e32 v105, s6, v124
	v_cmp_le_i32_e32 vcc, s80, v105
	s_and_saveexec_b64 s[4:5], vcc
	s_xor_b64 s[4:5], exec, s[4:5]
	s_cbranch_execz .LBB25_466
; %bb.465:
	s_movk_i32 s7, 0x44
	v_mad_u32_u24 v0, v124, s7, v36
	v_lshl_add_u32 v0, v0, 2, 0
	v_mov_b32_e32 v1, 0
	ds_write_b32 v0, v1
                                        ; implicit-def: $vgpr124
.LBB25_466:
	s_andn2_saveexec_b64 s[4:5], s[4:5]
	s_cbranch_execz .LBB25_468
; %bb.467:
	v_readlane_b32 s7, v254, 16
	s_nop 1
	v_mad_u64_u32 v[0:1], s[12:13], v105, s7, v[36:37]
	v_ashrrev_i32_e32 v1, 31, v0
	v_lshl_add_u64 v[0:1], v[0:1], 3, s[0:1]
	global_load_dwordx2 v[0:1], v[0:1], off
	s_movk_i32 s7, 0x44
	v_mad_u32_u24 v2, v124, s7, v36
	s_waitcnt vmcnt(0)
	v_cvt_f16_f32_e32 v0, v0
	v_cvt_f16_f32_e32 v1, v1
	v_pack_b32_f16 v0, v0, v1
	v_pk_mul_f16 v0, v39, v0
	v_lshl_add_u32 v1, v2, 2, 0
	ds_write_b32 v1, v0
.LBB25_468:
	s_or_b64 exec, exec, s[4:5]
	v_add_u32_e32 v106, s6, v123
	v_cmp_le_i32_e32 vcc, s80, v106
	s_and_saveexec_b64 s[4:5], vcc
	s_xor_b64 s[4:5], exec, s[4:5]
	s_cbranch_execz .LBB25_470
; %bb.469:
	s_movk_i32 s7, 0x44
	v_mad_u32_u24 v0, v123, s7, v36
	v_lshl_add_u32 v0, v0, 2, 0
	v_mov_b32_e32 v1, 0
	ds_write_b32 v0, v1
                                        ; implicit-def: $vgpr123
.LBB25_470:
	s_andn2_saveexec_b64 s[4:5], s[4:5]
	s_cbranch_execz .LBB25_472
; %bb.471:
	v_readlane_b32 s7, v254, 16
	s_nop 1
	v_mad_u64_u32 v[0:1], s[12:13], v106, s7, v[36:37]
	v_ashrrev_i32_e32 v1, 31, v0
	v_lshl_add_u64 v[0:1], v[0:1], 3, s[0:1]
	global_load_dwordx2 v[0:1], v[0:1], off
	s_movk_i32 s7, 0x44
	v_mad_u32_u24 v2, v123, s7, v36
	s_waitcnt vmcnt(0)
	v_cvt_f16_f32_e32 v0, v0
	v_cvt_f16_f32_e32 v1, v1
	v_pack_b32_f16 v0, v0, v1
	v_pk_mul_f16 v0, v39, v0
	v_lshl_add_u32 v1, v2, 2, 0
	ds_write_b32 v1, v0
.LBB25_472:
	s_or_b64 exec, exec, s[4:5]
	v_add_u32_e32 v107, s6, v122
	v_cmp_le_i32_e32 vcc, s80, v107
	s_and_saveexec_b64 s[4:5], vcc
	s_xor_b64 s[4:5], exec, s[4:5]
	s_cbranch_execz .LBB25_474
; %bb.473:
	s_movk_i32 s7, 0x44
	v_mad_u32_u24 v0, v122, s7, v36
	v_lshl_add_u32 v0, v0, 2, 0
	v_mov_b32_e32 v1, 0
	ds_write_b32 v0, v1
                                        ; implicit-def: $vgpr122
.LBB25_474:
	s_andn2_saveexec_b64 s[4:5], s[4:5]
	s_cbranch_execz .LBB25_476
; %bb.475:
	v_readlane_b32 s7, v254, 16
	s_nop 1
	v_mad_u64_u32 v[0:1], s[12:13], v107, s7, v[36:37]
	v_ashrrev_i32_e32 v1, 31, v0
	v_lshl_add_u64 v[0:1], v[0:1], 3, s[0:1]
	global_load_dwordx2 v[0:1], v[0:1], off
	s_movk_i32 s7, 0x44
	v_mad_u32_u24 v2, v122, s7, v36
	s_waitcnt vmcnt(0)
	v_cvt_f16_f32_e32 v0, v0
	v_cvt_f16_f32_e32 v1, v1
	v_pack_b32_f16 v0, v0, v1
	v_pk_mul_f16 v0, v39, v0
	v_lshl_add_u32 v1, v2, 2, 0
	ds_write_b32 v1, v0
.LBB25_476:
	s_or_b64 exec, exec, s[4:5]
	v_add_u32_e32 v108, s6, v121
	v_cmp_le_i32_e32 vcc, s80, v108
	s_and_saveexec_b64 s[4:5], vcc
	s_xor_b64 s[4:5], exec, s[4:5]
	s_cbranch_execz .LBB25_478
; %bb.477:
	s_movk_i32 s7, 0x44
	v_mad_u32_u24 v0, v121, s7, v36
	v_lshl_add_u32 v0, v0, 2, 0
	v_mov_b32_e32 v1, 0
	ds_write_b32 v0, v1
                                        ; implicit-def: $vgpr121
.LBB25_478:
	s_andn2_saveexec_b64 s[4:5], s[4:5]
	s_cbranch_execz .LBB25_480
; %bb.479:
	v_readlane_b32 s7, v254, 16
	s_nop 1
	v_mad_u64_u32 v[0:1], s[12:13], v108, s7, v[36:37]
	v_ashrrev_i32_e32 v1, 31, v0
	v_lshl_add_u64 v[0:1], v[0:1], 3, s[0:1]
	global_load_dwordx2 v[0:1], v[0:1], off
	s_movk_i32 s7, 0x44
	v_mad_u32_u24 v2, v121, s7, v36
	s_waitcnt vmcnt(0)
	v_cvt_f16_f32_e32 v0, v0
	v_cvt_f16_f32_e32 v1, v1
	v_pack_b32_f16 v0, v0, v1
	v_pk_mul_f16 v0, v39, v0
	v_lshl_add_u32 v1, v2, 2, 0
	ds_write_b32 v1, v0
.LBB25_480:
	s_or_b64 exec, exec, s[4:5]
	v_add_u32_e32 v109, s6, v120
	v_cmp_le_i32_e32 vcc, s80, v109
	s_and_saveexec_b64 s[4:5], vcc
	s_xor_b64 s[4:5], exec, s[4:5]
	s_cbranch_execz .LBB25_482
; %bb.481:
	s_movk_i32 s7, 0x44
	v_mad_u32_u24 v0, v120, s7, v36
	v_lshl_add_u32 v0, v0, 2, 0
	v_mov_b32_e32 v1, 0
	ds_write_b32 v0, v1
                                        ; implicit-def: $vgpr120
.LBB25_482:
	s_andn2_saveexec_b64 s[4:5], s[4:5]
	s_cbranch_execz .LBB25_484
; %bb.483:
	v_readlane_b32 s7, v254, 16
	s_nop 1
	v_mad_u64_u32 v[0:1], s[12:13], v109, s7, v[36:37]
	v_ashrrev_i32_e32 v1, 31, v0
	v_lshl_add_u64 v[0:1], v[0:1], 3, s[0:1]
	global_load_dwordx2 v[0:1], v[0:1], off
	s_movk_i32 s7, 0x44
	v_mad_u32_u24 v2, v120, s7, v36
	s_waitcnt vmcnt(0)
	v_cvt_f16_f32_e32 v0, v0
	v_cvt_f16_f32_e32 v1, v1
	v_pack_b32_f16 v0, v0, v1
	v_pk_mul_f16 v0, v39, v0
	v_lshl_add_u32 v1, v2, 2, 0
	ds_write_b32 v1, v0
.LBB25_484:
	s_or_b64 exec, exec, s[4:5]
	v_add_u32_e32 v112, s6, v41
	v_cmp_le_i32_e32 vcc, s80, v112
	s_and_saveexec_b64 s[4:5], vcc
	s_xor_b64 s[4:5], exec, s[4:5]
	s_cbranch_execz .LBB25_486
; %bb.485:
	s_movk_i32 s6, 0x44
	v_mad_u32_u24 v0, v41, s6, v36
	v_lshl_add_u32 v0, v0, 2, 0
	v_mov_b32_e32 v1, 0
	ds_write_b32 v0, v1
                                        ; implicit-def: $vgpr39
                                        ; implicit-def: $vgpr41
.LBB25_486:
	s_andn2_saveexec_b64 s[4:5], s[4:5]
	s_cbranch_execz .LBB25_488
; %bb.487:
	v_readlane_b32 s6, v254, 16
	s_nop 1
	v_mad_u64_u32 v[0:1], s[6:7], v112, s6, v[36:37]
	v_ashrrev_i32_e32 v1, 31, v0
	v_lshl_add_u64 v[0:1], v[0:1], 3, s[0:1]
	global_load_dwordx2 v[0:1], v[0:1], off
	s_movk_i32 s0, 0x44
	v_mad_u32_u24 v2, v41, s0, v36
	s_waitcnt vmcnt(0)
	v_cvt_f16_f32_e32 v0, v0
	v_cvt_f16_f32_e32 v1, v1
	v_pack_b32_f16 v0, v0, v1
	v_pk_mul_f16 v0, v39, v0
	v_lshl_add_u32 v1, v2, 2, 0
	ds_write_b32 v1, v0
.LBB25_488:
	s_or_b64 exec, exec, s[4:5]
	v_readlane_b32 s4, v254, 12
	v_readlane_b32 s5, v254, 13
	s_mul_i32 s0, s8, s5
	s_mul_hi_u32 s1, s8, s4
	s_add_i32 s0, s1, s0
	s_mul_i32 s1, s10, s4
	s_add_i32 s0, s0, s1
	s_mul_i32 s1, s8, s4
	v_readlane_b32 s4, v254, 19
	v_readlane_b32 s5, v254, 20
	;; [unrolled: 1-line block ×3, first 2 shown]
	s_add_u32 s1, s20, s1
	s_mov_b64 s[12:13], s[4:5]
	s_mul_i32 s4, s9, s7
	s_addc_u32 s0, s21, s0
	s_ashr_i32 s5, s4, 31
	s_add_u32 s33, s1, s4
	s_addc_u32 s38, s0, s5
	s_mul_i32 s0, s8, s13
	s_mul_hi_u32 s1, s8, s12
	s_add_i32 s0, s1, s0
	s_mul_i32 s10, s10, s12
	v_readlane_b32 s4, v254, 17
	s_add_i32 s0, s0, s10
	s_mul_i32 s8, s8, s12
	v_readlane_b32 s5, v254, 18
	s_add_u32 s1, s18, s8
	s_mul_i32 s9, s9, s5
	s_addc_u32 s0, s19, s0
	s_ashr_i32 s4, s9, 31
	s_add_u32 s39, s1, s9
	v_lshrrev_b32_e32 v1, 3, v36
	s_addc_u32 s40, s0, s4
	v_and_b32_e32 v17, 0x1ff0, v118
	s_movk_i32 s0, 0x110
	v_and_b32_e32 v80, 15, v36
	v_and_b32_e32 v81, 0x7e, v1
	v_mad_u32_u24 v0, v17, s0, 0
	v_mul_u32_u24_e32 v110, 0x110, v80
	v_lshlrev_b32_e32 v111, 2, v81
	v_add3_u32 v0, v0, v110, v111
	s_waitcnt lgkmcnt(0)
	s_barrier
	ds_read2_b64 v[12:15], v0 offset1:4
	ds_read2_b64 v[8:11], v0 offset0:8 offset1:12
	ds_read2_b64 v[4:7], v0 offset0:16 offset1:20
	;; [unrolled: 1-line block ×3, first 2 shown]
	v_add_u32_e32 v114, -1, v16
	v_cmp_ge_i32_e32 vcc, s44, v114
	s_mov_b32 s41, 0
	s_and_b64 vcc, exec, vcc
	v_mov_b32_e32 v97, 0
	v_or_b32_e32 v102, v17, v80
	v_lshlrev_b32_e32 v40, 1, v36
	v_mbcnt_lo_u32_b32 v84, -1, 0
	v_lshrrev_b32_e32 v113, 4, v36
	v_lshlrev_b32_e32 v37, 2, v36
	v_lshrrev_b32_e32 v101, 2, v36
	v_and_b32_e32 v83, 8, v118
	v_lshlrev_b32_e32 v82, 1, v80
	v_readlane_b32 s6, v254, 21
	s_waitcnt lgkmcnt(0)
	s_barrier
	s_cbranch_vccnz .LBB25_534
; %bb.489:
	v_mul_hi_u32 v17, s96, v103
	v_add_u32_e32 v17, v103, v17
	v_lshrrev_b32_e32 v17, s97, v17
	v_mul_lo_u32 v17, v17, s80
	v_mov_b32_e32 v16, 0
	v_sub_u32_e32 v17, v103, v17
	v_mov_b32_e32 v41, v16
	v_mad_i64_i32 v[44:45], s[4:5], v17, s74, 0
	v_mul_u32_u24_e32 v17, 0x90, v116
	v_lshl_add_u64 v[42:43], s[2:3], 0, v[40:41]
	v_add3_u32 v41, 0, v17, v40
	v_mul_hi_u32 v17, s96, v104
	v_add_u32_e32 v17, v104, v17
	v_lshrrev_b32_e32 v17, s97, v17
	v_mul_lo_u32 v17, v17, s80
	v_sub_u32_e32 v17, v104, v17
	v_mad_i64_i32 v[46:47], s[4:5], v17, s74, 0
	v_mul_hi_u32 v17, s96, v105
	v_add_u32_e32 v17, v105, v17
	v_lshrrev_b32_e32 v17, s97, v17
	v_mul_lo_u32 v17, v17, s80
	v_sub_u32_e32 v17, v105, v17
	v_mad_i64_i32 v[48:49], s[4:5], v17, s74, 0
	;; [unrolled: 6-line block ×7, first 2 shown]
	v_mbcnt_hi_u32_b32 v17, -1, v84
	v_and_b32_e32 v18, 64, v17
	v_add_u32_e32 v18, 64, v18
	v_xor_b32_e32 v19, 32, v17
	v_cmp_lt_i32_e32 vcc, v19, v18
	s_cmp_lg_u64 s[2:3], 0
	s_cselect_b64 s[28:29], -1, 0
	v_cndmask_b32_e32 v19, v17, v19, vcc
	v_lshlrev_b32_e32 v126, 2, v19
	v_xor_b32_e32 v19, 16, v17
	v_cmp_lt_i32_e32 vcc, v19, v18
	s_lshl_b32 s11, s82, 4
	v_and_b32_e32 v18, 60, v37
	v_cndmask_b32_e32 v17, v17, v19, vcc
	v_lshlrev_b32_e32 v127, 2, v17
	v_lshl_add_u32 v17, v116, 2, v113
	v_mul_lo_u32 v60, s82, v17
	v_add_u32_e32 v62, s11, v60
	v_add_u32_e32 v64, s11, v62
	;; [unrolled: 1-line block ×3, first 2 shown]
	s_add_i32 s11, 0, 0x60
	s_movk_i32 s10, 0x90
	v_mul_u32_u24_e32 v19, 0x110, v17
	v_lshlrev_b32_e32 v20, 2, v18
	v_lshrrev_b32_e32 v22, 2, v36
	v_mov_b32_e32 v31, s11
	s_add_i32 s11, 0, 0x80
	v_add3_u32 v128, 0, v19, v20
	v_and_b32_e32 v19, 16, v117
	v_and_b32_e32 v23, 0xfc, v22
	v_mad_u32_u24 v25, v102, s10, 0
	v_mul_lo_u32 v68, s76, v17
	s_lshl_b32 s10, s76, 4
	v_mov_b32_e32 v34, s11
	s_add_i32 s11, 0, 0xa0
	v_mul_u32_u24_e32 v21, 0x110, v19
	v_add_u32_e32 v24, v19, v23
	v_add_u16_e32 v19, v19, v23
	v_add_u32_e32 v70, s10, v68
	v_mov_b32_e32 v76, s11
	s_add_i32 s11, 0, 0xc0
	v_lshrrev_b16_e32 v19, 1, v19
	v_add_u32_e32 v72, s10, v70
	v_mov_b32_e32 v78, s11
	s_add_i32 s11, 0, 0xe0
	v_cmp_gt_u32_e64 s[26:27], 64, v17
	v_cmp_gt_u32_e64 s[4:5], 48, v17
	;; [unrolled: 1-line block ×4, first 2 shown]
	v_lshl_add_u32 v19, v19, 2, v25
	v_lshl_add_u32 v25, v24, 1, v25
	v_add_u32_e32 v74, s10, v72
	s_movk_i32 s10, 0x220
	v_mul_u32_u24_e32 v17, 0x220, v83
	v_mov_b32_e32 v87, s11
	v_add_u32_e32 v132, 64, v25
	v_add_u32_e32 v133, 0x44, v25
	v_mad_u32_u24 v25, v83, s10, 0
	v_add3_u32 v26, 0, 32, v17
	v_add3_u32 v17, 0, 64, v17
	v_mad_u32_u24 v31, v83, s10, v31
	v_mad_u32_u24 v34, v83, s10, v34
	;; [unrolled: 1-line block ×5, first 2 shown]
	v_cmp_gt_u32_e64 s[10:11], 64, v24
	v_cmp_gt_u32_e64 s[12:13], 63, v24
	;; [unrolled: 1-line block ×8, first 2 shown]
	v_mul_u32_u24_e32 v24, 0x88, v23
	v_add_u32_e32 v134, v25, v82
	v_add_u32_e32 v27, 0x2200, v26
	;; [unrolled: 1-line block ×8, first 2 shown]
	v_or_b32_e32 v90, v24, v80
	v_or_b32_e32 v22, 3, v22
	s_mov_b64 s[30:31], src_private_base
	v_add3_u32 v20, 0, v110, v111
	v_add_u32_e32 v135, 0x2200, v134
	v_add_u32_e32 v136, 32, v134
	;; [unrolled: 1-line block ×15, first 2 shown]
	v_mul_u32_u24_e32 v143, 0x110, v23
	v_mul_u32_u24_e32 v144, 0x110, v22
	v_lshlrev_b32_e32 v22, 1, v90
	v_lshlrev_b32_e32 v23, 1, v24
	v_cmp_lt_u32_e64 s[0:1], 63, v36
	v_add_u32_e32 v115, 0x240, v41
	v_add_u32_e32 v120, 0x480, v41
	;; [unrolled: 1-line block ×7, first 2 shown]
	s_mov_b32 s30, 0
	v_ashrrev_i32_e32 v61, 31, v60
	v_add_u32_e32 v129, 0x1100, v128
	v_ashrrev_i32_e32 v63, 31, v62
	v_add_u32_e32 v130, 0x2200, v128
	;; [unrolled: 2-line block ×3, first 2 shown]
	v_ashrrev_i32_e32 v67, 31, v66
	v_ashrrev_i32_e32 v69, 31, v68
	;; [unrolled: 1-line block ×5, first 2 shown]
	v_add_u32_e32 v145, v25, v22
	v_add_u32_e32 v146, v134, v23
	;; [unrolled: 1-line block ×24, first 2 shown]
	v_mov_b32_e32 v76, v38
	v_mov_b32_e32 v77, v38
	s_lshl_b32 s34, s44, 6
	v_mov_b32_e32 v181, 0xfeffffff
	v_lshlrev_b32_e32 v78, 2, v18
	v_add_u32_e32 v169, v20, v21
	s_mov_b32 s42, 0x3f200000
	s_mov_b32 s43, 0x3fb8aa3b
	;; [unrolled: 1-line block ×4, first 2 shown]
	v_mov_b32_e32 v170, 0x3ca908c9
	s_brev_b32 s47, -2
	v_add_u32_e32 v171, 0x4400, v19
	s_mov_b32 s48, 0xc1a00000
	s_mov_b32 s49, 0x5040100
	v_add_u32_e32 v172, v28, v143
	v_add_u32_e32 v173, v30, v143
	;; [unrolled: 1-line block ×7, first 2 shown]
	v_mov_b32_e32 v179, 0x7f800000
	v_mov_b32_e32 v180, 0
	;; [unrolled: 1-line block ×18, first 2 shown]
                                        ; implicit-def: $vgpr17
                                        ; implicit-def: $vgpr17
	;; [unrolled: 1-line block ×3, first 2 shown]
	s_andn2_b64 vcc, exec, s[28:29]
	s_ashr_i32 s35, s34, 31
	s_cbranch_vccnz .LBB25_495
.LBB25_490:
                                        ; implicit-def: $sgpr50
	s_and_saveexec_b64 s[36:37], s[0:1]
	s_xor_b64 s[36:37], exec, s[36:37]
	s_cbranch_execz .LBB25_492
; %bb.491:
	ds_write_b16 v41, v16 offset:17408
	ds_write_b16 v115, v16 offset:17408
	;; [unrolled: 1-line block ×4, first 2 shown]
	s_mov_b32 s50, 0
.LBB25_492:
	s_or_saveexec_b64 s[36:37], s[36:37]
	v_mov_b32_e32 v17, s50
	v_mov_b32_e32 v18, s50
	;; [unrolled: 1-line block ×4, first 2 shown]
	s_xor_b64 exec, exec, s[36:37]
	s_cbranch_execz .LBB25_494
; %bb.493:
	v_lshl_add_u64 v[18:19], s[34:35], 1, v[42:43]
	v_lshl_add_u64 v[20:21], v[44:45], 1, v[18:19]
	;; [unrolled: 1-line block ×5, first 2 shown]
	flat_load_ushort v17, v[20:21]
	flat_load_ushort v28, v[22:23]
	;; [unrolled: 1-line block ×4, first 2 shown]
	v_lshl_add_u64 v[20:21], v[52:53], 1, v[18:19]
	v_lshl_add_u64 v[22:23], v[54:55], 1, v[18:19]
	;; [unrolled: 1-line block ×4, first 2 shown]
	s_waitcnt vmcnt(0) lgkmcnt(0)
	ds_write_b16 v41, v17 offset:17408
	ds_write_b16 v115, v28 offset:17408
	;; [unrolled: 1-line block ×4, first 2 shown]
	flat_load_ushort v17, v[20:21]
	flat_load_ushort v18, v[22:23]
	flat_load_ushort v19, v[24:25]
	s_nop 0
	flat_load_ushort v20, v[26:27]
.LBB25_494:
	s_or_b64 exec, exec, s[36:37]
	s_waitcnt vmcnt(0) lgkmcnt(0)
	ds_write_b16 v122, v17 offset:17408
	ds_write_b16 v123, v18 offset:17408
	;; [unrolled: 1-line block ×4, first 2 shown]
.LBB25_495:                             ; =>This Inner Loop Header: Depth=1
	s_mul_hi_i32 s37, s34, s82
	s_mul_i32 s36, s34, s82
	s_lshl_b64 s[36:37], s[36:37], 2
	s_add_u32 s36, s39, s36
	s_addc_u32 s37, s40, s37
	v_mov_b32_e32 v17, v16
	v_mov_b32_e32 v18, v16
	;; [unrolled: 1-line block ×3, first 2 shown]
	scratch_store_dwordx4 off, v[16:19], off
	v_mov_b32_e32 v79, v16
	v_mov_b32_e32 v24, s30
	v_lshl_add_u64 v[18:19], v[60:61], 2, s[36:37]
	v_lshl_add_u64 v[18:19], v[18:19], 0, v[78:79]
	v_mov_b32_e32 v17, s31
	v_cndmask_b32_e64 v19, v17, v19, s[26:27]
	v_cndmask_b32_e64 v18, v24, v18, s[26:27]
	flat_load_dwordx4 v[18:21], v[18:19]
	v_lshl_add_u64 v[22:23], v[62:63], 2, s[36:37]
	v_lshl_add_u64 v[22:23], v[22:23], 0, v[78:79]
	v_cndmask_b32_e64 v23, v17, v23, s[4:5]
	v_cndmask_b32_e64 v22, v24, v22, s[4:5]
	s_waitcnt vmcnt(0) lgkmcnt(0)
	ds_write_b128 v128, v[18:21]
	flat_load_dwordx4 v[18:21], v[22:23]
	v_lshl_add_u64 v[22:23], v[64:65], 2, s[36:37]
	v_lshl_add_u64 v[22:23], v[22:23], 0, v[78:79]
	v_cndmask_b32_e64 v23, v17, v23, s[6:7]
	v_cndmask_b32_e64 v22, v24, v22, s[6:7]
	s_waitcnt vmcnt(0) lgkmcnt(0)
	ds_write_b128 v129, v[18:21]
	flat_load_dwordx4 v[18:21], v[22:23]
	v_lshl_add_u64 v[22:23], v[66:67], 2, s[36:37]
	v_lshl_add_u64 v[22:23], v[22:23], 0, v[78:79]
	v_cndmask_b32_e64 v23, v17, v23, s[8:9]
	v_cndmask_b32_e64 v22, v24, v22, s[8:9]
	v_add_u32_e32 v17, 0x2000, v169
	s_waitcnt vmcnt(0) lgkmcnt(0)
	ds_write_b128 v130, v[18:21]
	flat_load_dwordx4 v[18:21], v[22:23]
	s_waitcnt vmcnt(0) lgkmcnt(0)
	ds_write_b128 v131, v[18:21]
	s_waitcnt lgkmcnt(0)
	s_barrier
	ds_read2_b64 v[18:21], v169 offset1:4
	ds_read2_b64 v[26:29], v17 offset0:64 offset1:68
	s_waitcnt lgkmcnt(1)
	v_mfma_f32_16x16x16_f16 v[22:25], v[18:19], v[12:13], 0
	s_waitcnt lgkmcnt(0)
	v_mfma_f32_16x16x16_f16 v[30:33], v[26:27], v[12:13], 0
	v_mfma_f32_16x16x16_f16 v[18:21], v[20:21], v[14:15], v[22:25]
	;; [unrolled: 1-line block ×3, first 2 shown]
	ds_read2_b64 v[26:29], v169 offset0:8 offset1:12
	s_nop 3
	ds_read2_b64 v[30:33], v17 offset0:72 offset1:76
	s_waitcnt lgkmcnt(1)
	v_mfma_f32_16x16x16_f16 v[18:21], v[26:27], v[8:9], v[18:21]
	s_waitcnt lgkmcnt(0)
	v_mfma_f32_16x16x16_f16 v[22:25], v[30:31], v[8:9], v[22:25]
	v_mfma_f32_16x16x16_f16 v[18:21], v[28:29], v[10:11], v[18:21]
	ds_read2_b64 v[26:29], v169 offset0:16 offset1:20
	v_mfma_f32_16x16x16_f16 v[22:25], v[32:33], v[10:11], v[22:25]
	ds_read2_b64 v[30:33], v17 offset0:80 offset1:84
	s_waitcnt lgkmcnt(1)
	v_mfma_f32_16x16x16_f16 v[18:21], v[26:27], v[4:5], v[18:21]
	s_waitcnt lgkmcnt(0)
	v_mfma_f32_16x16x16_f16 v[22:25], v[30:31], v[4:5], v[22:25]
	v_mfma_f32_16x16x16_f16 v[18:21], v[28:29], v[6:7], v[18:21]
	ds_read2_b64 v[26:29], v169 offset0:24 offset1:28
	v_mfma_f32_16x16x16_f16 v[22:25], v[32:33], v[6:7], v[22:25]
	ds_read2_b64 v[30:33], v17 offset0:88 offset1:92
	s_waitcnt lgkmcnt(0)
	s_barrier
	v_mfma_f32_16x16x16_f16 v[18:21], v[26:27], v[0:1], v[18:21]
	s_waitcnt lgkmcnt(0)
                                        ; implicit-def: $vgpr17
	v_mfma_f32_16x16x16_f16 v[182:185], v[30:31], v[0:1], v[22:25]
	v_mfma_f32_16x16x16_f16 v[22:25], v[28:29], v[2:3], v[18:21]
	;; [unrolled: 1-line block ×3, first 2 shown]
	s_nop 5
	v_cmp_nlt_f32_e64 s[36:37], |v22|, s42
	s_and_saveexec_b64 s[50:51], s[36:37]
	s_xor_b64 s[36:37], exec, s[50:51]
	s_cbranch_execz .LBB25_497
; %bb.496:                              ;   in Loop: Header=BB25_495 Depth=1
	v_add_f32_e64 v17, |v22|, |v22|
	v_mul_f32_e32 v26, 0x3fb8aa3b, v17
	v_rndne_f32_e32 v27, v26
	v_sub_f32_e32 v28, v26, v27
	v_fma_f32 v26, v17, s43, -v26
	v_fmac_f32_e32 v26, 0x32a5705f, v17
	v_add_f32_e32 v26, v28, v26
	v_cvt_i32_f32_e32 v27, v27
	v_exp_f32_e32 v26, v26
	v_cmp_ngt_f32_e32 vcc, s45, v17
	v_ldexp_f32 v26, v26, v27
	s_nop 0
	v_cndmask_b32_e32 v26, 0, v26, vcc
	v_cmp_nlt_f32_e32 vcc, s46, v17
	s_nop 1
	v_cndmask_b32_e32 v17, v179, v26, vcc
	v_add_f32_e32 v17, 1.0, v17
	v_rcp_f32_e32 v17, v17
	s_nop 0
	v_fma_f32 v17, v17, -2.0, 1.0
.LBB25_497:                             ;   in Loop: Header=BB25_495 Depth=1
	s_andn2_saveexec_b64 s[36:37], s[36:37]
; %bb.498:                              ;   in Loop: Header=BB25_495 Depth=1
	v_mul_f32_e32 v17, v22, v22
	v_fmamk_f32 v26, v17, 0xbbbac73d, v170
	v_fmaak_f32 v26, v17, v26, 0xbd5c1c4e
	v_fmaak_f32 v26, v17, v26, 0x3e088382
	;; [unrolled: 1-line block ×3, first 2 shown]
	v_mul_f32_e64 v26, |v22|, v26
	v_fma_f32 v17, v17, v26, |v22|
; %bb.499:                              ;   in Loop: Header=BB25_495 Depth=1
	s_or_b64 exec, exec, s[36:37]
	v_cmp_nlt_f32_e64 s[36:37], |v23|, s42
                                        ; implicit-def: $vgpr26
	s_and_saveexec_b64 s[50:51], s[36:37]
	s_xor_b64 s[36:37], exec, s[50:51]
	s_cbranch_execz .LBB25_501
; %bb.500:                              ;   in Loop: Header=BB25_495 Depth=1
	v_add_f32_e64 v26, |v23|, |v23|
	v_mul_f32_e32 v27, 0x3fb8aa3b, v26
	v_rndne_f32_e32 v28, v27
	v_sub_f32_e32 v29, v27, v28
	v_fma_f32 v27, v26, s43, -v27
	v_fmac_f32_e32 v27, 0x32a5705f, v26
	v_add_f32_e32 v27, v29, v27
	v_cvt_i32_f32_e32 v28, v28
	v_exp_f32_e32 v27, v27
	v_cmp_ngt_f32_e32 vcc, s45, v26
	v_ldexp_f32 v27, v27, v28
	s_nop 0
	v_cndmask_b32_e32 v27, 0, v27, vcc
	v_cmp_nlt_f32_e32 vcc, s46, v26
	s_nop 1
	v_cndmask_b32_e32 v26, v179, v27, vcc
	v_add_f32_e32 v26, 1.0, v26
	v_rcp_f32_e32 v26, v26
	s_nop 0
	v_fma_f32 v26, v26, -2.0, 1.0
.LBB25_501:                             ;   in Loop: Header=BB25_495 Depth=1
	s_andn2_saveexec_b64 s[36:37], s[36:37]
; %bb.502:                              ;   in Loop: Header=BB25_495 Depth=1
	v_mul_f32_e32 v26, v23, v23
	v_fmamk_f32 v27, v26, 0xbbbac73d, v170
	v_fmaak_f32 v27, v26, v27, 0xbd5c1c4e
	v_fmaak_f32 v27, v26, v27, 0x3e088382
	;; [unrolled: 1-line block ×3, first 2 shown]
	v_mul_f32_e64 v27, |v23|, v27
	v_fma_f32 v26, v26, v27, |v23|
; %bb.503:                              ;   in Loop: Header=BB25_495 Depth=1
	s_or_b64 exec, exec, s[36:37]
	v_cmp_nlt_f32_e64 s[36:37], |v24|, s42
                                        ; implicit-def: $vgpr27
	s_and_saveexec_b64 s[50:51], s[36:37]
	s_xor_b64 s[36:37], exec, s[50:51]
	s_cbranch_execz .LBB25_505
; %bb.504:                              ;   in Loop: Header=BB25_495 Depth=1
	v_add_f32_e64 v27, |v24|, |v24|
	v_mul_f32_e32 v28, 0x3fb8aa3b, v27
	v_rndne_f32_e32 v29, v28
	v_sub_f32_e32 v30, v28, v29
	v_fma_f32 v28, v27, s43, -v28
	v_fmac_f32_e32 v28, 0x32a5705f, v27
	v_add_f32_e32 v28, v30, v28
	v_cvt_i32_f32_e32 v29, v29
	v_exp_f32_e32 v28, v28
	v_cmp_ngt_f32_e32 vcc, s45, v27
	v_ldexp_f32 v28, v28, v29
	s_nop 0
	v_cndmask_b32_e32 v28, 0, v28, vcc
	v_cmp_nlt_f32_e32 vcc, s46, v27
	s_nop 1
	v_cndmask_b32_e32 v27, v179, v28, vcc
	v_add_f32_e32 v27, 1.0, v27
	v_rcp_f32_e32 v27, v27
	s_nop 0
	v_fma_f32 v27, v27, -2.0, 1.0
.LBB25_505:                             ;   in Loop: Header=BB25_495 Depth=1
	s_andn2_saveexec_b64 s[36:37], s[36:37]
; %bb.506:                              ;   in Loop: Header=BB25_495 Depth=1
	v_mul_f32_e32 v27, v24, v24
	v_fmamk_f32 v28, v27, 0xbbbac73d, v170
	v_fmaak_f32 v28, v27, v28, 0xbd5c1c4e
	v_fmaak_f32 v28, v27, v28, 0x3e088382
	;; [unrolled: 1-line block ×3, first 2 shown]
	v_mul_f32_e64 v28, |v24|, v28
	v_fma_f32 v27, v27, v28, |v24|
; %bb.507:                              ;   in Loop: Header=BB25_495 Depth=1
	s_or_b64 exec, exec, s[36:37]
	v_cmp_nlt_f32_e64 s[36:37], |v25|, s42
                                        ; implicit-def: $vgpr31
	s_and_saveexec_b64 s[50:51], s[36:37]
	s_xor_b64 s[36:37], exec, s[50:51]
	s_cbranch_execz .LBB25_509
; %bb.508:                              ;   in Loop: Header=BB25_495 Depth=1
	v_add_f32_e64 v28, |v25|, |v25|
	v_mul_f32_e32 v29, 0x3fb8aa3b, v28
	v_rndne_f32_e32 v30, v29
	v_sub_f32_e32 v31, v29, v30
	v_fma_f32 v29, v28, s43, -v29
	v_fmac_f32_e32 v29, 0x32a5705f, v28
	v_add_f32_e32 v29, v31, v29
	v_cvt_i32_f32_e32 v30, v30
	v_exp_f32_e32 v29, v29
	v_cmp_ngt_f32_e32 vcc, s45, v28
	v_ldexp_f32 v29, v29, v30
	s_nop 0
	v_cndmask_b32_e32 v29, 0, v29, vcc
	v_cmp_nlt_f32_e32 vcc, s46, v28
	s_nop 1
	v_cndmask_b32_e32 v28, v179, v29, vcc
	v_add_f32_e32 v28, 1.0, v28
	v_rcp_f32_e32 v28, v28
	s_nop 0
	v_fma_f32 v31, v28, -2.0, 1.0
.LBB25_509:                             ;   in Loop: Header=BB25_495 Depth=1
	s_andn2_saveexec_b64 s[36:37], s[36:37]
; %bb.510:                              ;   in Loop: Header=BB25_495 Depth=1
	v_mul_f32_e32 v28, v25, v25
	v_fmamk_f32 v29, v28, 0xbbbac73d, v170
	v_fmaak_f32 v29, v28, v29, 0xbd5c1c4e
	v_fmaak_f32 v29, v28, v29, 0x3e088382
	;; [unrolled: 1-line block ×3, first 2 shown]
	v_mul_f32_e64 v29, |v25|, v29
	v_fma_f32 v31, v28, v29, |v25|
; %bb.511:                              ;   in Loop: Header=BB25_495 Depth=1
	s_or_b64 exec, exec, s[36:37]
	v_cmp_nlt_f32_e64 s[36:37], |v18|, s42
                                        ; implicit-def: $vgpr28
	s_and_saveexec_b64 s[50:51], s[36:37]
	s_xor_b64 s[36:37], exec, s[50:51]
	s_cbranch_execz .LBB25_513
; %bb.512:                              ;   in Loop: Header=BB25_495 Depth=1
	v_add_f32_e64 v28, |v18|, |v18|
	v_mul_f32_e32 v29, 0x3fb8aa3b, v28
	v_rndne_f32_e32 v30, v29
	v_sub_f32_e32 v32, v29, v30
	v_fma_f32 v29, v28, s43, -v29
	v_fmac_f32_e32 v29, 0x32a5705f, v28
	v_add_f32_e32 v29, v32, v29
	v_cvt_i32_f32_e32 v30, v30
	v_exp_f32_e32 v29, v29
	v_cmp_ngt_f32_e32 vcc, s45, v28
	v_ldexp_f32 v29, v29, v30
	s_nop 0
	v_cndmask_b32_e32 v29, 0, v29, vcc
	v_cmp_nlt_f32_e32 vcc, s46, v28
	s_nop 1
	v_cndmask_b32_e32 v28, v179, v29, vcc
	v_add_f32_e32 v28, 1.0, v28
	v_rcp_f32_e32 v28, v28
	s_nop 0
	v_fma_f32 v28, v28, -2.0, 1.0
.LBB25_513:                             ;   in Loop: Header=BB25_495 Depth=1
	s_andn2_saveexec_b64 s[36:37], s[36:37]
; %bb.514:                              ;   in Loop: Header=BB25_495 Depth=1
	v_mul_f32_e32 v28, v18, v18
	v_fmamk_f32 v29, v28, 0xbbbac73d, v170
	v_fmaak_f32 v29, v28, v29, 0xbd5c1c4e
	v_fmaak_f32 v29, v28, v29, 0x3e088382
	;; [unrolled: 1-line block ×3, first 2 shown]
	v_mul_f32_e64 v29, |v18|, v29
	v_fma_f32 v28, v28, v29, |v18|
; %bb.515:                              ;   in Loop: Header=BB25_495 Depth=1
	s_or_b64 exec, exec, s[36:37]
	v_cmp_nlt_f32_e64 s[36:37], |v19|, s42
                                        ; implicit-def: $vgpr29
	s_and_saveexec_b64 s[50:51], s[36:37]
	s_xor_b64 s[36:37], exec, s[50:51]
	s_cbranch_execz .LBB25_517
; %bb.516:                              ;   in Loop: Header=BB25_495 Depth=1
	v_add_f32_e64 v29, |v19|, |v19|
	v_mul_f32_e32 v30, 0x3fb8aa3b, v29
	v_rndne_f32_e32 v32, v30
	v_sub_f32_e32 v33, v30, v32
	v_fma_f32 v30, v29, s43, -v30
	v_fmac_f32_e32 v30, 0x32a5705f, v29
	v_add_f32_e32 v30, v33, v30
	v_cvt_i32_f32_e32 v32, v32
	v_exp_f32_e32 v30, v30
	v_cmp_ngt_f32_e32 vcc, s45, v29
	v_ldexp_f32 v30, v30, v32
	s_nop 0
	v_cndmask_b32_e32 v30, 0, v30, vcc
	v_cmp_nlt_f32_e32 vcc, s46, v29
	s_nop 1
	v_cndmask_b32_e32 v29, v179, v30, vcc
	v_add_f32_e32 v29, 1.0, v29
	v_rcp_f32_e32 v29, v29
	s_nop 0
	v_fma_f32 v29, v29, -2.0, 1.0
.LBB25_517:                             ;   in Loop: Header=BB25_495 Depth=1
	s_andn2_saveexec_b64 s[36:37], s[36:37]
; %bb.518:                              ;   in Loop: Header=BB25_495 Depth=1
	v_mul_f32_e32 v29, v19, v19
	v_fmamk_f32 v30, v29, 0xbbbac73d, v170
	v_fmaak_f32 v30, v29, v30, 0xbd5c1c4e
	v_fmaak_f32 v30, v29, v30, 0x3e088382
	v_fmaak_f32 v30, v29, v30, 0xbeaaaa99
	v_mul_f32_e64 v30, |v19|, v30
	v_fma_f32 v29, v29, v30, |v19|
; %bb.519:                              ;   in Loop: Header=BB25_495 Depth=1
	s_or_b64 exec, exec, s[36:37]
	v_cmp_nlt_f32_e64 s[36:37], |v20|, s42
                                        ; implicit-def: $vgpr30
	s_and_saveexec_b64 s[50:51], s[36:37]
	s_xor_b64 s[36:37], exec, s[50:51]
	s_cbranch_execz .LBB25_521
; %bb.520:                              ;   in Loop: Header=BB25_495 Depth=1
	v_add_f32_e64 v30, |v20|, |v20|
	v_mul_f32_e32 v32, 0x3fb8aa3b, v30
	v_rndne_f32_e32 v33, v32
	v_sub_f32_e32 v34, v32, v33
	v_fma_f32 v32, v30, s43, -v32
	v_fmac_f32_e32 v32, 0x32a5705f, v30
	v_add_f32_e32 v32, v34, v32
	v_cvt_i32_f32_e32 v33, v33
	v_exp_f32_e32 v32, v32
	v_cmp_ngt_f32_e32 vcc, s45, v30
	v_ldexp_f32 v32, v32, v33
	s_nop 0
	v_cndmask_b32_e32 v32, 0, v32, vcc
	v_cmp_nlt_f32_e32 vcc, s46, v30
	s_nop 1
	v_cndmask_b32_e32 v30, v179, v32, vcc
	v_add_f32_e32 v30, 1.0, v30
	v_rcp_f32_e32 v30, v30
	s_nop 0
	v_fma_f32 v30, v30, -2.0, 1.0
.LBB25_521:                             ;   in Loop: Header=BB25_495 Depth=1
	s_andn2_saveexec_b64 s[36:37], s[36:37]
; %bb.522:                              ;   in Loop: Header=BB25_495 Depth=1
	v_mul_f32_e32 v30, v20, v20
	v_fmamk_f32 v32, v30, 0xbbbac73d, v170
	v_fmaak_f32 v32, v30, v32, 0xbd5c1c4e
	v_fmaak_f32 v32, v30, v32, 0x3e088382
	v_fmaak_f32 v32, v30, v32, 0xbeaaaa99
	v_mul_f32_e64 v32, |v20|, v32
	v_fma_f32 v30, v30, v32, |v20|
; %bb.523:                              ;   in Loop: Header=BB25_495 Depth=1
	s_or_b64 exec, exec, s[36:37]
	v_cmp_nlt_f32_e64 s[36:37], |v21|, s42
                                        ; implicit-def: $vgpr39
	s_and_saveexec_b64 s[50:51], s[36:37]
	s_xor_b64 s[36:37], exec, s[50:51]
	s_cbranch_execz .LBB25_525
; %bb.524:                              ;   in Loop: Header=BB25_495 Depth=1
	v_add_f32_e64 v32, |v21|, |v21|
	v_mul_f32_e32 v33, 0x3fb8aa3b, v32
	v_rndne_f32_e32 v34, v33
	v_sub_f32_e32 v35, v33, v34
	v_fma_f32 v33, v32, s43, -v33
	v_fmac_f32_e32 v33, 0x32a5705f, v32
	v_add_f32_e32 v33, v35, v33
	v_cvt_i32_f32_e32 v34, v34
	v_exp_f32_e32 v33, v33
	v_cmp_ngt_f32_e32 vcc, s45, v32
	v_ldexp_f32 v33, v33, v34
	s_nop 0
	v_cndmask_b32_e32 v33, 0, v33, vcc
	v_cmp_nlt_f32_e32 vcc, s46, v32
	s_nop 1
	v_cndmask_b32_e32 v32, v179, v33, vcc
	v_add_f32_e32 v32, 1.0, v32
	v_rcp_f32_e32 v32, v32
	s_nop 0
	v_fma_f32 v39, v32, -2.0, 1.0
.LBB25_525:                             ;   in Loop: Header=BB25_495 Depth=1
	s_andn2_saveexec_b64 s[36:37], s[36:37]
; %bb.526:                              ;   in Loop: Header=BB25_495 Depth=1
	v_mul_f32_e32 v32, v21, v21
	v_fmamk_f32 v33, v32, 0xbbbac73d, v170
	v_fmaak_f32 v33, v32, v33, 0xbd5c1c4e
	v_fmaak_f32 v33, v32, v33, 0x3e088382
	;; [unrolled: 1-line block ×3, first 2 shown]
	v_mul_f32_e64 v33, |v21|, v33
	v_fma_f32 v39, v32, v33, |v21|
; %bb.527:                              ;   in Loop: Header=BB25_495 Depth=1
	s_or_b64 exec, exec, s[36:37]
	v_bfi_b32 v17, s47, v17, v22
	v_mul_f32_e32 v32, s93, v17
	v_bfi_b32 v17, s47, v26, v23
	v_bfi_b32 v18, s47, v28, v18
	v_mul_f32_e32 v33, s93, v17
	v_bfi_b32 v17, s47, v27, v24
	v_mul_f32_e32 v28, s93, v18
	;; [unrolled: 2-line block ×6, first 2 shown]
	v_mul_f32_e32 v31, s93, v17
	s_and_b64 vcc, exec, s[28:29]
	s_cbranch_vccz .LBB25_532
; %bb.528:                              ;   in Loop: Header=BB25_495 Depth=1
	ds_read2_b32 v[18:19], v171 offset1:1
	ds_read_b32 v17, v132 offset:17408
	ds_read_b32 v22, v133 offset:17408
	v_mov_b32_e32 v39, v38
	s_waitcnt lgkmcnt(2)
	v_cvt_f32_f16_e32 v20, v18
	v_cvt_f32_f16_sdwa v21, v18 dst_sel:DWORD dst_unused:UNUSED_PAD src0_sel:WORD_1
	v_cvt_f32_f16_e32 v18, v19
	v_cvt_f32_f16_sdwa v19, v19 dst_sel:DWORD dst_unused:UNUSED_PAD src0_sel:WORD_1
	s_waitcnt lgkmcnt(1)
	v_cvt_f32_f16_sdwa v25, v17 dst_sel:DWORD dst_unused:UNUSED_PAD src0_sel:WORD_1
	s_waitcnt lgkmcnt(0)
	v_cvt_f32_f16_sdwa v27, v22 dst_sel:DWORD dst_unused:UNUSED_PAD src0_sel:WORD_1
	v_cvt_f32_f16_e32 v26, v22
	v_cvt_f32_f16_e32 v24, v17
	v_pk_fma_f32 v[22:23], v[38:39], v[18:19], v[34:35]
	v_pk_fma_f32 v[20:21], v[76:77], v[20:21], v[32:33]
	;; [unrolled: 1-line block ×4, first 2 shown]
	s_cbranch_execnz .LBB25_530
.LBB25_529:                             ;   in Loop: Header=BB25_495 Depth=1
	v_mov_b64_e32 v[24:25], v[28:29]
	v_mov_b64_e32 v[20:21], v[32:33]
	;; [unrolled: 1-line block ×4, first 2 shown]
.LBB25_530:                             ;   in Loop: Header=BB25_495 Depth=1
	s_mul_hi_i32 s37, s34, s76
	s_mul_i32 s36, s34, s76
	s_lshl_b64 s[36:37], s[36:37], 2
	s_add_u32 s36, s33, s36
	s_addc_u32 s37, s38, s37
	v_lshl_add_u64 v[18:19], v[68:69], 2, s[36:37]
	v_mov_b32_e32 v79, v16
	v_lshl_add_u64 v[18:19], v[18:19], 0, v[78:79]
	v_mov_b32_e32 v183, s31
	v_mov_b32_e32 v184, s30
	v_cndmask_b32_e64 v29, v183, v19, s[26:27]
	v_cndmask_b32_e64 v28, v184, v18, s[26:27]
	v_mov_b32_e32 v17, v16
	v_mov_b32_e32 v18, v16
	;; [unrolled: 1-line block ×3, first 2 shown]
	scratch_store_dwordx4 off, v[16:19], off
	flat_load_dwordx4 v[28:31], v[28:29]
	v_add_f32_e32 v188, 0x40051340, v26
	v_add_f32_e32 v189, 0x40051340, v27
	v_cndmask_b32_e64 v192, v27, v27, s[18:19]
	v_cndmask_b32_e64 v193, v26, v26, s[18:19]
	v_lshl_add_u64 v[26:27], v[70:71], 2, s[36:37]
	v_lshl_add_u64 v[26:27], v[26:27], 0, v[78:79]
	v_cndmask_b32_e64 v27, v183, v27, s[4:5]
	v_cndmask_b32_e64 v26, v184, v26, s[4:5]
	v_add_f32_e32 v32, 0x40051340, v20
	v_max_f32_e32 v33, v181, v181
	v_add_f32_e32 v34, 0x40051340, v21
	v_add_f32_e32 v35, 0x40051340, v22
	;; [unrolled: 1-line block ×5, first 2 shown]
	v_cndmask_b32_e64 v191, v22, v22, s[12:13]
	v_cndmask_b32_e64 v190, v23, v23, s[12:13]
	;; [unrolled: 1-line block ×3, first 2 shown]
	v_mov_b32_e32 v17, s41
	v_mov_b32_e32 v22, s41
	;; [unrolled: 1-line block ×6, first 2 shown]
	v_add_u32_e32 v195, v134, v143
	v_add_u32_e32 v196, v136, v143
	;; [unrolled: 1-line block ×6, first 2 shown]
	s_add_i32 s44, s44, 1
	s_add_i32 s34, s34, 64
	s_waitcnt vmcnt(0) lgkmcnt(0)
	ds_write_b128 v128, v[28:31]
	flat_load_dwordx4 v[28:31], v[26:27]
	v_max_f32_e32 v27, v33, v32
	v_cndmask_b32_e64 v27, v181, v27, s[10:11]
	v_max_f32_e32 v32, v27, v27
	v_max_f32_e32 v34, v32, v34
	v_lshl_add_u64 v[32:33], v[72:73], 2, s[36:37]
	v_lshl_add_u64 v[32:33], v[32:33], 0, v[78:79]
	v_cndmask_b32_e64 v33, v183, v33, s[6:7]
	v_cndmask_b32_e64 v32, v184, v32, s[6:7]
	;; [unrolled: 1-line block ×3, first 2 shown]
	v_max_f32_e32 v34, v27, v27
	v_max_f32_e32 v34, v34, v35
	v_cndmask_b32_e64 v27, v27, v34, s[14:15]
	v_max_f32_e32 v34, v27, v27
	v_max_f32_e32 v34, v34, v185
	v_cndmask_b32_e64 v27, v27, v34, s[16:17]
	;; [unrolled: 3-line block ×6, first 2 shown]
	ds_bpermute_b32 v185, v126, v27
	v_lshl_add_u64 v[34:35], v[74:75], 2, s[36:37]
	v_lshl_add_u64 v[34:35], v[34:35], 0, v[78:79]
	v_max_f32_e32 v27, v27, v27
	v_cndmask_b32_e64 v184, v184, v34, s[8:9]
	s_waitcnt lgkmcnt(0)
	v_max_f32_e32 v79, v185, v185
	v_max_f32_e32 v27, v27, v79
	ds_bpermute_b32 v79, v127, v27
	v_cndmask_b32_e64 v185, v183, v35, s[8:9]
	v_mov_b32_e32 v26, s41
	s_waitcnt lgkmcnt(0)
	v_max_f32_e32 v34, v79, v79
	v_max_f32_e32 v35, v27, v34
	v_sub_f32_e32 v20, v20, v35
	v_sub_f32_e32 v21, v21, v35
	v_mul_f32_e32 v186, 0x3fb8aa3b, v20
	v_sub_f32_e32 v27, v191, v35
	v_mul_f32_e32 v187, 0x3fb8aa3b, v21
	v_fma_f32 v200, v20, s43, -v186
	v_rndne_f32_e32 v201, v186
	v_sub_f32_e32 v34, v190, v35
	v_mul_f32_e32 v189, 0x3fb8aa3b, v27
	v_fma_f32 v202, v21, s43, -v187
	v_rndne_f32_e32 v203, v187
	v_fmac_f32_e32 v200, 0x32a5705f, v20
	v_sub_f32_e32 v186, v186, v201
	v_sub_f32_e32 v24, v24, v35
	v_mul_f32_e32 v190, 0x3fb8aa3b, v34
	v_fma_f32 v204, v27, s43, -v189
	v_rndne_f32_e32 v205, v189
	v_fmac_f32_e32 v202, 0x32a5705f, v21
	v_sub_f32_e32 v187, v187, v203
	v_add_f32_e32 v186, v186, v200
	v_sub_f32_e32 v79, v194, v35
	v_mul_f32_e32 v191, 0x3fb8aa3b, v24
	v_fma_f32 v206, v34, s43, -v190
	v_rndne_f32_e32 v207, v190
	v_cvt_i32_f32_e32 v201, v201
	v_fmac_f32_e32 v204, 0x32a5705f, v27
	v_sub_f32_e32 v189, v189, v205
	v_add_f32_e32 v187, v187, v202
	v_exp_f32_e32 v186, v186
	v_sub_f32_e32 v183, v193, v35
	v_sub_f32_e32 v188, v192, v35
	v_mul_f32_e32 v192, 0x3fb8aa3b, v79
	v_fma_f32 v208, v24, s43, -v191
	v_rndne_f32_e32 v209, v191
	v_cvt_i32_f32_e32 v203, v203
	v_fmac_f32_e32 v206, 0x32a5705f, v34
	v_sub_f32_e32 v190, v190, v207
	v_add_f32_e32 v189, v189, v204
	s_waitcnt vmcnt(0)
	ds_write_b128 v129, v[28:31]
	flat_load_dwordx4 v[28:31], v[32:33]
	v_exp_f32_e32 v187, v187
	v_mul_f32_e32 v193, 0x3fb8aa3b, v183
	v_fma_f32 v210, v79, s43, -v192
	v_rndne_f32_e32 v211, v192
	v_cvt_i32_f32_e32 v205, v205
	v_fmac_f32_e32 v208, 0x32a5705f, v24
	v_sub_f32_e32 v191, v191, v209
	v_add_f32_e32 v190, v190, v206
	v_exp_f32_e32 v189, v189
	v_sub_f32_e32 v181, v181, v35
	v_mul_f32_e32 v194, 0x3fb8aa3b, v188
	v_fma_f32 v212, v183, s43, -v193
	v_rndne_f32_e32 v213, v193
	v_cvt_i32_f32_e32 v207, v207
	v_fmac_f32_e32 v210, 0x32a5705f, v79
	v_sub_f32_e32 v192, v192, v211
	v_add_f32_e32 v191, v191, v208
	v_exp_f32_e32 v190, v190
	v_mul_f32_e32 v199, 0x3fb8aa3b, v181
	v_fma_f32 v214, v188, s43, -v194
	v_rndne_f32_e32 v32, v194
	v_cvt_i32_f32_e32 v209, v209
	v_fmac_f32_e32 v212, 0x32a5705f, v183
	v_sub_f32_e32 v193, v193, v213
	v_add_f32_e32 v192, v192, v210
	v_exp_f32_e32 v191, v191
	v_ldexp_f32 v186, v186, v201
	v_cmp_ngt_f32_e32 vcc, s45, v20
	v_fma_f32 v33, v181, s43, -v199
	v_rndne_f32_e32 v215, v199
	v_cvt_i32_f32_e32 v211, v211
	v_fmac_f32_e32 v214, 0x32a5705f, v188
	v_sub_f32_e32 v194, v194, v32
	v_add_f32_e32 v193, v193, v212
	v_exp_f32_e32 v192, v192
	v_ldexp_f32 v187, v187, v203
	v_cndmask_b32_e32 v186, 0, v186, vcc
	v_cmp_ngt_f32_e32 vcc, s45, v21
	v_cvt_i32_f32_e32 v213, v213
	v_fmac_f32_e32 v33, 0x32a5705f, v181
	v_sub_f32_e32 v199, v199, v215
	v_add_f32_e32 v194, v194, v214
	v_exp_f32_e32 v193, v193
	v_ldexp_f32 v189, v189, v205
	v_cndmask_b32_e32 v187, 0, v187, vcc
	v_cmp_ngt_f32_e32 vcc, s45, v27
	v_cvt_i32_f32_e32 v32, v32
	v_add_f32_e32 v33, v199, v33
	v_exp_f32_e32 v194, v194
	v_ldexp_f32 v190, v190, v207
	v_cndmask_b32_e32 v189, 0, v189, vcc
	v_cmp_ngt_f32_e32 vcc, s45, v34
	v_cvt_i32_f32_e32 v215, v215
	v_exp_f32_e32 v33, v33
	v_ldexp_f32 v191, v191, v209
	v_cndmask_b32_e32 v190, 0, v190, vcc
	v_cmp_ngt_f32_e32 vcc, s45, v24
	v_ldexp_f32 v192, v192, v211
	v_ldexp_f32 v193, v193, v213
	v_cndmask_b32_e32 v191, 0, v191, vcc
	v_cmp_ngt_f32_e32 vcc, s45, v79
	v_ldexp_f32 v32, v194, v32
	v_ldexp_f32 v33, v33, v215
	v_cndmask_b32_e32 v192, 0, v192, vcc
	v_cmp_ngt_f32_e32 vcc, s45, v183
	s_waitcnt vmcnt(0) lgkmcnt(0)
	ds_write_b128 v130, v[28:31]
	v_cndmask_b32_e32 v193, 0, v193, vcc
	v_cmp_ngt_f32_e32 vcc, s45, v188
	s_nop 1
	v_cndmask_b32_e32 v32, 0, v32, vcc
	v_cmp_ngt_f32_e32 vcc, s45, v181
	s_nop 1
	v_cndmask_b32_e32 v33, 0, v33, vcc
	v_cmp_nlt_f32_e32 vcc, s46, v20
	s_nop 1
	v_cndmask_b32_e32 v20, v179, v186, vcc
	v_cmp_nlt_f32_e32 vcc, s46, v21
	v_cndmask_b32_e64 v20, 0, v20, s[10:11]
	v_cvt_f16_f32_e32 v29, v20
	v_cndmask_b32_e32 v21, v179, v187, vcc
	flat_load_dwordx4 v[184:187], v[184:185]
	v_cmp_nlt_f32_e32 vcc, s46, v27
	v_cndmask_b32_e64 v17, v17, v21, s[12:13]
	v_add_f32_e32 v21, v21, v20
	v_cndmask_b32_e32 v27, v179, v189, vcc
	v_cmp_nlt_f32_e32 vcc, s46, v34
	v_cvt_f16_f32_e32 v17, v17
	v_cndmask_b32_e64 v20, v20, v21, s[12:13]
	v_cndmask_b32_e32 v28, v179, v190, vcc
	v_cmp_nlt_f32_e32 vcc, s46, v24
	v_add_f32_e32 v21, v20, v27
	v_cndmask_b32_e64 v20, v20, v21, s[14:15]
	v_cndmask_b32_e32 v34, v179, v191, vcc
	v_cmp_nlt_f32_e32 vcc, s46, v79
	v_add_f32_e32 v21, v20, v28
	v_cndmask_b32_e64 v22, v22, v34, s[18:19]
	v_cndmask_b32_e32 v79, v179, v192, vcc
	v_cmp_nlt_f32_e32 vcc, s46, v183
	v_cndmask_b32_e64 v18, v18, v27, s[14:15]
	v_cndmask_b32_e64 v19, v19, v28, s[16:17]
	v_cndmask_b32_e32 v183, v179, v193, vcc
	v_cmp_nlt_f32_e32 vcc, s46, v188
	v_cndmask_b32_e64 v23, v23, v79, s[20:21]
	v_cndmask_b32_e64 v26, v26, v183, s[22:23]
	v_cndmask_b32_e32 v188, v179, v32, vcc
	v_pack_b32_f16 v32, v29, v17
	v_cndmask_b32_e64 v17, v20, v21, s[16:17]
	v_cmp_nlt_f32_e32 vcc, s46, v181
	v_add_f32_e32 v34, v34, v17
	v_cndmask_b32_e64 v17, v17, v34, s[18:19]
	v_cndmask_b32_e32 v24, v179, v33, vcc
	v_cmp_le_f32_e32 vcc, s48, v181
	v_add_f32_e32 v34, v79, v17
	v_cndmask_b32_e64 v25, v25, v188, s[24:25]
	v_cndmask_b32_e32 v181, 0, v24, vcc
	v_cvt_f16_f32_e32 v24, v181
	v_cndmask_b32_e64 v17, v17, v34, s[20:21]
	v_cvt_f16_f32_e32 v18, v18
	v_cvt_f16_f32_e32 v19, v19
	;; [unrolled: 1-line block ×6, first 2 shown]
	v_add_f32_e32 v34, v183, v17
	v_cndmask_b32_e64 v17, v17, v34, s[22:23]
	v_add_f32_e32 v34, v188, v17
	v_pk_mul_f16 v27, v24, v98 op_sel_hi:[0,1]
	v_pk_mul_f16 v28, v24, v97 op_sel_hi:[0,1]
	;; [unrolled: 1-line block ×6, first 2 shown]
	v_cndmask_b32_e64 v34, v17, v34, s[24:25]
	v_pk_mul_f16 v99, v24, v88 op_sel_hi:[0,1]
	v_pk_mul_f16 v100, v24, v87 op_sel_hi:[0,1]
	v_pk_mul_f16 v96, v24, v96 op_sel_hi:[0,1]
	v_pk_mul_f16 v95, v24, v95 op_sel_hi:[0,1]
	v_pk_mul_f16 v92, v24, v92 op_sel_hi:[0,1]
	v_pk_mul_f16 v189, v24, v91 op_sel_hi:[0,1]
	v_pk_mul_f16 v94, v24, v94 op_sel_hi:[0,1]
	v_pk_mul_f16 v93, v24, v93 op_sel_hi:[0,1]
	v_pk_mul_f16 v190, v24, v86 op_sel_hi:[0,1]
	v_pk_mul_f16 v85, v24, v85 op_sel_hi:[0,1]
	v_pack_b32_f16 v33, v18, v19
	v_pack_b32_f16 v30, v22, v23
	;; [unrolled: 1-line block ×3, first 2 shown]
	v_cvt_f32_f16_e32 v22, v27
	v_cvt_f32_f16_sdwa v23, v27 dst_sel:DWORD dst_unused:UNUSED_PAD src0_sel:WORD_1
	v_cvt_f32_f16_e32 v24, v28
	v_cvt_f32_f16_sdwa v25, v28 dst_sel:DWORD dst_unused:UNUSED_PAD src0_sel:WORD_1
	;; [unrolled: 2-line block ×6, first 2 shown]
	v_fmac_f32_e32 v34, v180, v181
	v_cmp_lt_i32_e32 vcc, s44, v114
	s_waitcnt vmcnt(0) lgkmcnt(0)
	ds_write_b128 v131, v[184:187]
	s_waitcnt lgkmcnt(0)
	s_barrier
	ds_read_u16 v17, v147 offset:544
	ds_read_u16 v79, v148 offset:544
	;; [unrolled: 1-line block ×14, first 2 shown]
	ds_read_u16 v87, v39
	ds_read_u16 v91, v39 offset:32
	ds_read_u16 v187, v39 offset:64
	;; [unrolled: 1-line block ×6, first 2 shown]
	ds_read_u16 v194, v145
	ds_read_u16 v195, v145 offset:32
	ds_read_u16 v196, v145 offset:64
	;; [unrolled: 1-line block ×7, first 2 shown]
	s_waitcnt lgkmcnt(14)
	v_perm_b32 v87, v87, v86, s49
	s_waitcnt lgkmcnt(7)
	v_perm_b32 v86, v89, v194, s49
	v_perm_b32 v89, v91, v79, s49
	s_waitcnt lgkmcnt(6)
	v_perm_b32 v88, v88, v195, s49
	ds_read_u16 v182, v182 offset:272
	ds_read_u16 v194, v39 offset:8704
	;; [unrolled: 1-line block ×3, first 2 shown]
	v_mfma_f32_16x16x16_f16 v[22:25], v[86:87], v[32:33], v[22:25]
	v_perm_b32 v91, v187, v90, s49
	s_waitcnt lgkmcnt(8)
	v_perm_b32 v90, v185, v196, s49
	s_waitcnt lgkmcnt(1)
	v_perm_b32 v87, v194, v17, s49
	v_mfma_f32_16x16x16_f16 v[18:21], v[88:89], v[32:33], v[18:21]
	s_nop 0
	v_cvt_f16_f32_e32 v17, v22
	v_cvt_f16_f32_e32 v22, v23
	;; [unrolled: 1-line block ×4, first 2 shown]
	v_perm_b32 v86, v182, v181, s49
	v_mfma_f32_16x16x16_f16 v[26:29], v[90:91], v[32:33], v[26:29]
	v_cvt_f16_f32_e32 v25, v18
	v_cvt_f16_f32_e32 v79, v19
	;; [unrolled: 1-line block ×4, first 2 shown]
	v_cvt_f32_f16_e32 v18, v17
	v_cvt_f32_f16_e32 v19, v22
	;; [unrolled: 1-line block ×4, first 2 shown]
	v_perm_b32 v89, v184, v98, s49
	v_perm_b32 v88, v183, v97, s49
	v_cvt_f32_f16_e32 v22, v25
	v_cvt_f32_f16_e32 v23, v79
	;; [unrolled: 1-line block ×4, first 2 shown]
	v_mfma_f32_16x16x16_f16 v[18:21], v[86:87], v[30:31], v[18:21]
	v_cvt_f16_f32_e32 v26, v26
	s_and_b64 vcc, exec, vcc
	s_nop 4
	v_cvt_f16_f32_e32 v17, v18
	v_cvt_f16_f32_e32 v79, v19
	v_cvt_f16_f32_e32 v86, v20
	v_cvt_f16_f32_e32 v87, v21
	v_mfma_f32_16x16x16_f16 v[18:21], v[88:89], v[30:31], v[22:25]
	v_pack_b32_f16 v98, v17, v79
	v_cvt_f16_f32_e32 v17, v27
	v_add_u32_e32 v27, v137, v144
	v_cvt_f16_f32_e32 v25, v29
	v_add_u32_e32 v29, v140, v143
	s_nop 1
	v_cvt_f16_f32_e32 v88, v18
	v_cvt_f16_f32_e32 v18, v28
	v_cvt_f32_f16_e32 v23, v17
	v_add_u32_e32 v17, v138, v143
	v_add_u32_e32 v28, v139, v144
	v_cvt_f32_f16_e32 v24, v18
	v_add_u32_e32 v18, v138, v144
	v_pack_b32_f16 v97, v86, v87
	v_cvt_f32_f16_e32 v22, v26
	v_add_u32_e32 v26, v139, v143
	ds_read_u16 v27, v27 offset:8704
	ds_read_u16 v17, v17 offset:272
	;; [unrolled: 1-line block ×16, first 2 shown]
	s_waitcnt lgkmcnt(7)
	v_perm_b32 v27, v27, v18, s49
	v_perm_b32 v26, v186, v180, s49
	v_cvt_f32_f16_e32 v25, v25
	v_cvt_f16_f32_e32 v180, v19
	v_cvt_f16_f32_e32 v186, v20
	;; [unrolled: 1-line block ×3, first 2 shown]
	v_mfma_f32_16x16x16_f16 v[18:21], v[26:27], v[30:31], v[22:25]
	s_waitcnt lgkmcnt(6)
	v_perm_b32 v27, v188, v89, s49
	v_perm_b32 v26, v17, v197, s49
	v_cvt_f32_f16_e32 v22, v99
	v_cvt_f32_f16_sdwa v23, v99 dst_sel:DWORD dst_unused:UNUSED_PAD src0_sel:WORD_1
	v_cvt_f32_f16_e32 v24, v100
	v_cvt_f32_f16_sdwa v25, v100 dst_sel:DWORD dst_unused:UNUSED_PAD src0_sel:WORD_1
	v_cvt_f16_f32_e32 v17, v18
	v_pack_b32_f16 v100, v88, v180
	v_mfma_f32_16x16x16_f16 v[22:25], v[26:27], v[32:33], v[22:25]
	s_waitcnt lgkmcnt(4)
	v_perm_b32 v27, v86, v181, s49
	v_perm_b32 v26, v79, v90, s49
	v_cvt_f16_f32_e32 v79, v19
	v_cvt_f16_f32_e32 v86, v20
	s_nop 1
	v_cvt_f16_f32_e32 v18, v22
	v_cvt_f16_f32_e32 v23, v23
	;; [unrolled: 1-line block ×4, first 2 shown]
	v_cvt_f32_f16_e32 v22, v18
	v_cvt_f32_f16_e32 v23, v23
	;; [unrolled: 1-line block ×4, first 2 shown]
	v_cvt_f16_f32_e32 v88, v21
	v_pack_b32_f16 v90, v17, v79
	v_mfma_f32_16x16x16_f16 v[18:21], v[26:27], v[30:31], v[22:25]
	s_waitcnt lgkmcnt(3)
	v_perm_b32 v27, v191, v182, s49
	v_perm_b32 v26, v87, v198, s49
	v_cvt_f32_f16_e32 v22, v96
	v_cvt_f32_f16_sdwa v23, v96 dst_sel:DWORD dst_unused:UNUSED_PAD src0_sel:WORD_1
	v_cvt_f32_f16_e32 v24, v95
	v_cvt_f32_f16_sdwa v25, v95 dst_sel:DWORD dst_unused:UNUSED_PAD src0_sel:WORD_1
	v_cvt_f16_f32_e32 v17, v18
	v_pack_b32_f16 v89, v86, v88
	v_mfma_f32_16x16x16_f16 v[22:25], v[26:27], v[32:33], v[22:25]
	s_waitcnt lgkmcnt(1)
	v_perm_b32 v27, v28, v184, s49
	v_perm_b32 v26, v91, v183, s49
	v_cvt_f16_f32_e32 v28, v19
	v_cvt_f16_f32_e32 v79, v20
	s_nop 1
	v_cvt_f16_f32_e32 v18, v22
	v_cvt_f16_f32_e32 v23, v23
	;; [unrolled: 1-line block ×4, first 2 shown]
	v_cvt_f32_f16_e32 v22, v18
	v_cvt_f32_f16_e32 v23, v23
	;; [unrolled: 1-line block ×4, first 2 shown]
	v_cvt_f16_f32_e32 v86, v21
	v_pack_b32_f16 v88, v17, v28
	v_mfma_f32_16x16x16_f16 v[18:21], v[26:27], v[30:31], v[22:25]
	s_waitcnt lgkmcnt(0)
	v_perm_b32 v27, v192, v185, s49
	v_perm_b32 v26, v29, v199, s49
	v_cvt_f32_f16_e32 v22, v92
	v_cvt_f32_f16_sdwa v23, v92 dst_sel:DWORD dst_unused:UNUSED_PAD src0_sel:WORD_1
	v_cvt_f32_f16_e32 v24, v189
	v_cvt_f32_f16_sdwa v25, v189 dst_sel:DWORD dst_unused:UNUSED_PAD src0_sel:WORD_1
	v_cvt_f16_f32_e32 v17, v18
	v_add_u32_e32 v28, v142, v143
	v_mfma_f32_16x16x16_f16 v[22:25], v[26:27], v[32:33], v[22:25]
	v_add_u32_e32 v26, v140, v144
	v_pack_b32_f16 v99, v186, v187
	v_pack_b32_f16 v87, v79, v86
	v_add_u32_e32 v27, v141, v144
	s_nop 2
	v_cvt_f16_f32_e32 v18, v22
	v_cvt_f16_f32_e32 v23, v23
	;; [unrolled: 1-line block ×4, first 2 shown]
	v_cvt_f32_f16_e32 v22, v18
	v_add_u32_e32 v18, v141, v143
	ds_read_u16 v29, v161 offset:8704
	ds_read_u16 v79, v162 offset:544
	;; [unrolled: 1-line block ×8, first 2 shown]
	v_add_u32_e32 v95, v142, v144
	ds_read_u16 v96, v176 offset:272
	ds_read_u16 v26, v26 offset:8704
	;; [unrolled: 1-line block ×8, first 2 shown]
	s_waitcnt lgkmcnt(6)
	v_perm_b32 v27, v26, v79, s49
	v_perm_b32 v26, v96, v29, s49
	v_cvt_f32_f16_e32 v23, v23
	v_cvt_f32_f16_e32 v24, v24
	;; [unrolled: 1-line block ×3, first 2 shown]
	v_cvt_f16_f32_e32 v29, v19
	v_cvt_f16_f32_e32 v79, v20
	;; [unrolled: 1-line block ×3, first 2 shown]
	v_mfma_f32_16x16x16_f16 v[18:21], v[26:27], v[30:31], v[22:25]
	v_perm_b32 v27, v193, v86, s49
	s_waitcnt lgkmcnt(5)
	v_perm_b32 v26, v183, v200, s49
	v_pack_b32_f16 v96, v17, v29
	v_cvt_f32_f16_e32 v22, v94
	v_cvt_f32_f16_sdwa v23, v94 dst_sel:DWORD dst_unused:UNUSED_PAD src0_sel:WORD_1
	v_cvt_f32_f16_e32 v24, v93
	v_cvt_f32_f16_sdwa v25, v93 dst_sel:DWORD dst_unused:UNUSED_PAD src0_sel:WORD_1
	v_cvt_f16_f32_e32 v17, v18
	v_pack_b32_f16 v95, v79, v95
	v_mfma_f32_16x16x16_f16 v[22:25], v[26:27], v[32:33], v[22:25]
	s_waitcnt lgkmcnt(3)
	v_perm_b32 v27, v185, v92, s49
	v_perm_b32 v26, v184, v91, s49
	v_cvt_f16_f32_e32 v29, v19
	v_cvt_f16_f32_e32 v79, v20
	s_nop 1
	v_cvt_f16_f32_e32 v18, v22
	v_cvt_f16_f32_e32 v23, v23
	;; [unrolled: 1-line block ×4, first 2 shown]
	v_cvt_f32_f16_e32 v22, v18
	v_cvt_f32_f16_e32 v23, v23
	v_cvt_f32_f16_e32 v24, v24
	v_cvt_f32_f16_e32 v25, v25
	v_cvt_f16_f32_e32 v86, v21
	v_pack_b32_f16 v92, v17, v29
	v_mfma_f32_16x16x16_f16 v[18:21], v[26:27], v[30:31], v[22:25]
	v_perm_b32 v27, v39, v180, s49
	s_waitcnt lgkmcnt(2)
	v_perm_b32 v26, v28, v201, s49
	v_cvt_f32_f16_e32 v22, v190
	v_cvt_f32_f16_sdwa v23, v190 dst_sel:DWORD dst_unused:UNUSED_PAD src0_sel:WORD_1
	v_cvt_f32_f16_e32 v24, v85
	v_cvt_f32_f16_sdwa v25, v85 dst_sel:DWORD dst_unused:UNUSED_PAD src0_sel:WORD_1
	v_cvt_f16_f32_e32 v17, v18
	v_cvt_f16_f32_e32 v28, v19
	v_mfma_f32_16x16x16_f16 v[22:25], v[26:27], v[32:33], v[22:25]
	s_waitcnt lgkmcnt(0)
	v_perm_b32 v27, v187, v182, s49
	v_perm_b32 v26, v186, v181, s49
	v_cvt_f16_f32_e32 v29, v20
	v_cvt_f16_f32_e32 v32, v21
	s_nop 1
	v_cvt_f16_f32_e32 v18, v22
	v_cvt_f16_f32_e32 v23, v23
	;; [unrolled: 1-line block ×4, first 2 shown]
	v_cvt_f32_f16_e32 v22, v18
	v_cvt_f32_f16_e32 v23, v23
	;; [unrolled: 1-line block ×4, first 2 shown]
	v_pack_b32_f16 v91, v79, v86
	v_pack_b32_f16 v94, v17, v28
	v_mfma_f32_16x16x16_f16 v[18:21], v[26:27], v[30:31], v[22:25]
	v_pack_b32_f16 v93, v29, v32
	s_barrier
	s_nop 4
	v_cvt_f16_f32_e32 v18, v18
	v_cvt_f16_f32_e32 v19, v19
	;; [unrolled: 1-line block ×4, first 2 shown]
	v_pack_b32_f16 v86, v18, v19
	v_pack_b32_f16 v85, v20, v21
	s_cbranch_vccz .LBB25_535
; %bb.531:                              ;   in Loop: Header=BB25_495 Depth=1
	v_mov_b32_e32 v180, v34
	v_mov_b32_e32 v181, v35
	s_andn2_b64 vcc, exec, s[28:29]
	s_ashr_i32 s35, s34, 31
	s_cbranch_vccz .LBB25_490
	s_branch .LBB25_495
.LBB25_532:                             ;   in Loop: Header=BB25_495 Depth=1
                                        ; implicit-def: $vgpr20_vgpr21_vgpr22_vgpr23
                                        ; implicit-def: $vgpr24_vgpr25_vgpr26_vgpr27
	s_branch .LBB25_529
.LBB25_533:
                                        ; implicit-def: $sgpr6_sgpr7
                                        ; kill: killed $sgpr6_sgpr7
	s_load_dwordx2 s[96:97], s[0:1], 0x5c
	s_branch .LBB25_7
.LBB25_534:
	v_mov_b32_e32 v34, 0
	v_mov_b32_e32 v35, 0xfeffffff
	;; [unrolled: 1-line block ×17, first 2 shown]
.LBB25_535:
	s_lshl_b32 s10, s44, 6
	v_readlane_b32 s0, v254, 4
	s_sub_i32 s18, s0, s10
	s_cmp_lg_u64 s[2:3], 0
	s_cselect_b64 s[12:13], -1, 0
	s_ashr_i32 s11, s10, 31
	s_cmp_eq_u64 s[2:3], 0
	v_readlane_b32 s1, v254, 5
	s_cbranch_scc1 .LBB25_553
; %bb.536:
	s_lshl_b64 s[0:1], s[10:11], 1
	s_add_u32 s0, s2, s0
	s_addc_u32 s1, s3, s1
	v_mov_b32_e32 v41, 0
	v_cmp_gt_i32_e32 vcc, s18, v36
	v_lshl_add_u64 v[16:17], s[0:1], 0, v[40:41]
	v_mov_b32_e32 v19, 0
	s_and_saveexec_b64 s[0:1], vcc
	s_cbranch_execz .LBB25_538
; %bb.537:
	v_mul_hi_u32 v18, s96, v103
	v_add_u32_e32 v18, v103, v18
	v_lshrrev_b32_e32 v18, s97, v18
	v_mul_lo_u32 v18, v18, s80
	v_sub_u32_e32 v18, v103, v18
	v_mad_i64_i32 v[18:19], s[2:3], v18, s74, 0
	v_lshl_add_u64 v[18:19], v[18:19], 1, v[16:17]
	flat_load_ushort v19, v[18:19]
.LBB25_538:
	s_or_b64 exec, exec, s[0:1]
	s_movk_i32 s0, 0x90
	v_mad_u32_u24 v18, v116, s0, 0
	v_lshl_add_u32 v20, v36, 1, v18
	s_waitcnt vmcnt(0) lgkmcnt(0)
	ds_write_b16 v20, v19 offset:17408
	s_and_saveexec_b64 s[0:1], vcc
	s_cbranch_execz .LBB25_540
; %bb.539:
	v_mul_hi_u32 v19, s96, v104
	v_add_u32_e32 v19, v104, v19
	v_lshrrev_b32_e32 v19, s97, v19
	v_mul_lo_u32 v19, v19, s80
	v_sub_u32_e32 v19, v104, v19
	v_mad_i64_i32 v[20:21], s[2:3], v19, s74, 0
	v_lshl_add_u64 v[20:21], v[20:21], 1, v[16:17]
	flat_load_ushort v41, v[20:21]
.LBB25_540:
	s_or_b64 exec, exec, s[0:1]
	v_add_u32_e32 v19, 0x240, v18
	v_lshl_add_u32 v18, v36, 1, v19
	s_waitcnt vmcnt(0) lgkmcnt(0)
	ds_write_b16 v18, v41 offset:17408
	v_mov_b32_e32 v18, 0
	v_mov_b32_e32 v20, 0
	s_and_saveexec_b64 s[0:1], vcc
	s_cbranch_execz .LBB25_542
; %bb.541:
	v_mul_hi_u32 v20, s96, v105
	v_add_u32_e32 v20, v105, v20
	v_lshrrev_b32_e32 v20, s97, v20
	v_mul_lo_u32 v20, v20, s80
	v_sub_u32_e32 v20, v105, v20
	v_mad_i64_i32 v[20:21], s[2:3], v20, s74, 0
	v_lshl_add_u64 v[20:21], v[20:21], 1, v[16:17]
	flat_load_ushort v20, v[20:21]
.LBB25_542:
	s_or_b64 exec, exec, s[0:1]
	v_add_u32_e32 v19, 0x240, v19
	v_lshl_add_u32 v21, v36, 1, v19
	s_waitcnt vmcnt(0) lgkmcnt(0)
	ds_write_b16 v21, v20 offset:17408
	s_and_saveexec_b64 s[0:1], vcc
	s_cbranch_execz .LBB25_544
; %bb.543:
	v_mul_hi_u32 v18, s96, v106
	v_add_u32_e32 v18, v106, v18
	v_lshrrev_b32_e32 v18, s97, v18
	v_mul_lo_u32 v18, v18, s80
	v_sub_u32_e32 v18, v106, v18
	v_mad_i64_i32 v[20:21], s[2:3], v18, s74, 0
	v_lshl_add_u64 v[20:21], v[20:21], 1, v[16:17]
	flat_load_ushort v18, v[20:21]
.LBB25_544:
	s_or_b64 exec, exec, s[0:1]
	v_add_u32_e32 v19, 0x240, v19
	v_lshl_add_u32 v20, v36, 1, v19
	s_waitcnt vmcnt(0) lgkmcnt(0)
	ds_write_b16 v20, v18 offset:17408
	v_mov_b32_e32 v18, 0
	v_mov_b32_e32 v20, 0
	s_and_saveexec_b64 s[0:1], vcc
	s_cbranch_execz .LBB25_546
; %bb.545:
	v_mul_hi_u32 v20, s96, v107
	v_add_u32_e32 v20, v107, v20
	v_lshrrev_b32_e32 v20, s97, v20
	v_mul_lo_u32 v20, v20, s80
	v_sub_u32_e32 v20, v107, v20
	v_mad_i64_i32 v[20:21], s[2:3], v20, s74, 0
	v_lshl_add_u64 v[20:21], v[20:21], 1, v[16:17]
	flat_load_ushort v20, v[20:21]
.LBB25_546:
	s_or_b64 exec, exec, s[0:1]
	v_add_u32_e32 v19, 0x240, v19
	;; [unrolled: 36-line block ×3, first 2 shown]
	v_lshl_add_u32 v19, v36, 1, v19
	s_waitcnt vmcnt(0) lgkmcnt(0)
	ds_write_b16 v19, v20 offset:17408
	s_and_saveexec_b64 s[0:1], vcc
	s_cbranch_execz .LBB25_552
; %bb.551:
	v_mul_hi_u32 v18, s96, v112
	v_add_u32_e32 v18, v112, v18
	v_lshrrev_b32_e32 v18, s97, v18
	v_mul_lo_u32 v18, v18, s80
	v_sub_u32_e32 v18, v112, v18
	v_mad_i64_i32 v[20:21], s[2:3], v18, s74, 0
	v_lshl_add_u64 v[16:17], v[20:21], 1, v[16:17]
	flat_load_ushort v18, v[16:17]
.LBB25_552:
	s_or_b64 exec, exec, s[0:1]
	s_waitcnt vmcnt(0) lgkmcnt(0)
	ds_write_b16 v19, v18 offset:17984
.LBB25_553:
	s_mul_hi_i32 s1, s10, s82
	s_mul_i32 s0, s10, s82
	s_lshl_b64 s[0:1], s[0:1], 2
	v_lshl_add_u32 v18, v116, 2, v113
	s_add_u32 s0, s39, s0
	v_mov_b32_e32 v20, 0
	v_mul_lo_u32 v26, s82, v18
	s_addc_u32 s1, s40, s1
	v_mov_b32_e32 v21, v20
	v_mov_b32_e32 v22, v20
	;; [unrolled: 1-line block ×3, first 2 shown]
	v_and_b32_e32 v16, 60, v37
	v_ashrrev_i32_e32 v27, 31, v26
	s_mov_b64 s[2:3], src_private_base
	scratch_store_dwordx4 off, v[20:23], off
	v_lshlrev_b32_e32 v16, 2, v16
	v_mov_b32_e32 v17, v20
	v_lshl_add_u64 v[22:23], v[26:27], 2, s[0:1]
	v_lshl_add_u64 v[20:21], v[22:23], 0, v[16:17]
	v_mov_b32_e32 v19, s3
	v_cmp_gt_i32_e64 s[6:7], s18, v18
	v_mov_b32_e32 v30, 0
	s_lshl_b32 s2, s82, 4
	v_cndmask_b32_e64 v21, v19, v21, s[6:7]
	v_cndmask_b32_e64 v20, v30, v20, s[6:7]
	flat_load_dwordx4 v[22:25], v[20:21]
	v_add_u32_e32 v26, s2, v26
	v_ashrrev_i32_e32 v27, 31, v26
	v_mul_u32_u24_e32 v20, 0x110, v18
	v_add_u32_e32 v21, 16, v18
	v_lshl_add_u64 v[28:29], v[26:27], 2, s[0:1]
	v_add3_u32 v20, 0, v20, v16
	v_lshl_add_u64 v[28:29], v[28:29], 0, v[16:17]
	v_cmp_gt_i32_e64 s[4:5], s18, v21
	v_add_u32_e32 v26, s2, v26
	v_ashrrev_i32_e32 v27, 31, v26
	v_cndmask_b32_e64 v29, v19, v29, s[4:5]
	v_cndmask_b32_e64 v28, v30, v28, s[4:5]
	v_add_u32_e32 v21, 32, v18
	v_cmp_gt_i32_e64 s[8:9], s18, v21
	v_add_u32_e32 v21, 48, v18
	s_waitcnt vmcnt(0) lgkmcnt(0)
	ds_write_b128 v20, v[22:25]
	flat_load_dwordx4 v[22:25], v[28:29]
	v_lshl_add_u64 v[28:29], v[26:27], 2, s[0:1]
	v_lshl_add_u64 v[28:29], v[28:29], 0, v[16:17]
	v_cndmask_b32_e64 v29, v19, v29, s[8:9]
	v_cndmask_b32_e64 v28, v30, v28, s[8:9]
	v_add_u32_e32 v26, s2, v26
	v_ashrrev_i32_e32 v27, 31, v26
	v_lshl_add_u64 v[26:27], v[26:27], 2, s[0:1]
	v_lshl_add_u64 v[26:27], v[26:27], 0, v[16:17]
	v_cmp_gt_i32_e64 s[0:1], s18, v21
	v_and_b32_e32 v17, 16, v117
	v_mul_u32_u24_e32 v21, 0x110, v17
	v_cndmask_b32_e64 v27, v19, v27, s[0:1]
	v_cndmask_b32_e64 v26, v30, v26, s[0:1]
	v_add_u32_e32 v19, 0, v110
	v_add3_u32 v19, v19, v111, v21
	v_add_u32_e32 v21, 0x2000, v19
	s_mov_b32 s2, 0x3f200000
	s_waitcnt vmcnt(0) lgkmcnt(0)
	ds_write_b128 v20, v[22:25] offset:4352
	flat_load_dwordx4 v[22:25], v[28:29]
	s_waitcnt vmcnt(0) lgkmcnt(0)
	ds_write_b128 v20, v[22:25] offset:8704
	flat_load_dwordx4 v[22:25], v[26:27]
	s_waitcnt vmcnt(0) lgkmcnt(0)
	ds_write_b128 v20, v[22:25] offset:13056
	s_waitcnt lgkmcnt(0)
	s_barrier
	ds_read2_b64 v[22:25], v19 offset1:4
	ds_read2_b64 v[30:33], v21 offset0:64 offset1:68
	s_waitcnt lgkmcnt(1)
	v_mfma_f32_16x16x16_f16 v[26:29], v[22:23], v[12:13], 0
	s_waitcnt lgkmcnt(0)
	v_mfma_f32_16x16x16_f16 v[40:43], v[30:31], v[12:13], 0
	v_mfma_f32_16x16x16_f16 v[22:25], v[24:25], v[14:15], v[26:29]
	;; [unrolled: 1-line block ×3, first 2 shown]
	s_nop 2
	ds_read2_b64 v[26:29], v19 offset0:8 offset1:12
	ds_read2_b64 v[30:33], v21 offset0:72 offset1:76
	s_waitcnt lgkmcnt(1)
	v_mfma_f32_16x16x16_f16 v[22:25], v[26:27], v[8:9], v[22:25]
	s_waitcnt lgkmcnt(0)
	v_mfma_f32_16x16x16_f16 v[12:15], v[30:31], v[8:9], v[12:15]
	v_mfma_f32_16x16x16_f16 v[22:25], v[28:29], v[10:11], v[22:25]
	ds_read2_b64 v[26:29], v21 offset0:80 offset1:84
	v_mfma_f32_16x16x16_f16 v[8:11], v[32:33], v[10:11], v[12:15]
	s_nop 3
	ds_read2_b64 v[12:15], v19 offset0:16 offset1:20
	s_waitcnt lgkmcnt(0)
	v_mfma_f32_16x16x16_f16 v[22:25], v[12:13], v[4:5], v[22:25]
	v_mfma_f32_16x16x16_f16 v[8:11], v[26:27], v[4:5], v[8:11]
	;; [unrolled: 1-line block ×4, first 2 shown]
	s_nop 3
	ds_read2_b64 v[22:25], v21 offset0:88 offset1:92
	ds_read2_b64 v[8:11], v19 offset0:24 offset1:28
	s_waitcnt lgkmcnt(0)
	v_mfma_f32_16x16x16_f16 v[12:15], v[8:9], v[0:1], v[12:15]
	s_barrier
	v_mfma_f32_16x16x16_f16 v[26:29], v[22:23], v[0:1], v[4:7]
	v_mfma_f32_16x16x16_f16 v[4:7], v[10:11], v[2:3], v[12:15]
                                        ; implicit-def: $vgpr11
	v_mfma_f32_16x16x16_f16 v[0:3], v[24:25], v[2:3], v[26:29]
	s_nop 5
	v_cmp_nlt_f32_e64 s[2:3], |v4|, s2
	s_and_saveexec_b64 s[14:15], s[2:3]
	s_xor_b64 s[2:3], exec, s[14:15]
	s_cbranch_execz .LBB25_555
; %bb.554:
	v_add_f32_e64 v8, |v4|, |v4|
	v_mul_f32_e32 v9, 0x3fb8aa3b, v8
	s_mov_b32 s11, 0x3fb8aa3b
	v_rndne_f32_e32 v10, v9
	v_sub_f32_e32 v11, v9, v10
	v_fma_f32 v9, v8, s11, -v9
	v_fmamk_f32 v9, v8, 0x32a5705f, v9
	v_add_f32_e32 v9, v11, v9
	v_exp_f32_e32 v9, v9
	v_cvt_i32_f32_e32 v10, v10
	s_mov_b32 s11, 0xc2ce8ed0
	v_cmp_ngt_f32_e32 vcc, s11, v8
	s_mov_b32 s11, 0x42b17218
	v_ldexp_f32 v9, v9, v10
	v_cndmask_b32_e32 v9, 0, v9, vcc
	v_mov_b32_e32 v10, 0x7f800000
	v_cmp_nlt_f32_e32 vcc, s11, v8
	s_nop 1
	v_cndmask_b32_e32 v8, v10, v9, vcc
	v_add_f32_e32 v8, 1.0, v8
	v_rcp_f32_e32 v8, v8
	s_nop 0
	v_fma_f32 v11, v8, -2.0, 1.0
.LBB25_555:
	s_andn2_saveexec_b64 s[2:3], s[2:3]
; %bb.556:
	v_mul_f32_e32 v8, v4, v4
	v_mov_b32_e32 v9, 0x3ca908c9
	v_fmac_f32_e32 v9, 0xbbbac73d, v8
	v_fmaak_f32 v9, v8, v9, 0xbd5c1c4e
	v_fmaak_f32 v9, v8, v9, 0x3e088382
	;; [unrolled: 1-line block ×3, first 2 shown]
	v_mul_f32_e64 v9, |v4|, v9
	v_fma_f32 v11, v8, v9, |v4|
; %bb.557:
	s_or_b64 exec, exec, s[2:3]
	s_mov_b32 s2, 0x3f200000
	v_cmp_nlt_f32_e64 s[2:3], |v5|, s2
                                        ; implicit-def: $vgpr13
	s_and_saveexec_b64 s[14:15], s[2:3]
	s_xor_b64 s[2:3], exec, s[14:15]
	s_cbranch_execz .LBB25_559
; %bb.558:
	v_add_f32_e64 v8, |v5|, |v5|
	v_mul_f32_e32 v9, 0x3fb8aa3b, v8
	s_mov_b32 s11, 0x3fb8aa3b
	v_rndne_f32_e32 v10, v9
	v_sub_f32_e32 v12, v9, v10
	v_fma_f32 v9, v8, s11, -v9
	v_fmamk_f32 v9, v8, 0x32a5705f, v9
	v_add_f32_e32 v9, v12, v9
	v_exp_f32_e32 v9, v9
	v_cvt_i32_f32_e32 v10, v10
	s_mov_b32 s11, 0xc2ce8ed0
	v_cmp_ngt_f32_e32 vcc, s11, v8
	s_mov_b32 s11, 0x42b17218
	v_ldexp_f32 v9, v9, v10
	v_cndmask_b32_e32 v9, 0, v9, vcc
	v_mov_b32_e32 v10, 0x7f800000
	v_cmp_nlt_f32_e32 vcc, s11, v8
	s_nop 1
	v_cndmask_b32_e32 v8, v10, v9, vcc
	v_add_f32_e32 v8, 1.0, v8
	v_rcp_f32_e32 v8, v8
	s_nop 0
	v_fma_f32 v13, v8, -2.0, 1.0
.LBB25_559:
	s_andn2_saveexec_b64 s[2:3], s[2:3]
; %bb.560:
	v_mul_f32_e32 v8, v5, v5
	v_mov_b32_e32 v9, 0x3ca908c9
	v_fmac_f32_e32 v9, 0xbbbac73d, v8
	v_fmaak_f32 v9, v8, v9, 0xbd5c1c4e
	v_fmaak_f32 v9, v8, v9, 0x3e088382
	;; [unrolled: 1-line block ×3, first 2 shown]
	v_mul_f32_e64 v9, |v5|, v9
	v_fma_f32 v13, v8, v9, |v5|
; %bb.561:
	s_or_b64 exec, exec, s[2:3]
	s_mov_b32 s2, 0x3f200000
	v_cmp_nlt_f32_e64 s[2:3], |v6|, s2
                                        ; implicit-def: $vgpr14
	s_and_saveexec_b64 s[14:15], s[2:3]
	s_xor_b64 s[2:3], exec, s[14:15]
	s_cbranch_execz .LBB25_563
; %bb.562:
	v_add_f32_e64 v8, |v6|, |v6|
	v_mul_f32_e32 v9, 0x3fb8aa3b, v8
	s_mov_b32 s11, 0x3fb8aa3b
	v_rndne_f32_e32 v10, v9
	v_sub_f32_e32 v12, v9, v10
	v_fma_f32 v9, v8, s11, -v9
	v_fmamk_f32 v9, v8, 0x32a5705f, v9
	v_add_f32_e32 v9, v12, v9
	v_exp_f32_e32 v9, v9
	v_cvt_i32_f32_e32 v10, v10
	s_mov_b32 s11, 0xc2ce8ed0
	v_cmp_ngt_f32_e32 vcc, s11, v8
	s_mov_b32 s11, 0x42b17218
	v_ldexp_f32 v9, v9, v10
	v_cndmask_b32_e32 v9, 0, v9, vcc
	v_mov_b32_e32 v10, 0x7f800000
	v_cmp_nlt_f32_e32 vcc, s11, v8
	s_nop 1
	v_cndmask_b32_e32 v8, v10, v9, vcc
	v_add_f32_e32 v8, 1.0, v8
	v_rcp_f32_e32 v8, v8
	s_nop 0
	v_fma_f32 v14, v8, -2.0, 1.0
.LBB25_563:
	s_andn2_saveexec_b64 s[2:3], s[2:3]
; %bb.564:
	v_mul_f32_e32 v8, v6, v6
	v_mov_b32_e32 v9, 0x3ca908c9
	v_fmac_f32_e32 v9, 0xbbbac73d, v8
	v_fmaak_f32 v9, v8, v9, 0xbd5c1c4e
	v_fmaak_f32 v9, v8, v9, 0x3e088382
	;; [unrolled: 1-line block ×3, first 2 shown]
	v_mul_f32_e64 v9, |v6|, v9
	v_fma_f32 v14, v8, v9, |v6|
; %bb.565:
	s_or_b64 exec, exec, s[2:3]
	s_mov_b32 s2, 0x3f200000
	v_cmp_nlt_f32_e64 s[2:3], |v7|, s2
                                        ; implicit-def: $vgpr15
	s_and_saveexec_b64 s[14:15], s[2:3]
	s_xor_b64 s[2:3], exec, s[14:15]
	s_cbranch_execz .LBB25_567
; %bb.566:
	v_add_f32_e64 v8, |v7|, |v7|
	v_mul_f32_e32 v9, 0x3fb8aa3b, v8
	s_mov_b32 s11, 0x3fb8aa3b
	v_rndne_f32_e32 v10, v9
	v_sub_f32_e32 v12, v9, v10
	v_fma_f32 v9, v8, s11, -v9
	v_fmamk_f32 v9, v8, 0x32a5705f, v9
	v_add_f32_e32 v9, v12, v9
	v_exp_f32_e32 v9, v9
	v_cvt_i32_f32_e32 v10, v10
	s_mov_b32 s11, 0xc2ce8ed0
	v_cmp_ngt_f32_e32 vcc, s11, v8
	s_mov_b32 s11, 0x42b17218
	v_ldexp_f32 v9, v9, v10
	v_cndmask_b32_e32 v9, 0, v9, vcc
	v_mov_b32_e32 v10, 0x7f800000
	v_cmp_nlt_f32_e32 vcc, s11, v8
	s_nop 1
	v_cndmask_b32_e32 v8, v10, v9, vcc
	v_add_f32_e32 v8, 1.0, v8
	v_rcp_f32_e32 v8, v8
	s_nop 0
	v_fma_f32 v15, v8, -2.0, 1.0
.LBB25_567:
	s_andn2_saveexec_b64 s[2:3], s[2:3]
; %bb.568:
	v_mul_f32_e32 v8, v7, v7
	v_mov_b32_e32 v9, 0x3ca908c9
	v_fmac_f32_e32 v9, 0xbbbac73d, v8
	v_fmaak_f32 v9, v8, v9, 0xbd5c1c4e
	v_fmaak_f32 v9, v8, v9, 0x3e088382
	;; [unrolled: 1-line block ×3, first 2 shown]
	v_mul_f32_e64 v9, |v7|, v9
	v_fma_f32 v15, v8, v9, |v7|
; %bb.569:
	s_or_b64 exec, exec, s[2:3]
	s_mov_b32 s2, 0x3f200000
	v_cmp_nlt_f32_e64 s[2:3], |v0|, s2
                                        ; implicit-def: $vgpr8
	s_and_saveexec_b64 s[14:15], s[2:3]
	s_xor_b64 s[2:3], exec, s[14:15]
	s_cbranch_execz .LBB25_571
; %bb.570:
	v_add_f32_e64 v8, |v0|, |v0|
	v_mul_f32_e32 v9, 0x3fb8aa3b, v8
	s_mov_b32 s11, 0x3fb8aa3b
	v_rndne_f32_e32 v10, v9
	v_sub_f32_e32 v12, v9, v10
	v_fma_f32 v9, v8, s11, -v9
	v_fmamk_f32 v9, v8, 0x32a5705f, v9
	v_add_f32_e32 v9, v12, v9
	v_exp_f32_e32 v9, v9
	v_cvt_i32_f32_e32 v10, v10
	s_mov_b32 s11, 0xc2ce8ed0
	v_cmp_ngt_f32_e32 vcc, s11, v8
	s_mov_b32 s11, 0x42b17218
	v_ldexp_f32 v9, v9, v10
	v_cndmask_b32_e32 v9, 0, v9, vcc
	v_mov_b32_e32 v10, 0x7f800000
	v_cmp_nlt_f32_e32 vcc, s11, v8
	s_nop 1
	v_cndmask_b32_e32 v8, v10, v9, vcc
	v_add_f32_e32 v8, 1.0, v8
	v_rcp_f32_e32 v8, v8
	s_nop 0
	v_fma_f32 v8, v8, -2.0, 1.0
.LBB25_571:
	s_andn2_saveexec_b64 s[2:3], s[2:3]
; %bb.572:
	v_mul_f32_e32 v8, v0, v0
	v_mov_b32_e32 v9, 0x3ca908c9
	v_fmac_f32_e32 v9, 0xbbbac73d, v8
	v_fmaak_f32 v9, v8, v9, 0xbd5c1c4e
	v_fmaak_f32 v9, v8, v9, 0x3e088382
	;; [unrolled: 1-line block ×3, first 2 shown]
	v_mul_f32_e64 v9, |v0|, v9
	v_fma_f32 v8, v8, v9, |v0|
; %bb.573:
	s_or_b64 exec, exec, s[2:3]
	s_mov_b32 s2, 0x3f200000
	v_cmp_nlt_f32_e64 s[2:3], |v1|, s2
                                        ; implicit-def: $vgpr9
	s_and_saveexec_b64 s[14:15], s[2:3]
	s_xor_b64 s[2:3], exec, s[14:15]
	s_cbranch_execz .LBB25_575
; %bb.574:
	v_add_f32_e64 v9, |v1|, |v1|
	v_mul_f32_e32 v10, 0x3fb8aa3b, v9
	s_mov_b32 s11, 0x3fb8aa3b
	v_rndne_f32_e32 v12, v10
	v_sub_f32_e32 v19, v10, v12
	v_fma_f32 v10, v9, s11, -v10
	v_fmamk_f32 v10, v9, 0x32a5705f, v10
	v_add_f32_e32 v10, v19, v10
	v_exp_f32_e32 v10, v10
	v_cvt_i32_f32_e32 v12, v12
	s_mov_b32 s11, 0xc2ce8ed0
	v_cmp_ngt_f32_e32 vcc, s11, v9
	s_mov_b32 s11, 0x42b17218
	v_ldexp_f32 v10, v10, v12
	v_cndmask_b32_e32 v10, 0, v10, vcc
	v_mov_b32_e32 v12, 0x7f800000
	v_cmp_nlt_f32_e32 vcc, s11, v9
	s_nop 1
	v_cndmask_b32_e32 v9, v12, v10, vcc
	v_add_f32_e32 v9, 1.0, v9
	v_rcp_f32_e32 v9, v9
	s_nop 0
	v_fma_f32 v9, v9, -2.0, 1.0
.LBB25_575:
	s_andn2_saveexec_b64 s[2:3], s[2:3]
; %bb.576:
	v_mul_f32_e32 v9, v1, v1
	v_mov_b32_e32 v10, 0x3ca908c9
	v_fmac_f32_e32 v10, 0xbbbac73d, v9
	v_fmaak_f32 v10, v9, v10, 0xbd5c1c4e
	v_fmaak_f32 v10, v9, v10, 0x3e088382
	;; [unrolled: 1-line block ×3, first 2 shown]
	v_mul_f32_e64 v10, |v1|, v10
	v_fma_f32 v9, v9, v10, |v1|
; %bb.577:
	s_or_b64 exec, exec, s[2:3]
	s_mov_b32 s2, 0x3f200000
	v_cmp_nlt_f32_e64 s[2:3], |v2|, s2
                                        ; implicit-def: $vgpr10
	s_and_saveexec_b64 s[14:15], s[2:3]
	s_xor_b64 s[2:3], exec, s[14:15]
	s_cbranch_execz .LBB25_579
; %bb.578:
	v_add_f32_e64 v10, |v2|, |v2|
	v_mul_f32_e32 v12, 0x3fb8aa3b, v10
	s_mov_b32 s11, 0x3fb8aa3b
	v_rndne_f32_e32 v19, v12
	v_sub_f32_e32 v21, v12, v19
	v_fma_f32 v12, v10, s11, -v12
	v_fmamk_f32 v12, v10, 0x32a5705f, v12
	v_add_f32_e32 v12, v21, v12
	v_exp_f32_e32 v12, v12
	v_cvt_i32_f32_e32 v19, v19
	s_mov_b32 s11, 0xc2ce8ed0
	v_cmp_ngt_f32_e32 vcc, s11, v10
	s_mov_b32 s11, 0x42b17218
	v_ldexp_f32 v12, v12, v19
	v_cndmask_b32_e32 v12, 0, v12, vcc
	v_mov_b32_e32 v19, 0x7f800000
	v_cmp_nlt_f32_e32 vcc, s11, v10
	s_nop 1
	v_cndmask_b32_e32 v10, v19, v12, vcc
	v_add_f32_e32 v10, 1.0, v10
	v_rcp_f32_e32 v10, v10
	s_nop 0
	v_fma_f32 v10, v10, -2.0, 1.0
.LBB25_579:
	s_andn2_saveexec_b64 s[2:3], s[2:3]
; %bb.580:
	v_mul_f32_e32 v10, v2, v2
	v_mov_b32_e32 v12, 0x3ca908c9
	v_fmac_f32_e32 v12, 0xbbbac73d, v10
	v_fmaak_f32 v12, v10, v12, 0xbd5c1c4e
	v_fmaak_f32 v12, v10, v12, 0x3e088382
	;; [unrolled: 1-line block ×3, first 2 shown]
	v_mul_f32_e64 v12, |v2|, v12
	v_fma_f32 v10, v10, v12, |v2|
; %bb.581:
	s_or_b64 exec, exec, s[2:3]
	s_mov_b32 s2, 0x3f200000
	v_cmp_nlt_f32_e64 s[2:3], |v3|, s2
                                        ; implicit-def: $vgpr19
	s_and_saveexec_b64 s[14:15], s[2:3]
	s_xor_b64 s[2:3], exec, s[14:15]
	s_cbranch_execz .LBB25_583
; %bb.582:
	v_add_f32_e64 v12, |v3|, |v3|
	v_mul_f32_e32 v19, 0x3fb8aa3b, v12
	s_mov_b32 s11, 0x3fb8aa3b
	v_rndne_f32_e32 v21, v19
	v_sub_f32_e32 v22, v19, v21
	v_fma_f32 v19, v12, s11, -v19
	v_fmamk_f32 v19, v12, 0x32a5705f, v19
	v_add_f32_e32 v19, v22, v19
	v_exp_f32_e32 v19, v19
	v_cvt_i32_f32_e32 v21, v21
	s_mov_b32 s11, 0xc2ce8ed0
	v_cmp_ngt_f32_e32 vcc, s11, v12
	s_mov_b32 s11, 0x42b17218
	v_ldexp_f32 v19, v19, v21
	v_cndmask_b32_e32 v19, 0, v19, vcc
	v_mov_b32_e32 v21, 0x7f800000
	v_cmp_nlt_f32_e32 vcc, s11, v12
	s_nop 1
	v_cndmask_b32_e32 v12, v21, v19, vcc
	v_add_f32_e32 v12, 1.0, v12
	v_rcp_f32_e32 v12, v12
	s_nop 0
	v_fma_f32 v19, v12, -2.0, 1.0
.LBB25_583:
	s_andn2_saveexec_b64 s[2:3], s[2:3]
; %bb.584:
	v_mul_f32_e32 v12, v3, v3
	v_mov_b32_e32 v19, 0x3ca908c9
	v_fmac_f32_e32 v19, 0xbbbac73d, v12
	v_fmaak_f32 v19, v12, v19, 0xbd5c1c4e
	v_fmaak_f32 v19, v12, v19, 0x3e088382
	;; [unrolled: 1-line block ×3, first 2 shown]
	v_mul_f32_e64 v19, |v3|, v19
	v_fma_f32 v19, v12, v19, |v3|
; %bb.585:
	s_or_b64 exec, exec, s[2:3]
	s_brev_b32 s2, -2
	v_bfi_b32 v0, s2, v8, v0
	v_mul_f32_e32 v8, s93, v0
	v_bfi_b32 v0, s2, v9, v1
	v_mul_f32_e32 v9, s93, v0
	;; [unrolled: 2-line block ×8, first 2 shown]
	s_and_b64 vcc, exec, s[12:13]
	s_cbranch_vccz .LBB25_587
; %bb.586:
	v_lshrrev_b32_e32 v27, 2, v36
	v_and_b32_e32 v26, 0xfc, v27
	v_add_u16_e32 v0, v17, v26
	v_add_u32_e32 v25, v17, v26
	s_movk_i32 s2, 0x90
	v_lshrrev_b16_e32 v0, 1, v0
	v_mad_u32_u24 v2, v102, s2, 0
	v_lshlrev_b32_e32 v0, 2, v0
	s_movk_i32 s2, 0x4400
	v_add_u32_e32 v23, 32, v25
	v_add_u32_e32 v24, 34, v25
	v_add3_u32 v0, v2, v0, s2
	v_lshl_add_u32 v3, v23, 1, v2
	v_lshl_add_u32 v2, v24, 1, v2
	ds_read2_b32 v[0:1], v0 offset1:1
	ds_read_b32 v3, v3 offset:17408
	ds_read_b32 v2, v2 offset:17408
	s_mov_b64 s[2:3], 0
	s_waitcnt lgkmcnt(2)
	v_cvt_f32_f16_e32 v4, v0
	v_cvt_f32_f16_sdwa v5, v0 dst_sel:DWORD dst_unused:UNUSED_PAD src0_sel:WORD_1
	v_cvt_f32_f16_e32 v0, v1
	v_cvt_f32_f16_sdwa v1, v1 dst_sel:DWORD dst_unused:UNUSED_PAD src0_sel:WORD_1
	s_waitcnt lgkmcnt(1)
	v_cvt_f32_f16_e32 v28, v3
	s_waitcnt lgkmcnt(0)
	v_cvt_f32_f16_e32 v6, v2
	v_cvt_f32_f16_sdwa v7, v2 dst_sel:DWORD dst_unused:UNUSED_PAD src0_sel:WORD_1
	v_cvt_f32_f16_sdwa v29, v3 dst_sel:DWORD dst_unused:UNUSED_PAD src0_sel:WORD_1
	v_pk_fma_f32 v[2:3], v[38:39], v[0:1], v[14:15] op_sel_hi:[0,1,1]
	v_pk_fma_f32 v[0:1], v[38:39], v[4:5], v[12:13] op_sel_hi:[0,1,1]
	;; [unrolled: 1-line block ×4, first 2 shown]
	s_branch .LBB25_588
.LBB25_587:
	s_mov_b64 s[2:3], -1
                                        ; implicit-def: $vgpr0_vgpr1_vgpr2_vgpr3
                                        ; implicit-def: $vgpr4_vgpr5_vgpr6_vgpr7
                                        ; implicit-def: $vgpr27
                                        ; implicit-def: $vgpr26
                                        ; implicit-def: $vgpr25
                                        ; implicit-def: $vgpr23
                                        ; implicit-def: $vgpr24
.LBB25_588:
	v_add_u32_e32 v29, 0x1100, v20
	v_add_u32_e32 v22, 0x2200, v20
	s_andn2_b64 vcc, exec, s[2:3]
	v_add_u32_e32 v21, 0x3300, v20
	s_cbranch_vccnz .LBB25_590
; %bb.589:
	v_and_b32_e32 v26, 0xfc, v101
	v_add_u32_e32 v25, v17, v26
	v_mov_b64_e32 v[4:5], v[8:9]
	v_mov_b64_e32 v[0:1], v[12:13]
	v_add_u32_e32 v23, 32, v25
	v_add_u32_e32 v24, 34, v25
	v_mov_b32_e32 v27, v101
	v_mov_b64_e32 v[6:7], v[10:11]
	v_mov_b64_e32 v[2:3], v[14:15]
.LBB25_590:
	s_mul_hi_i32 s3, s10, s76
	s_mul_i32 s2, s10, s76
	s_lshl_b64 s[2:3], s[2:3], 2
	s_add_u32 s2, s33, s2
	v_mul_lo_u32 v8, s76, v18
	s_addc_u32 s3, s38, s3
	v_ashrrev_i32_e32 v9, 31, v8
	s_mov_b64 s[10:11], src_private_base
	v_lshl_add_u64 v[10:11], v[8:9], 2, s[2:3]
	v_mov_b32_e32 v17, 0
	v_lshl_add_u64 v[10:11], v[10:11], 0, v[16:17]
	v_mov_b32_e32 v33, s11
	v_mov_b32_e32 v39, 0
	v_cndmask_b32_e64 v11, v33, v11, s[6:7]
	v_cndmask_b32_e64 v10, v39, v10, s[6:7]
	s_lshl_b32 s6, s76, 4
	v_add_u32_e32 v8, s6, v8
	v_ashrrev_i32_e32 v9, 31, v8
	v_lshl_add_u64 v[12:13], v[8:9], 2, s[2:3]
	v_add_u32_e32 v8, s6, v8
	v_ashrrev_i32_e32 v9, 31, v8
	v_lshl_add_u64 v[14:15], v[8:9], 2, s[2:3]
	;; [unrolled: 3-line block ×3, first 2 shown]
	v_lshl_add_u64 v[12:13], v[12:13], 0, v[16:17]
	v_lshl_add_u64 v[30:31], v[14:15], 0, v[16:17]
	;; [unrolled: 1-line block ×3, first 2 shown]
	v_mov_b32_e32 v16, v17
	v_mov_b32_e32 v18, v17
	;; [unrolled: 1-line block ×3, first 2 shown]
	scratch_store_dwordx4 off, v[16:19], off
	flat_load_dwordx4 v[8:11], v[10:11]
	v_cndmask_b32_e64 v13, v33, v13, s[4:5]
	v_cndmask_b32_e64 v12, v39, v12, s[4:5]
	v_add_f32_e32 v15, 0x40051340, v0
	v_max_f32_e32 v16, v35, v35
	v_mbcnt_hi_u32_b32 v32, -1, v84
	v_max_f32_e32 v16, v16, v15
	v_and_b32_e32 v28, 64, v32
	v_cmp_gt_u32_e64 s[14:15], s18, v25
	v_add_u32_e32 v17, 1, v25
	v_add_u32_e32 v19, 2, v25
	;; [unrolled: 1-line block ×5, first 2 shown]
	v_xor_b32_e32 v38, 32, v32
	v_cndmask_b32_e64 v25, v35, v16, s[14:15]
	v_add_u32_e32 v59, 64, v28
	v_add_f32_e32 v18, 0x40051340, v1
	v_xor_b32_e32 v56, 16, v32
	v_max_f32_e32 v62, v25, v25
	v_cmp_lt_i32_e32 vcc, v38, v59
	v_max_f32_e32 v18, v62, v18
	v_cmp_gt_u32_e64 s[12:13], s18, v17
	v_cndmask_b32_e32 v38, v32, v38, vcc
	v_cmp_lt_i32_e32 vcc, v56, v59
	v_cndmask_b32_e64 v17, v25, v18, s[12:13]
	v_add_f32_e32 v46, 0x40051340, v2
	v_cndmask_b32_e32 v56, v32, v56, vcc
	v_lshlrev_b32_e32 v32, 2, v38
	v_lshlrev_b32_e32 v38, 2, v56
	v_cndmask_b32_e64 v56, v2, v2, s[12:13]
	v_max_f32_e32 v2, v17, v17
	v_max_f32_e32 v2, v2, v46
	v_cmp_gt_u32_e64 s[10:11], s18, v19
	v_add_f32_e32 v48, 0x40051340, v3
	v_cndmask_b32_e64 v25, v3, v3, s[12:13]
	v_cndmask_b32_e64 v17, v17, v2, s[10:11]
	;; [unrolled: 1-line block ×4, first 2 shown]
	v_max_f32_e32 v18, v17, v17
	v_max_f32_e32 v18, v18, v48
	v_cmp_gt_u32_e64 s[8:9], s18, v47
	v_add_f32_e32 v49, 0x40051340, v4
	s_mov_b32 s6, 0
	v_cndmask_b32_e64 v17, v17, v18, s[8:9]
	v_max_f32_e32 v18, v17, v17
	v_mov_b32_e32 v15, s6
	v_max_f32_e32 v18, v18, v49
	v_add_f32_e32 v51, 0x40051340, v5
	v_cmp_gt_u32_e64 s[4:5], s18, v50
	v_add_f32_e32 v52, 0x40051340, v6
	v_cmp_gt_u32_e64 s[16:17], s18, v24
	v_add_f32_e32 v54, 0x40051340, v7
	v_cmp_gt_u32_e32 vcc, s18, v53
	s_mov_b32 s22, 0x3fb8aa3b
	v_cndmask_b32_e64 v19, v33, v45, s[0:1]
	s_mov_b32 s21, 0xc2ce8ed0
	s_mov_b32 s20, 0x42b17218
	v_mov_b32_e32 v55, 0x7f800000
	s_mov_b32 s19, 0xc1a00000
	v_or_b32_e32 v27, 3, v27
	s_movk_i32 s3, 0x220
	v_mul_u32_u24_e32 v14, 0x220, v83
	v_mul_i32_i24_e32 v27, 0x110, v27
	v_mad_u32_u24 v57, v83, s3, 0
	v_add3_u32 v58, 0, 32, v14
	v_add3_u32 v16, v57, v27, v82
	;; [unrolled: 1-line block ×3, first 2 shown]
	s_mov_b32 s2, 0x5040100
	v_add3_u32 v14, 0, 64, v14
	s_waitcnt vmcnt(0) lgkmcnt(0)
	ds_write_b128 v20, v[8:11]
	flat_load_dwordx4 v[40:43], v[12:13]
	v_mov_b32_e32 v8, s6
	v_mov_b32_e32 v9, s6
	;; [unrolled: 1-line block ×6, first 2 shown]
	v_cmp_gt_u32_e64 s[6:7], s18, v23
	v_mul_u32_u24_e32 v20, 0x88, v26
	v_or_b32_e32 v20, v20, v80
	v_cndmask_b32_e64 v17, v17, v18, s[6:7]
	v_max_f32_e32 v18, v17, v17
	v_max_f32_e32 v18, v18, v51
	v_cndmask_b32_e64 v17, v17, v18, s[4:5]
	v_max_f32_e32 v18, v17, v17
	v_max_f32_e32 v18, v18, v52
	;; [unrolled: 3-line block ×3, first 2 shown]
	v_cndmask_b32_e32 v17, v17, v18, vcc
	ds_bpermute_b32 v23, v32, v17
	v_max_f32_e32 v17, v17, v17
	v_cndmask_b32_e64 v18, v39, v44, s[0:1]
	v_cndmask_b32_e64 v7, v7, v7, s[6:7]
	;; [unrolled: 1-line block ×3, first 2 shown]
	s_waitcnt lgkmcnt(0)
	v_max_f32_e32 v23, v23, v23
	v_max_f32_e32 v17, v17, v23
	ds_bpermute_b32 v23, v38, v17
	v_mul_u32_u24_e32 v26, 0x110, v26
	v_lshlrev_b32_e32 v28, 1, v20
	v_add3_u32 v20, v57, v26, v82
	v_add3_u32 v60, v58, v26, v82
	v_add_u32_e32 v57, v57, v28
	v_add_u32_e32 v58, v58, v28
	s_waitcnt vmcnt(0)
	ds_write_b128 v29, v[40:43]
	flat_load_dwordx4 v[40:43], v[2:3]
	s_waitcnt lgkmcnt(0)
	v_max_f32_e32 v3, v23, v23
	v_cndmask_b32_e64 v2, v5, v5, s[6:7]
	v_max_f32_e32 v5, v17, v3
	v_sub_f32_e32 v0, v0, v5
	v_sub_f32_e32 v1, v1, v5
	;; [unrolled: 1-line block ×4, first 2 shown]
	v_mul_f32_e32 v23, 0x3fb8aa3b, v0
	v_mul_f32_e32 v24, 0x3fb8aa3b, v1
	;; [unrolled: 1-line block ×3, first 2 shown]
	v_fma_f32 v45, v0, s22, -v23
	v_rndne_f32_e32 v46, v23
	v_fma_f32 v47, v1, s22, -v24
	v_rndne_f32_e32 v48, v24
	;; [unrolled: 2-line block ×3, first 2 shown]
	v_fmac_f32_e32 v45, 0x32a5705f, v0
	v_sub_f32_e32 v23, v23, v46
	v_fmac_f32_e32 v47, 0x32a5705f, v1
	v_sub_f32_e32 v24, v24, v48
	;; [unrolled: 2-line block ×3, first 2 shown]
	v_add_f32_e32 v23, v23, v45
	v_add_f32_e32 v24, v24, v47
	;; [unrolled: 1-line block ×3, first 2 shown]
	v_exp_f32_e32 v45, v23
	v_exp_f32_e32 v47, v24
	;; [unrolled: 1-line block ×3, first 2 shown]
	v_sub_f32_e32 v4, v4, v5
	v_sub_f32_e32 v2, v2, v5
	;; [unrolled: 1-line block ×3, first 2 shown]
	v_mul_f32_e32 v30, 0x3fb8aa3b, v17
	v_mul_f32_e32 v31, 0x3fb8aa3b, v4
	;; [unrolled: 1-line block ×4, first 2 shown]
	v_fma_f32 v51, v17, s22, -v30
	v_rndne_f32_e32 v52, v30
	v_cvt_i32_f32_e32 v46, v46
	v_sub_f32_e32 v6, v6, v5
	v_fma_f32 v53, v4, s22, -v31
	v_rndne_f32_e32 v54, v31
	v_fma_f32 v56, v2, s22, -v33
	v_rndne_f32_e32 v59, v33
	v_fma_f32 v64, v7, s22, -v39
	v_rndne_f32_e32 v65, v39
	v_cvt_i32_f32_e32 v48, v48
	v_fmac_f32_e32 v51, 0x32a5705f, v17
	v_sub_f32_e32 v30, v30, v52
	v_sub_f32_e32 v29, v35, v5
	v_mul_f32_e32 v35, 0x3fb8aa3b, v6
	v_cvt_i32_f32_e32 v50, v50
	v_fmac_f32_e32 v53, 0x32a5705f, v4
	v_sub_f32_e32 v31, v31, v54
	v_fmac_f32_e32 v56, 0x32a5705f, v2
	v_sub_f32_e32 v33, v33, v59
	;; [unrolled: 2-line block ×3, first 2 shown]
	v_add_f32_e32 v30, v30, v51
	v_fma_f32 v62, v6, s22, -v35
	v_rndne_f32_e32 v63, v35
	v_cvt_i32_f32_e32 v52, v52
	v_add_f32_e32 v31, v31, v53
	v_add_f32_e32 v33, v33, v56
	;; [unrolled: 1-line block ×3, first 2 shown]
	v_exp_f32_e32 v30, v30
	v_mul_f32_e32 v44, 0x3fb8aa3b, v29
	v_cvt_i32_f32_e32 v54, v54
	v_fmac_f32_e32 v62, 0x32a5705f, v6
	v_sub_f32_e32 v35, v35, v63
	v_cmp_ngt_f32_e64 s[0:1], s21, v0
	v_fma_f32 v66, v29, s22, -v44
	v_rndne_f32_e32 v67, v44
	v_cvt_i32_f32_e32 v59, v59
	v_add_f32_e32 v35, v35, v62
	v_cvt_i32_f32_e32 v63, v63
	v_fmac_f32_e32 v66, 0x32a5705f, v29
	v_sub_f32_e32 v44, v44, v67
	v_cvt_i32_f32_e32 v65, v65
	v_add_f32_e32 v44, v44, v66
	s_waitcnt vmcnt(0)
	ds_write_b128 v22, v[40:43]
	flat_load_dwordx4 v[22:25], v[18:19]
	v_exp_f32_e32 v18, v31
	v_exp_f32_e32 v19, v33
	;; [unrolled: 1-line block ×3, first 2 shown]
	v_ldexp_f32 v39, v45, v46
	v_ldexp_f32 v40, v47, v48
	v_cndmask_b32_e64 v39, 0, v39, s[0:1]
	v_cmp_ngt_f32_e64 s[0:1], s21, v1
	v_exp_f32_e32 v31, v35
	v_ldexp_f32 v41, v49, v50
	v_cndmask_b32_e64 v40, 0, v40, s[0:1]
	v_cmp_ngt_f32_e64 s[0:1], s21, v3
	v_ldexp_f32 v30, v30, v52
	v_cvt_i32_f32_e32 v67, v67
	v_cndmask_b32_e64 v41, 0, v41, s[0:1]
	v_cmp_ngt_f32_e64 s[0:1], s21, v17
	v_exp_f32_e32 v35, v44
	v_ldexp_f32 v18, v18, v54
	v_cndmask_b32_e64 v30, 0, v30, s[0:1]
	v_cmp_ngt_f32_e64 s[0:1], s21, v4
	v_ldexp_f32 v19, v19, v59
	v_ldexp_f32 v31, v31, v63
	v_cndmask_b32_e64 v18, 0, v18, s[0:1]
	v_cmp_ngt_f32_e64 s[0:1], s21, v2
	v_ldexp_f32 v33, v33, v65
	v_ldexp_f32 v35, v35, v67
	v_cndmask_b32_e64 v19, 0, v19, s[0:1]
	v_cmp_ngt_f32_e64 s[0:1], s21, v6
	s_waitcnt vmcnt(0) lgkmcnt(0)
	ds_write_b128 v21, v[22:25]
	v_cndmask_b32_e64 v31, 0, v31, s[0:1]
	v_cmp_ngt_f32_e64 s[0:1], s21, v7
	s_waitcnt lgkmcnt(0)
	s_barrier
	v_cndmask_b32_e64 v33, 0, v33, s[0:1]
	v_cmp_ngt_f32_e64 s[0:1], s21, v29
	s_nop 1
	v_cndmask_b32_e64 v35, 0, v35, s[0:1]
	v_cmp_nlt_f32_e64 s[0:1], s20, v0
	s_nop 1
	v_cndmask_b32_e64 v0, v55, v39, s[0:1]
	v_cmp_nlt_f32_e64 s[0:1], s20, v1
	;; [unrolled: 3-line block ×5, first 2 shown]
	v_cndmask_b32_e64 v4, 0, v0, s[14:15]
	v_cndmask_b32_e64 v0, v15, v39, s[12:13]
	;; [unrolled: 1-line block ×3, first 2 shown]
	v_cmp_nlt_f32_e64 s[0:1], s20, v2
	v_cndmask_b32_e64 v2, v8, v40, s[10:11]
	v_cndmask_b32_e64 v3, v9, v42, s[8:9]
	;; [unrolled: 1-line block ×3, first 2 shown]
	v_cmp_nlt_f32_e64 s[0:1], s20, v6
	v_cvt_f16_f32_e32 v0, v0
	v_cvt_f16_f32_e32 v2, v2
	v_cndmask_b32_e64 v49, v55, v31, s[0:1]
	v_cmp_nlt_f32_e64 s[0:1], s20, v7
	v_cvt_f16_f32_e32 v3, v3
	v_cndmask_b32_e64 v6, v12, v43, s[6:7]
	v_cndmask_b32_e64 v33, v55, v33, s[0:1]
	v_cmp_nlt_f32_e64 s[0:1], s20, v29
	v_cndmask_b32_e64 v7, v11, v48, s[4:5]
	v_cndmask_b32_e64 v8, v10, v49, s[16:17]
	v_cndmask_b32_e64 v1, v55, v35, s[0:1]
	v_cmp_le_f32_e64 s[0:1], s19, v29
	v_cndmask_b32_e32 v9, v13, v33, vcc
	v_cvt_f16_f32_e32 v10, v6
	v_cndmask_b32_e64 v35, 0, v1, s[0:1]
	v_cvt_f16_f32_e32 v29, v35
	v_cvt_f16_f32_e32 v1, v4
	;; [unrolled: 1-line block ×4, first 2 shown]
	v_pk_mul_f16 v6, v29, v98 op_sel_hi:[0,1]
	v_pk_mul_f16 v7, v29, v97 op_sel_hi:[0,1]
	v_cvt_f16_f32_e32 v13, v9
	v_pack_b32_f16 v30, v1, v0
	v_pack_b32_f16 v31, v2, v3
	v_cvt_f32_f16_e32 v0, v6
	v_cvt_f32_f16_sdwa v1, v6 dst_sel:DWORD dst_unused:UNUSED_PAD src0_sel:WORD_1
	v_cvt_f32_f16_e32 v2, v7
	v_cvt_f32_f16_sdwa v3, v7 dst_sel:DWORD dst_unused:UNUSED_PAD src0_sel:WORD_1
	ds_read_u16 v18, v20 offset:304
	ds_read_u16 v21, v20 offset:336
	;; [unrolled: 1-line block ×12, first 2 shown]
	ds_read_u16 v7, v16
	ds_read_u16 v9, v20 offset:9248
	ds_read_u16 v44, v16 offset:8704
	;; [unrolled: 1-line block ×13, first 2 shown]
	ds_read_u16 v61, v57
	ds_read_u16 v62, v57 offset:32
	ds_read_u16 v63, v57 offset:64
	;; [unrolled: 1-line block ×8, first 2 shown]
	s_waitcnt lgkmcnt(14)
	v_perm_b32 v7, v7, v45, s2
	s_waitcnt lgkmcnt(8)
	v_perm_b32 v6, v6, v61, s2
	ds_read_u16 v45, v20 offset:8976
	v_perm_b32 v9, v44, v9, s2
	v_mfma_f32_16x16x16_f16 v[0:3], v[6:7], v[30:31], v[0:3]
	s_waitcnt lgkmcnt(0)
	v_perm_b32 v8, v45, v8, s2
	v_pk_mul_f16 v15, v29, v100 op_sel_hi:[0,1]
	v_pk_mul_f16 v17, v29, v99 op_sel_hi:[0,1]
	s_nop 2
	v_cvt_f16_f32_e32 v0, v0
	v_cvt_f16_f32_e32 v1, v1
	;; [unrolled: 1-line block ×4, first 2 shown]
	v_cvt_f32_f16_e32 v0, v0
	v_cvt_f32_f16_e32 v1, v1
	;; [unrolled: 1-line block ×4, first 2 shown]
	v_pack_b32_f16 v44, v10, v11
	v_pack_b32_f16 v45, v12, v13
	v_perm_b32 v11, v19, v54, s2
	v_perm_b32 v10, v18, v62, s2
	v_cvt_f32_f16_e32 v6, v15
	v_mfma_f32_16x16x16_f16 v[0:3], v[8:9], v[44:45], v[0:3]
	v_cvt_f32_f16_sdwa v7, v15 dst_sel:DWORD dst_unused:UNUSED_PAD src0_sel:WORD_1
	v_cvt_f32_f16_e32 v8, v17
	v_cvt_f32_f16_sdwa v9, v17 dst_sel:DWORD dst_unused:UNUSED_PAD src0_sel:WORD_1
	v_pk_mul_f16 v12, v29, v90 op_sel_hi:[0,1]
	v_pk_mul_f16 v13, v29, v89 op_sel_hi:[0,1]
	v_mfma_f32_16x16x16_f16 v[6:9], v[10:11], v[30:31], v[6:9]
	v_perm_b32 v11, v53, v52, s2
	v_perm_b32 v10, v51, v50, s2
	;; [unrolled: 1-line block ×4, first 2 shown]
	s_nop 2
	v_cvt_f16_f32_e32 v6, v6
	v_cvt_f16_f32_e32 v7, v7
	;; [unrolled: 1-line block ×4, first 2 shown]
	v_cvt_f32_f16_e32 v6, v6
	v_cvt_f32_f16_e32 v7, v7
	;; [unrolled: 1-line block ×4, first 2 shown]
	s_add_i32 s0, 0, 0x60
	v_add_u32_e32 v15, v14, v28
	v_mfma_f32_16x16x16_f16 v[6:9], v[10:11], v[44:45], v[6:9]
	v_cvt_f32_f16_e32 v10, v12
	v_cvt_f32_f16_sdwa v11, v12 dst_sel:DWORD dst_unused:UNUSED_PAD src0_sel:WORD_1
	v_cvt_f32_f16_e32 v12, v13
	v_cvt_f32_f16_sdwa v13, v13 dst_sel:DWORD dst_unused:UNUSED_PAD src0_sel:WORD_1
	v_add3_u32 v17, v14, v26, v82
	v_add3_u32 v14, v14, v27, v82
	v_mfma_f32_16x16x16_f16 v[10:13], v[18:19], v[30:31], v[10:13]
	v_mov_b32_e32 v18, s0
	v_mad_u32_u24 v18, v83, s3, v18
	ds_read_u16 v61, v20 offset:768
	ds_read_u16 v69, v16 offset:224
	s_nop 2
	v_cvt_f16_f32_e32 v10, v10
	v_cvt_f16_f32_e32 v11, v11
	;; [unrolled: 1-line block ×4, first 2 shown]
	v_add_u32_e32 v19, v18, v28
	v_add3_u32 v20, v18, v26, v82
	v_add3_u32 v18, v18, v27, v82
	ds_read_u16 v21, v15 offset:8704
	ds_read_u16 v23, v17 offset:8976
	;; [unrolled: 1-line block ×8, first 2 shown]
	s_waitcnt lgkmcnt(4)
	v_perm_b32 v15, v14, v15, s2
	v_perm_b32 v14, v23, v21, s2
	v_cvt_f32_f16_e32 v10, v10
	v_cvt_f32_f16_e32 v11, v11
	;; [unrolled: 1-line block ×4, first 2 shown]
	v_pk_mul_f16 v19, v29, v88 op_sel_hi:[0,1]
	v_pk_mul_f16 v21, v29, v87 op_sel_hi:[0,1]
	v_mfma_f32_16x16x16_f16 v[10:13], v[14:15], v[44:45], v[10:13]
	v_perm_b32 v15, v41, v56, s2
	v_perm_b32 v14, v22, v64, s2
	v_cvt_f32_f16_e32 v18, v19
	v_cvt_f32_f16_sdwa v19, v19 dst_sel:DWORD dst_unused:UNUSED_PAD src0_sel:WORD_1
	v_cvt_f32_f16_e32 v20, v21
	v_cvt_f32_f16_sdwa v21, v21 dst_sel:DWORD dst_unused:UNUSED_PAD src0_sel:WORD_1
	v_pk_mul_f16 v22, v29, v96 op_sel_hi:[0,1]
	v_perm_b32 v23, v47, v58, s2
	v_mfma_f32_16x16x16_f16 v[18:21], v[14:15], v[30:31], v[18:21]
	s_add_i32 s0, 0, 0x80
	v_perm_b32 v46, v46, v67, s2
	s_nop 4
	v_cvt_f16_f32_e32 v14, v18
	v_cvt_f16_f32_e32 v15, v19
	;; [unrolled: 1-line block ×4, first 2 shown]
	v_cvt_f32_f16_e32 v18, v14
	v_cvt_f32_f16_e32 v19, v15
	s_waitcnt lgkmcnt(0)
	v_perm_b32 v15, v52, v51, s2
	v_perm_b32 v14, v50, v17, s2
	v_cvt_f32_f16_e32 v20, v20
	v_cvt_f32_f16_e32 v21, v21
	ds_read_u16 v41, v16 offset:160
	ds_read_u16 v50, v16 offset:192
	v_pk_mul_f16 v51, v29, v95 op_sel_hi:[0,1]
	v_mfma_f32_16x16x16_f16 v[14:17], v[14:15], v[44:45], v[18:21]
	s_waitcnt lgkmcnt(1)
	v_perm_b32 v41, v41, v59, s2
	s_nop 0
	v_cvt_f32_f16_e32 v18, v22
	v_cvt_f32_f16_sdwa v19, v22 dst_sel:DWORD dst_unused:UNUSED_PAD src0_sel:WORD_1
	v_perm_b32 v22, v24, v65, s2
	v_cvt_f32_f16_e32 v20, v51
	v_cvt_f32_f16_sdwa v21, v51 dst_sel:DWORD dst_unused:UNUSED_PAD src0_sel:WORD_1
	v_add_f32_e32 v24, v39, v4
	v_cndmask_b32_e64 v4, v4, v24, s[12:13]
	v_mfma_f32_16x16x16_f16 v[18:21], v[22:23], v[30:31], v[18:21]
	v_mov_b32_e32 v22, s0
	s_add_i32 s0, 0, 0xa0
	v_add_f32_e32 v24, v4, v40
	v_mov_b32_e32 v40, s0
	s_nop 2
	v_cvt_f16_f32_e32 v18, v18
	v_cvt_f16_f32_e32 v19, v19
	;; [unrolled: 1-line block ×4, first 2 shown]
	v_mad_u32_u24 v22, v83, s3, v22
	v_mad_u32_u24 v40, v83, s3, v40
	v_add_u32_e32 v23, v22, v28
	v_add3_u32 v39, v22, v26, v82
	v_add3_u32 v22, v22, v27, v82
	v_add_u32_e32 v47, v40, v28
	v_add3_u32 v51, v40, v26, v82
	v_add3_u32 v40, v40, v27, v82
	ds_read_u16 v52, v23 offset:8704
	ds_read_u16 v53, v39 offset:8976
	;; [unrolled: 1-line block ×8, first 2 shown]
	s_waitcnt lgkmcnt(4)
	v_perm_b32 v23, v22, v23, s2
	v_perm_b32 v22, v53, v52, s2
	v_cvt_f32_f16_e32 v18, v18
	v_cvt_f32_f16_e32 v19, v19
	;; [unrolled: 1-line block ×4, first 2 shown]
	v_cndmask_b32_e64 v4, v4, v24, s[10:11]
	v_pk_mul_f16 v24, v29, v92 op_sel_hi:[0,1]
	v_pk_mul_f16 v52, v29, v91 op_sel_hi:[0,1]
	v_perm_b32 v40, v25, v66, s2
	v_mfma_f32_16x16x16_f16 v[18:21], v[22:23], v[44:45], v[18:21]
	v_cvt_f32_f16_e32 v22, v24
	v_cvt_f32_f16_sdwa v23, v24 dst_sel:DWORD dst_unused:UNUSED_PAD src0_sel:WORD_1
	v_cvt_f32_f16_e32 v24, v52
	v_cvt_f32_f16_sdwa v25, v52 dst_sel:DWORD dst_unused:UNUSED_PAD src0_sel:WORD_1
	v_add_f32_e32 v42, v4, v42
	v_cndmask_b32_e64 v4, v4, v42, s[8:9]
	v_mfma_f32_16x16x16_f16 v[22:25], v[40:41], v[30:31], v[22:25]
	s_waitcnt lgkmcnt(0)
	v_perm_b32 v41, v54, v51, s2
	v_perm_b32 v40, v47, v39, s2
	v_add_f32_e32 v42, v43, v4
	v_pk_mul_f16 v39, v29, v94 op_sel_hi:[0,1]
	s_nop 1
	v_cvt_f16_f32_e32 v22, v22
	v_cvt_f16_f32_e32 v23, v23
	;; [unrolled: 1-line block ×4, first 2 shown]
	v_cvt_f32_f16_e32 v22, v22
	v_cvt_f32_f16_e32 v23, v23
	;; [unrolled: 1-line block ×4, first 2 shown]
	v_pk_mul_f16 v43, v29, v93 op_sel_hi:[0,1]
	v_perm_b32 v47, v50, v60, s2
	v_cndmask_b32_e64 v4, v4, v42, s[6:7]
	v_mfma_f32_16x16x16_f16 v[22:25], v[40:41], v[44:45], v[22:25]
	v_cvt_f32_f16_e32 v40, v39
	v_cvt_f32_f16_sdwa v41, v39 dst_sel:DWORD dst_unused:UNUSED_PAD src0_sel:WORD_1
	v_cvt_f32_f16_e32 v42, v43
	v_cvt_f32_f16_sdwa v43, v43 dst_sel:DWORD dst_unused:UNUSED_PAD src0_sel:WORD_1
	v_add_f32_e32 v39, v48, v4
	s_add_i32 s0, 0, 0xc0
	v_mfma_f32_16x16x16_f16 v[40:43], v[46:47], v[30:31], v[40:43]
	v_cndmask_b32_e64 v4, v4, v39, s[4:5]
	v_mov_b32_e32 v46, s0
	s_add_i32 s0, 0, 0xe0
	v_add_f32_e32 v39, v49, v4
	s_nop 2
	v_cvt_f16_f32_e32 v40, v40
	v_cvt_f16_f32_e32 v41, v41
	;; [unrolled: 1-line block ×4, first 2 shown]
	v_mad_u32_u24 v46, v83, s3, v46
	v_mov_b32_e32 v49, s0
	v_add_u32_e32 v47, v46, v28
	v_add3_u32 v48, v46, v26, v82
	v_add3_u32 v46, v46, v27, v82
	v_mad_u32_u24 v49, v83, s3, v49
	v_add_u32_e32 v28, v49, v28
	v_add3_u32 v26, v49, v26, v82
	v_add3_u32 v27, v49, v27, v82
	ds_read_u16 v47, v47 offset:8704
	ds_read_u16 v49, v48 offset:8976
	;; [unrolled: 1-line block ×8, first 2 shown]
	s_waitcnt lgkmcnt(4)
	v_perm_b32 v27, v46, v48, s2
	v_perm_b32 v26, v49, v47, s2
	v_cvt_f32_f16_e32 v40, v40
	v_cvt_f32_f16_e32 v41, v41
	v_cvt_f32_f16_e32 v42, v42
	v_cvt_f32_f16_e32 v43, v43
	v_cndmask_b32_e64 v4, v4, v39, s[16:17]
	v_pk_mul_f16 v39, v29, v86 op_sel_hi:[0,1]
	v_pk_mul_f16 v48, v29, v85 op_sel_hi:[0,1]
	v_perm_b32 v47, v69, v61, s2
	v_perm_b32 v46, v68, v57, s2
	v_mfma_f32_16x16x16_f16 v[26:29], v[26:27], v[44:45], v[40:43]
	v_add_f32_e32 v33, v33, v4
	s_movk_i32 s4, 0x110
	v_cmp_gt_u32_e64 s[0:1], 16, v36
	v_cvt_f32_f16_e32 v40, v39
	v_cvt_f32_f16_sdwa v41, v39 dst_sel:DWORD dst_unused:UNUSED_PAD src0_sel:WORD_1
	v_cvt_f32_f16_e32 v42, v48
	v_cvt_f32_f16_sdwa v43, v48 dst_sel:DWORD dst_unused:UNUSED_PAD src0_sel:WORD_1
	v_cndmask_b32_e32 v39, v4, v33, vcc
	v_fmac_f32_e32 v39, v34, v35
	v_mfma_f32_16x16x16_f16 v[40:43], v[46:47], v[30:31], v[40:43]
	ds_bpermute_b32 v46, v32, v39
	s_waitcnt lgkmcnt(1)
	v_perm_b32 v35, v53, v52, s2
	v_perm_b32 v34, v51, v50, s2
	s_waitcnt lgkmcnt(0)
	s_nop 1
	v_cvt_f16_f32_e32 v4, v40
	v_cvt_f16_f32_e32 v30, v41
	;; [unrolled: 1-line block ×4, first 2 shown]
	v_cvt_f32_f16_e32 v40, v4
	v_cvt_f32_f16_e32 v41, v30
	;; [unrolled: 1-line block ×4, first 2 shown]
	v_add_f32_e32 v4, v39, v46
	s_barrier
	v_mfma_f32_16x16x16_f16 v[30:33], v[34:35], v[44:45], v[40:43]
	ds_bpermute_b32 v34, v38, v4
	s_waitcnt lgkmcnt(0)
	s_and_saveexec_b64 s[2:3], s[0:1]
	s_cbranch_execz .LBB25_592
; %bb.591:
	v_add_f32_e32 v4, v4, v34
	v_or_b32_e32 v34, v117, v36
	v_mad_u32_u24 v34, v34, s4, 0
	ds_write2_b32 v34, v5, v4 offset0:64 offset1:65
.LBB25_592:
	s_or_b64 exec, exec, s[2:3]
	v_cmp_eq_u32_e32 vcc, 0, v119
	v_cmp_eq_u32_e64 s[4:5], 1, v119
	s_waitcnt lgkmcnt(0)
	s_barrier
	s_and_saveexec_b64 s[2:3], s[4:5]
	v_readlane_b32 s8, v254, 25
	v_readlane_b32 s14, v254, 31
	;; [unrolled: 1-line block ×5, first 2 shown]
	s_xor_b64 s[2:3], exec, s[2:3]
	s_mov_b64 s[14:15], s[22:23]
	v_readlane_b32 s9, v254, 26
	v_readlane_b32 s10, v254, 27
	;; [unrolled: 1-line block ×11, first 2 shown]
	s_cbranch_execz .LBB25_594
; %bb.593:
	s_barrier
	s_waitcnt lgkmcnt(0)
                                        ; implicit-def: $vgpr118
                                        ; implicit-def: $vgpr38
.LBB25_594:
	s_andn2_saveexec_b64 s[2:3], s[2:3]
	s_cbranch_execz .LBB25_600
; %bb.595:
	v_and_or_b32 v5, v36, 31, v117
	s_movk_i32 s4, 0x110
	v_mad_u32_u24 v4, v5, s4, 0
	ds_read_b64 v[40:41], v4 offset:256
	s_mov_b32 s4, 0x3fb8aa3b
	s_mov_b32 s6, 0x42b17218
	s_waitcnt lgkmcnt(0)
	s_barrier
	ds_bpermute_b32 v4, v38, v40
	v_max_f32_e32 v34, v40, v40
	s_waitcnt lgkmcnt(0)
	v_max_f32_e32 v4, v4, v4
	v_max_f32_e32 v4, v34, v4
	v_sub_f32_e32 v34, v40, v4
	v_mul_f32_e32 v35, 0x3fb8aa3b, v34
	v_fma_f32 v39, v34, s4, -v35
	v_rndne_f32_e32 v40, v35
	v_fmamk_f32 v39, v34, 0x32a5705f, v39
	v_sub_f32_e32 v35, v35, v40
	v_add_f32_e32 v35, v35, v39
	v_cvt_i32_f32_e32 v40, v40
	v_exp_f32_e32 v35, v35
	s_mov_b32 s4, 0xc2ce8ed0
	v_cmp_ngt_f32_e64 s[4:5], s4, v34
	v_mov_b32_e32 v39, 0x7f800000
	v_ldexp_f32 v35, v35, v40
	v_cndmask_b32_e64 v35, 0, v35, s[4:5]
	v_cmp_nlt_f32_e64 s[4:5], s6, v34
	s_nop 1
	v_cndmask_b32_e64 v34, v39, v35, s[4:5]
	v_mul_f32_e32 v35, v41, v34
	ds_bpermute_b32 v35, v38, v35
	v_cmp_gt_u32_e64 s[4:5], 32, v36
	s_waitcnt lgkmcnt(0)
	v_fmac_f32_e32 v35, v41, v34
	s_and_saveexec_b64 s[6:7], s[4:5]
	s_cbranch_execz .LBB25_597
; %bb.596:
	v_mul_u32_u24_e32 v5, 0x110, v5
	v_add_u32_e32 v5, 0, v5
	ds_write_b64 v5, v[34:35] offset:256
.LBB25_597:
	s_or_b64 exec, exec, s[6:7]
	s_and_saveexec_b64 s[4:5], s[0:1]
	s_cbranch_execz .LBB25_599
; %bb.598:
	s_add_i32 s0, s55, s72
	s_lshl_b32 s0, s0, 5
	s_mov_b32 s1, 0
	s_lshl_b64 s[0:1], s[0:1], 3
	s_add_u32 s0, s14, s0
	v_or_b32_e32 v5, v118, v36
	s_addc_u32 s1, s15, s1
	v_lshlrev_b32_e32 v34, 3, v5
	v_mov_b32_e32 v5, v35
	global_store_dwordx2 v34, v[4:5], s[0:1]
.LBB25_599:
	s_or_b64 exec, exec, s[4:5]
.LBB25_600:
	s_or_b64 exec, exec, s[2:3]
	v_cvt_f16_f32_e32 v0, v0
	v_cvt_f16_f32_e32 v1, v1
	v_cvt_f16_f32_e32 v2, v2
	v_cvt_f16_f32_e32 v3, v3
	v_cvt_f16_f32_e32 v4, v6
	v_cvt_f16_f32_e32 v5, v8
	v_cvt_f16_f32_e32 v6, v9
	v_cvt_f16_f32_e32 v7, v7
	v_pack_b32_f16 v2, v2, v3
	v_pack_b32_f16 v0, v0, v1
	v_pack_b32_f16 v1, v5, v6
	v_pack_b32_f16 v3, v4, v7
	v_cvt_f16_f32_e32 v4, v10
	v_cvt_f16_f32_e32 v5, v11
	v_cvt_f16_f32_e32 v6, v12
	v_cvt_f16_f32_e32 v7, v13
	v_cvt_f16_f32_e32 v8, v14
	v_cvt_f16_f32_e32 v9, v16
	v_cvt_f16_f32_e32 v10, v17
	v_cvt_f16_f32_e32 v11, v15
	v_pack_b32_f16 v6, v6, v7
	v_pack_b32_f16 v4, v4, v5
	v_pack_b32_f16 v5, v9, v10
	v_pack_b32_f16 v7, v8, v11
	;; [unrolled: 12-line block ×3, first 2 shown]
	v_cvt_f16_f32_e32 v14, v28
	v_cvt_f16_f32_e32 v15, v29
	;; [unrolled: 1-line block ×8, first 2 shown]
	v_pack_b32_f16 v14, v14, v15
	v_pack_b32_f16 v15, v16, v19
	v_or_b32_e32 v16, v117, v80
	s_movk_i32 s0, 0x44
	v_mad_u32_u24 v16, v16, s0, v81
	s_mov_b32 s3, 0
	v_lshl_add_u32 v16, v16, 2, 0
	v_pack_b32_f16 v12, v12, v13
	v_pack_b32_f16 v13, v17, v18
	ds_write2_b32 v16, v0, v2 offset1:1
	ds_write2_b32 v16, v3, v1 offset0:8 offset1:9
	ds_write2_b32 v16, v4, v6 offset0:16 offset1:17
	;; [unrolled: 1-line block ×7, first 2 shown]
	s_waitcnt lgkmcnt(0)
	s_barrier
	s_and_saveexec_b64 s[0:1], vcc
	s_cbranch_execz .LBB25_602
; %bb.601:
	s_lshl_b32 s2, s55, 6
	s_lshl_b64 s[4:5], s[2:3], 3
	s_add_u32 s4, s14, s4
	s_addc_u32 s5, s15, s5
	s_lshl_b32 s2, s72, 11
	s_lshl_b64 s[2:3], s[2:3], 3
	s_add_u32 s2, s4, s2
	v_bfe_u32 v8, v116, 1, 4
	s_movk_i32 s4, 0x3e0
	v_and_or_b32 v0, v116, s4, v8
	s_movk_i32 s4, 0x110
	v_mad_u32_u24 v2, v0, s4, 0
	v_add_u32_e32 v0, v2, v37
	ds_read2st64_b32 v[0:1], v0 offset1:17
	ds_read2st64_b32 v[2:3], v2 offset0:1 offset1:18
	v_lshrrev_b32_e32 v9, 1, v116
	s_addc_u32 s3, s5, s3
	s_movk_i32 s5, 0x7e0
	s_waitcnt lgkmcnt(1)
	v_cvt_f32_f16_e32 v4, v0
	v_cvt_f32_f16_sdwa v5, v0 dst_sel:DWORD dst_unused:UNUSED_PAD src0_sel:WORD_1
	v_cvt_f32_f16_e32 v0, v1
	v_cvt_f32_f16_sdwa v1, v1 dst_sel:DWORD dst_unused:UNUSED_PAD src0_sel:WORD_1
	v_lshlrev_b32_e32 v6, 5, v116
	s_waitcnt lgkmcnt(0)
	v_pk_fma_f32 v[4:5], v[2:3], v[4:5], 0 op_sel_hi:[0,1,0]
	v_mov_b32_e32 v2, v3
	v_pk_fma_f32 v[0:1], v[2:3], v[0:1], v[4:5] op_sel_hi:[0,1,1]
	v_add_u32_e32 v4, 2, v9
	v_lshlrev_b32_e32 v2, 1, v4
	v_and_b32_e32 v3, 15, v4
	v_and_or_b32 v2, v2, s5, v3
	v_mad_u32_u24 v5, v2, s4, 0
	v_add_u32_e32 v2, v5, v37
	ds_read2st64_b32 v[2:3], v2 offset1:17
	v_add_lshl_u32 v6, v6, v36, 3
	v_add_u32_e32 v11, 4, v9
	global_store_dwordx2 v6, v[0:1], s[2:3]
	v_lshlrev_b32_e32 v6, 1, v11
	v_and_b32_e32 v7, 15, v11
	v_and_or_b32 v6, v6, s5, v7
	v_lshlrev_b32_e32 v4, 6, v4
	ds_read2st64_b32 v[0:1], v5 offset0:1 offset1:18
	v_mad_u32_u24 v12, v6, s4, 0
	v_add_lshl_u32 v10, v4, v36, 3
	s_waitcnt lgkmcnt(1)
	v_cvt_f32_f16_e32 v4, v2
	v_cvt_f32_f16_sdwa v5, v2 dst_sel:DWORD dst_unused:UNUSED_PAD src0_sel:WORD_1
	v_add_u32_e32 v6, v12, v37
	v_cvt_f32_f16_e32 v2, v3
	v_cvt_f32_f16_sdwa v3, v3 dst_sel:DWORD dst_unused:UNUSED_PAD src0_sel:WORD_1
	ds_read2st64_b32 v[6:7], v6 offset1:17
	s_waitcnt lgkmcnt(1)
	v_pk_fma_f32 v[4:5], v[0:1], v[4:5], 0 op_sel_hi:[0,1,0]
	v_mov_b32_e32 v0, v1
	v_pk_fma_f32 v[0:1], v[0:1], v[2:3], v[4:5] op_sel_hi:[0,1,1]
	ds_read2st64_b32 v[2:3], v12 offset0:1 offset1:18
	s_waitcnt lgkmcnt(1)
	v_cvt_f32_f16_e32 v4, v6
	v_cvt_f32_f16_sdwa v5, v6 dst_sel:DWORD dst_unused:UNUSED_PAD src0_sel:WORD_1
	global_store_dwordx2 v10, v[0:1], s[2:3]
	v_lshlrev_b32_e32 v0, 6, v11
	v_add_lshl_u32 v10, v0, v36, 3
	s_waitcnt lgkmcnt(0)
	v_pk_fma_f32 v[0:1], v[2:3], v[4:5], 0 op_sel_hi:[0,1,0]
	v_mov_b32_e32 v2, v3
	v_add_u32_e32 v3, 6, v9
	v_cvt_f32_f16_e32 v4, v7
	v_cvt_f32_f16_sdwa v5, v7 dst_sel:DWORD dst_unused:UNUSED_PAD src0_sel:WORD_1
	v_lshlrev_b32_e32 v6, 1, v3
	v_and_b32_e32 v7, 15, v3
	v_and_or_b32 v6, v6, s5, v7
	v_mad_u32_u24 v11, v6, s4, 0
	v_add_u32_e32 v6, v11, v37
	ds_read2st64_b32 v[6:7], v6 offset1:17
	v_pk_fma_f32 v[0:1], v[2:3], v[4:5], v[0:1] op_sel_hi:[0,1,1]
	global_store_dwordx2 v10, v[0:1], s[2:3]
	ds_read2st64_b32 v[0:1], v11 offset0:1 offset1:18
	v_lshlrev_b32_e32 v10, 6, v3
	s_waitcnt lgkmcnt(1)
	v_cvt_f32_f16_e32 v2, v6
	v_cvt_f32_f16_sdwa v3, v6 dst_sel:DWORD dst_unused:UNUSED_PAD src0_sel:WORD_1
	v_cvt_f32_f16_e32 v4, v7
	v_cvt_f32_f16_sdwa v5, v7 dst_sel:DWORD dst_unused:UNUSED_PAD src0_sel:WORD_1
	v_add_lshl_u32 v6, v10, v36, 3
	s_waitcnt lgkmcnt(0)
	v_pk_fma_f32 v[2:3], v[0:1], v[2:3], 0 op_sel_hi:[0,1,0]
	v_mov_b32_e32 v0, v1
	v_pk_fma_f32 v[0:1], v[0:1], v[4:5], v[2:3] op_sel_hi:[0,1,1]
	v_add_u32_e32 v4, 8, v9
	v_lshlrev_b32_e32 v2, 1, v4
	v_and_b32_e32 v3, 15, v4
	v_and_or_b32 v2, v2, s5, v3
	v_mad_u32_u24 v5, v2, s4, 0
	v_add_u32_e32 v2, v5, v37
	ds_read2st64_b32 v[2:3], v2 offset1:17
	v_add_u32_e32 v11, 10, v9
	global_store_dwordx2 v6, v[0:1], s[2:3]
	v_lshlrev_b32_e32 v6, 1, v11
	v_and_b32_e32 v7, 15, v11
	v_and_or_b32 v6, v6, s5, v7
	v_lshlrev_b32_e32 v4, 6, v4
	ds_read2st64_b32 v[0:1], v5 offset0:1 offset1:18
	v_mad_u32_u24 v12, v6, s4, 0
	v_add_lshl_u32 v10, v4, v36, 3
	s_waitcnt lgkmcnt(1)
	v_cvt_f32_f16_e32 v4, v2
	v_cvt_f32_f16_sdwa v5, v2 dst_sel:DWORD dst_unused:UNUSED_PAD src0_sel:WORD_1
	v_add_u32_e32 v6, v12, v37
	v_cvt_f32_f16_e32 v2, v3
	v_cvt_f32_f16_sdwa v3, v3 dst_sel:DWORD dst_unused:UNUSED_PAD src0_sel:WORD_1
	ds_read2st64_b32 v[6:7], v6 offset1:17
	s_waitcnt lgkmcnt(1)
	v_pk_fma_f32 v[4:5], v[0:1], v[4:5], 0 op_sel_hi:[0,1,0]
	v_mov_b32_e32 v0, v1
	v_pk_fma_f32 v[0:1], v[0:1], v[2:3], v[4:5] op_sel_hi:[0,1,1]
	ds_read2st64_b32 v[2:3], v12 offset0:1 offset1:18
	s_waitcnt lgkmcnt(1)
	v_cvt_f32_f16_e32 v4, v6
	v_cvt_f32_f16_sdwa v5, v6 dst_sel:DWORD dst_unused:UNUSED_PAD src0_sel:WORD_1
	global_store_dwordx2 v10, v[0:1], s[2:3]
	v_lshlrev_b32_e32 v0, 6, v11
	v_add_lshl_u32 v10, v0, v36, 3
	s_waitcnt lgkmcnt(0)
	v_pk_fma_f32 v[0:1], v[2:3], v[4:5], 0 op_sel_hi:[0,1,0]
	v_mov_b32_e32 v2, v3
	v_add_u32_e32 v3, 12, v9
	v_cvt_f32_f16_e32 v4, v7
	v_cvt_f32_f16_sdwa v5, v7 dst_sel:DWORD dst_unused:UNUSED_PAD src0_sel:WORD_1
	v_lshlrev_b32_e32 v6, 1, v3
	v_and_b32_e32 v7, 15, v3
	v_and_or_b32 v6, v6, s5, v7
	v_mad_u32_u24 v11, v6, s4, 0
	v_add_u32_e32 v6, v11, v37
	ds_read2st64_b32 v[6:7], v6 offset1:17
	v_pk_fma_f32 v[0:1], v[2:3], v[4:5], v[0:1] op_sel_hi:[0,1,1]
	global_store_dwordx2 v10, v[0:1], s[2:3]
	ds_read2st64_b32 v[0:1], v11 offset0:1 offset1:18
	v_lshlrev_b32_e32 v10, 6, v3
	s_waitcnt lgkmcnt(1)
	v_cvt_f32_f16_e32 v2, v6
	v_cvt_f32_f16_sdwa v3, v6 dst_sel:DWORD dst_unused:UNUSED_PAD src0_sel:WORD_1
	v_cvt_f32_f16_e32 v4, v7
	v_cvt_f32_f16_sdwa v5, v7 dst_sel:DWORD dst_unused:UNUSED_PAD src0_sel:WORD_1
	v_add_lshl_u32 v6, v10, v36, 3
	s_waitcnt lgkmcnt(0)
	v_pk_fma_f32 v[2:3], v[0:1], v[2:3], 0 op_sel_hi:[0,1,0]
	v_mov_b32_e32 v0, v1
	v_pk_fma_f32 v[0:1], v[0:1], v[4:5], v[2:3] op_sel_hi:[0,1,1]
	v_add_u32_e32 v4, 14, v9
	v_lshlrev_b32_e32 v2, 1, v4
	v_and_b32_e32 v3, 15, v4
	v_and_or_b32 v2, v2, s5, v3
	v_mad_u32_u24 v5, v2, s4, 0
	v_add_u32_e32 v2, v5, v37
	ds_read2st64_b32 v[2:3], v2 offset1:17
	v_add_u32_e32 v11, 16, v9
	global_store_dwordx2 v6, v[0:1], s[2:3]
	v_lshlrev_b32_e32 v6, 1, v11
	v_and_or_b32 v6, v6, s5, v8
	v_lshlrev_b32_e32 v4, 6, v4
	ds_read2st64_b32 v[0:1], v5 offset0:1 offset1:18
	v_mad_u32_u24 v8, v6, s4, 0
	v_add_lshl_u32 v10, v4, v36, 3
	s_waitcnt lgkmcnt(1)
	v_cvt_f32_f16_e32 v4, v2
	v_cvt_f32_f16_sdwa v5, v2 dst_sel:DWORD dst_unused:UNUSED_PAD src0_sel:WORD_1
	v_add_u32_e32 v6, v8, v37
	v_cvt_f32_f16_e32 v2, v3
	v_cvt_f32_f16_sdwa v3, v3 dst_sel:DWORD dst_unused:UNUSED_PAD src0_sel:WORD_1
	ds_read2st64_b32 v[6:7], v6 offset1:17
	s_waitcnt lgkmcnt(1)
	v_pk_fma_f32 v[4:5], v[0:1], v[4:5], 0 op_sel_hi:[0,1,0]
	v_mov_b32_e32 v0, v1
	v_pk_fma_f32 v[0:1], v[0:1], v[2:3], v[4:5] op_sel_hi:[0,1,1]
	ds_read2st64_b32 v[2:3], v8 offset0:1 offset1:18
	s_waitcnt lgkmcnt(1)
	v_cvt_f32_f16_e32 v4, v6
	v_cvt_f32_f16_sdwa v5, v6 dst_sel:DWORD dst_unused:UNUSED_PAD src0_sel:WORD_1
	global_store_dwordx2 v10, v[0:1], s[2:3]
	v_lshlrev_b32_e32 v0, 6, v11
	v_add_lshl_u32 v8, v0, v36, 3
	s_waitcnt lgkmcnt(0)
	v_pk_fma_f32 v[0:1], v[2:3], v[4:5], 0 op_sel_hi:[0,1,0]
	v_mov_b32_e32 v2, v3
	v_add_u32_e32 v3, 18, v9
	v_cvt_f32_f16_e32 v4, v7
	v_cvt_f32_f16_sdwa v5, v7 dst_sel:DWORD dst_unused:UNUSED_PAD src0_sel:WORD_1
	v_lshlrev_b32_e32 v6, 1, v3
	v_and_b32_e32 v7, 15, v3
	v_and_or_b32 v6, v6, s5, v7
	v_mad_u32_u24 v10, v6, s4, 0
	v_add_u32_e32 v6, v10, v37
	ds_read2st64_b32 v[6:7], v6 offset1:17
	v_pk_fma_f32 v[0:1], v[2:3], v[4:5], v[0:1] op_sel_hi:[0,1,1]
	global_store_dwordx2 v8, v[0:1], s[2:3]
	ds_read2st64_b32 v[0:1], v10 offset0:1 offset1:18
	v_lshlrev_b32_e32 v8, 6, v3
	s_waitcnt lgkmcnt(1)
	v_cvt_f32_f16_e32 v2, v6
	v_cvt_f32_f16_sdwa v3, v6 dst_sel:DWORD dst_unused:UNUSED_PAD src0_sel:WORD_1
	v_cvt_f32_f16_e32 v4, v7
	v_cvt_f32_f16_sdwa v5, v7 dst_sel:DWORD dst_unused:UNUSED_PAD src0_sel:WORD_1
	v_add_lshl_u32 v6, v8, v36, 3
	s_waitcnt lgkmcnt(0)
	v_pk_fma_f32 v[2:3], v[0:1], v[2:3], 0 op_sel_hi:[0,1,0]
	v_mov_b32_e32 v0, v1
	v_pk_fma_f32 v[0:1], v[0:1], v[4:5], v[2:3] op_sel_hi:[0,1,1]
	v_add_u32_e32 v4, 20, v9
	v_lshlrev_b32_e32 v2, 1, v4
	v_and_b32_e32 v3, 15, v4
	v_and_or_b32 v2, v2, s5, v3
	v_mad_u32_u24 v5, v2, s4, 0
	v_add_u32_e32 v2, v5, v37
	ds_read2st64_b32 v[2:3], v2 offset1:17
	v_add_u32_e32 v10, 22, v9
	global_store_dwordx2 v6, v[0:1], s[2:3]
	v_lshlrev_b32_e32 v6, 1, v10
	v_and_b32_e32 v7, 15, v10
	v_and_or_b32 v6, v6, s5, v7
	v_lshlrev_b32_e32 v4, 6, v4
	ds_read2st64_b32 v[0:1], v5 offset0:1 offset1:18
	v_mad_u32_u24 v11, v6, s4, 0
	v_add_lshl_u32 v8, v4, v36, 3
	s_waitcnt lgkmcnt(1)
	v_cvt_f32_f16_e32 v4, v2
	v_cvt_f32_f16_sdwa v5, v2 dst_sel:DWORD dst_unused:UNUSED_PAD src0_sel:WORD_1
	v_add_u32_e32 v6, v11, v37
	v_cvt_f32_f16_e32 v2, v3
	v_cvt_f32_f16_sdwa v3, v3 dst_sel:DWORD dst_unused:UNUSED_PAD src0_sel:WORD_1
	ds_read2st64_b32 v[6:7], v6 offset1:17
	s_waitcnt lgkmcnt(1)
	v_pk_fma_f32 v[4:5], v[0:1], v[4:5], 0 op_sel_hi:[0,1,0]
	v_mov_b32_e32 v0, v1
	v_pk_fma_f32 v[0:1], v[0:1], v[2:3], v[4:5] op_sel_hi:[0,1,1]
	ds_read2st64_b32 v[2:3], v11 offset0:1 offset1:18
	s_waitcnt lgkmcnt(1)
	v_cvt_f32_f16_e32 v4, v6
	v_cvt_f32_f16_sdwa v5, v6 dst_sel:DWORD dst_unused:UNUSED_PAD src0_sel:WORD_1
	global_store_dwordx2 v8, v[0:1], s[2:3]
	v_lshlrev_b32_e32 v0, 6, v10
	v_add_lshl_u32 v8, v0, v36, 3
	s_waitcnt lgkmcnt(0)
	v_pk_fma_f32 v[0:1], v[2:3], v[4:5], 0 op_sel_hi:[0,1,0]
	v_mov_b32_e32 v2, v3
	v_add_u32_e32 v3, 24, v9
	v_cvt_f32_f16_e32 v4, v7
	v_cvt_f32_f16_sdwa v5, v7 dst_sel:DWORD dst_unused:UNUSED_PAD src0_sel:WORD_1
	v_lshlrev_b32_e32 v6, 1, v3
	v_and_b32_e32 v7, 15, v3
	v_and_or_b32 v6, v6, s5, v7
	v_mad_u32_u24 v10, v6, s4, 0
	v_add_u32_e32 v6, v10, v37
	ds_read2st64_b32 v[6:7], v6 offset1:17
	v_pk_fma_f32 v[0:1], v[2:3], v[4:5], v[0:1] op_sel_hi:[0,1,1]
	global_store_dwordx2 v8, v[0:1], s[2:3]
	ds_read2st64_b32 v[0:1], v10 offset0:1 offset1:18
	v_lshlrev_b32_e32 v8, 6, v3
	s_waitcnt lgkmcnt(1)
	v_cvt_f32_f16_e32 v2, v6
	v_cvt_f32_f16_sdwa v3, v6 dst_sel:DWORD dst_unused:UNUSED_PAD src0_sel:WORD_1
	v_cvt_f32_f16_e32 v4, v7
	v_cvt_f32_f16_sdwa v5, v7 dst_sel:DWORD dst_unused:UNUSED_PAD src0_sel:WORD_1
	v_add_lshl_u32 v6, v8, v36, 3
	s_waitcnt lgkmcnt(0)
	v_pk_fma_f32 v[2:3], v[0:1], v[2:3], 0 op_sel_hi:[0,1,0]
	v_mov_b32_e32 v0, v1
	v_pk_fma_f32 v[0:1], v[0:1], v[4:5], v[2:3] op_sel_hi:[0,1,1]
	v_add_u32_e32 v4, 26, v9
	v_lshlrev_b32_e32 v2, 1, v4
	v_and_b32_e32 v3, 15, v4
	v_and_or_b32 v2, v2, s5, v3
	v_mad_u32_u24 v5, v2, s4, 0
	v_add_u32_e32 v2, v5, v37
	ds_read2st64_b32 v[2:3], v2 offset1:17
	v_add_u32_e32 v10, 28, v9
	global_store_dwordx2 v6, v[0:1], s[2:3]
	v_lshlrev_b32_e32 v6, 1, v10
	v_and_b32_e32 v7, 15, v10
	v_and_or_b32 v6, v6, s5, v7
	v_lshlrev_b32_e32 v4, 6, v4
	ds_read2st64_b32 v[0:1], v5 offset0:1 offset1:18
	v_mad_u32_u24 v11, v6, s4, 0
	v_add_lshl_u32 v8, v4, v36, 3
	s_waitcnt lgkmcnt(1)
	v_cvt_f32_f16_e32 v4, v2
	v_cvt_f32_f16_sdwa v5, v2 dst_sel:DWORD dst_unused:UNUSED_PAD src0_sel:WORD_1
	v_add_u32_e32 v6, v11, v37
	v_cvt_f32_f16_e32 v2, v3
	v_cvt_f32_f16_sdwa v3, v3 dst_sel:DWORD dst_unused:UNUSED_PAD src0_sel:WORD_1
	ds_read2st64_b32 v[6:7], v6 offset1:17
	s_waitcnt lgkmcnt(1)
	v_pk_fma_f32 v[4:5], v[0:1], v[4:5], 0 op_sel_hi:[0,1,0]
	v_mov_b32_e32 v0, v1
	v_pk_fma_f32 v[0:1], v[0:1], v[2:3], v[4:5] op_sel_hi:[0,1,1]
	ds_read2st64_b32 v[2:3], v11 offset0:1 offset1:18
	s_waitcnt lgkmcnt(1)
	v_cvt_f32_f16_e32 v4, v6
	v_cvt_f32_f16_sdwa v5, v6 dst_sel:DWORD dst_unused:UNUSED_PAD src0_sel:WORD_1
	global_store_dwordx2 v8, v[0:1], s[2:3]
	v_lshlrev_b32_e32 v0, 6, v10
	v_add_lshl_u32 v8, v0, v36, 3
	s_waitcnt lgkmcnt(0)
	v_pk_fma_f32 v[0:1], v[2:3], v[4:5], 0 op_sel_hi:[0,1,0]
	v_mov_b32_e32 v2, v3
	v_add_u32_e32 v3, 30, v9
	v_cvt_f32_f16_e32 v4, v7
	v_cvt_f32_f16_sdwa v5, v7 dst_sel:DWORD dst_unused:UNUSED_PAD src0_sel:WORD_1
	v_lshlrev_b32_e32 v6, 1, v3
	v_and_b32_e32 v7, 15, v3
	v_and_or_b32 v6, v6, s5, v7
	v_mad_u32_u24 v9, v6, s4, 0
	v_add_u32_e32 v6, v9, v37
	ds_read2st64_b32 v[6:7], v6 offset1:17
	v_pk_fma_f32 v[0:1], v[2:3], v[4:5], v[0:1] op_sel_hi:[0,1,1]
	global_store_dwordx2 v8, v[0:1], s[2:3]
	ds_read2st64_b32 v[0:1], v9 offset0:1 offset1:18
	v_lshlrev_b32_e32 v8, 6, v3
	s_waitcnt lgkmcnt(1)
	v_cvt_f32_f16_e32 v2, v6
	v_cvt_f32_f16_sdwa v3, v6 dst_sel:DWORD dst_unused:UNUSED_PAD src0_sel:WORD_1
	v_cvt_f32_f16_e32 v4, v7
	v_cvt_f32_f16_sdwa v5, v7 dst_sel:DWORD dst_unused:UNUSED_PAD src0_sel:WORD_1
	v_add_lshl_u32 v6, v8, v36, 3
	s_waitcnt lgkmcnt(0)
	v_pk_fma_f32 v[2:3], v[0:1], v[2:3], 0 op_sel_hi:[0,1,0]
	v_mov_b32_e32 v0, v1
	v_pk_fma_f32 v[0:1], v[0:1], v[4:5], v[2:3] op_sel_hi:[0,1,1]
	global_store_dwordx2 v6, v[0:1], s[2:3]
.LBB25_602:
	s_or_b64 exec, exec, s[0:1]
	s_barrier
	s_endpgm
	.section	.rodata,"a",@progbits
	.p2align	6, 0x0
	.amdhsa_kernel _ZL18flash_attn_ext_f16ILi128ELi128ELi32ELi1ELb1ELb0EEvPKcS1_S1_S1_S1_PKiPfP15HIP_vector_typeIfLj2EEffffjfiS5_IjLj3EEiiiiiiiiiiiliiliiiiil
		.amdhsa_group_segment_fixed_size 0
		.amdhsa_private_segment_fixed_size 128
		.amdhsa_kernarg_size 464
		.amdhsa_user_sgpr_count 2
		.amdhsa_user_sgpr_dispatch_ptr 0
		.amdhsa_user_sgpr_queue_ptr 0
		.amdhsa_user_sgpr_kernarg_segment_ptr 1
		.amdhsa_user_sgpr_dispatch_id 0
		.amdhsa_user_sgpr_kernarg_preload_length 0
		.amdhsa_user_sgpr_kernarg_preload_offset 0
		.amdhsa_user_sgpr_private_segment_size 0
		.amdhsa_uses_dynamic_stack 0
		.amdhsa_enable_private_segment 1
		.amdhsa_system_sgpr_workgroup_id_x 1
		.amdhsa_system_sgpr_workgroup_id_y 0
		.amdhsa_system_sgpr_workgroup_id_z 0
		.amdhsa_system_sgpr_workgroup_info 0
		.amdhsa_system_vgpr_workitem_id 1
		.amdhsa_next_free_vgpr 256
		.amdhsa_next_free_sgpr 100
		.amdhsa_accum_offset 256
		.amdhsa_reserve_vcc 1
		.amdhsa_float_round_mode_32 0
		.amdhsa_float_round_mode_16_64 0
		.amdhsa_float_denorm_mode_32 3
		.amdhsa_float_denorm_mode_16_64 3
		.amdhsa_dx10_clamp 1
		.amdhsa_ieee_mode 1
		.amdhsa_fp16_overflow 0
		.amdhsa_tg_split 0
		.amdhsa_exception_fp_ieee_invalid_op 0
		.amdhsa_exception_fp_denorm_src 0
		.amdhsa_exception_fp_ieee_div_zero 0
		.amdhsa_exception_fp_ieee_overflow 0
		.amdhsa_exception_fp_ieee_underflow 0
		.amdhsa_exception_fp_ieee_inexact 0
		.amdhsa_exception_int_div_zero 0
	.end_amdhsa_kernel
	.section	.text._ZL18flash_attn_ext_f16ILi128ELi128ELi32ELi1ELb1ELb0EEvPKcS1_S1_S1_S1_PKiPfP15HIP_vector_typeIfLj2EEffffjfiS5_IjLj3EEiiiiiiiiiiiliiliiiiil,"axG",@progbits,_ZL18flash_attn_ext_f16ILi128ELi128ELi32ELi1ELb1ELb0EEvPKcS1_S1_S1_S1_PKiPfP15HIP_vector_typeIfLj2EEffffjfiS5_IjLj3EEiiiiiiiiiiiliiliiiiil,comdat
.Lfunc_end25:
	.size	_ZL18flash_attn_ext_f16ILi128ELi128ELi32ELi1ELb1ELb0EEvPKcS1_S1_S1_S1_PKiPfP15HIP_vector_typeIfLj2EEffffjfiS5_IjLj3EEiiiiiiiiiiiliiliiiiil, .Lfunc_end25-_ZL18flash_attn_ext_f16ILi128ELi128ELi32ELi1ELb1ELb0EEvPKcS1_S1_S1_S1_PKiPfP15HIP_vector_typeIfLj2EEffffjfiS5_IjLj3EEiiiiiiiiiiiliiliiiiil
                                        ; -- End function
	.section	.AMDGPU.csdata,"",@progbits
; Kernel info:
; codeLenInByte = 68900
; NumSgprs: 106
; NumVgprs: 256
; NumAgprs: 0
; TotalNumVgprs: 256
; ScratchSize: 128
; MemoryBound: 0
; FloatMode: 240
; IeeeMode: 1
; LDSByteSize: 0 bytes/workgroup (compile time only)
; SGPRBlocks: 13
; VGPRBlocks: 31
; NumSGPRsForWavesPerEU: 106
; NumVGPRsForWavesPerEU: 256
; AccumOffset: 256
; Occupancy: 2
; WaveLimiterHint : 0
; COMPUTE_PGM_RSRC2:SCRATCH_EN: 1
; COMPUTE_PGM_RSRC2:USER_SGPR: 2
; COMPUTE_PGM_RSRC2:TRAP_HANDLER: 0
; COMPUTE_PGM_RSRC2:TGID_X_EN: 1
; COMPUTE_PGM_RSRC2:TGID_Y_EN: 0
; COMPUTE_PGM_RSRC2:TGID_Z_EN: 0
; COMPUTE_PGM_RSRC2:TIDIG_COMP_CNT: 1
; COMPUTE_PGM_RSRC3_GFX90A:ACCUM_OFFSET: 63
; COMPUTE_PGM_RSRC3_GFX90A:TG_SPLIT: 0
	.section	.text._ZL33flash_attn_stream_k_fixup_uniformILi128ELi32ELi1EEvPfPK15HIP_vector_typeIfLj2EEiiiiiiS1_IjLj3EES5_S5_,"axG",@progbits,_ZL33flash_attn_stream_k_fixup_uniformILi128ELi32ELi1EEvPfPK15HIP_vector_typeIfLj2EEiiiiiiS1_IjLj3EES5_S5_,comdat
	.globl	_ZL33flash_attn_stream_k_fixup_uniformILi128ELi32ELi1EEvPfPK15HIP_vector_typeIfLj2EEiiiiiiS1_IjLj3EES5_S5_ ; -- Begin function _ZL33flash_attn_stream_k_fixup_uniformILi128ELi32ELi1EEvPfPK15HIP_vector_typeIfLj2EEiiiiiiS1_IjLj3EES5_S5_
	.p2align	8
	.type	_ZL33flash_attn_stream_k_fixup_uniformILi128ELi32ELi1EEvPfPK15HIP_vector_typeIfLj2EEiiiiiiS1_IjLj3EES5_S5_,@function
_ZL33flash_attn_stream_k_fixup_uniformILi128ELi32ELi1EEvPfPK15HIP_vector_typeIfLj2EEiiiiiiS1_IjLj3EES5_S5_: ; @_ZL33flash_attn_stream_k_fixup_uniformILi128ELi32ELi1EEvPfPK15HIP_vector_typeIfLj2EEiiiiiiS1_IjLj3EES5_S5_
; %bb.0:
	s_load_dwordx8 s[8:15], s[0:1], 0x1c
	s_load_dwordx2 s[6:7], s[0:1], 0x10
	s_load_dwordx4 s[20:23], s[0:1], 0x3c
	s_waitcnt lgkmcnt(0)
	s_mul_hi_u32 s5, s11, s2
	s_add_i32 s5, s2, s5
	s_lshr_b32 s5, s5, s12
	s_mul_i32 s11, s5, s13
	s_sub_i32 s11, s2, s11
	s_mul_hi_u32 s12, s11, s14
	s_add_i32 s12, s11, s12
	s_lshr_b32 s16, s12, s15
	s_mul_i32 s12, s16, s20
	s_sub_i32 s12, s11, s12
	;; [unrolled: 5-line block ×3, first 2 shown]
	s_lshl_b32 s12, s17, 5
	s_add_i32 s12, s12, s3
	s_cmp_lt_i32 s12, s6
	s_cselect_b64 s[12:13], -1, 0
	s_add_i32 s14, s11, s4
	s_cmp_lt_i32 s14, s9
	s_cselect_b64 s[14:15], -1, 0
	s_and_b64 s[12:13], s[12:13], s[14:15]
	s_andn2_b64 vcc, exec, s[12:13]
	s_cbranch_vccnz .LBB26_6
; %bb.1:
	s_load_dwordx4 s[12:15], s[0:1], 0x0
	s_mul_i32 s0, s5, s6
	s_add_i32 s0, s0, s3
	s_mul_i32 s0, s0, s7
	s_mul_i32 s16, s16, s9
	s_add_i32 s0, s0, s4
	s_add_i32 s0, s0, s16
	s_mul_i32 s1, s7, s17
	s_add_i32 s0, s0, s11
	s_lshl_b32 s1, s1, 12
	s_lshl_b32 s0, s0, 7
	s_add_i32 s1, s1, s0
	v_or_b32_e32 v4, s1, v0
	s_waitcnt lgkmcnt(0)
	v_mov_b32_e32 v2, s12
	v_mov_b32_e32 v3, s13
	v_ashrrev_i32_e32 v5, 31, v4
	v_lshl_add_u64 v[2:3], v[4:5], 2, v[2:3]
	global_load_dword v7, v[2:3], off
	s_mul_i32 s6, s2, s10
	s_add_i32 s7, s6, s10
	s_add_i32 s3, s3, s4
	s_lshl_b32 s0, s7, 5
	s_add_i32 s0, s3, s0
	s_sub_i32 s0, s0, 32
	s_ashr_i32 s1, s0, 31
	s_lshl_b64 s[0:1], s[0:1], 3
	s_add_u32 s0, s14, s0
	s_addc_u32 s1, s15, s1
	s_load_dword s9, s[0:1], 0x4
	s_add_i32 s4, s7, -2
	s_cmp_lt_i32 s4, s6
	s_cbranch_scc1 .LBB26_4
; %bb.2:
	s_lshl_b32 s4, s8, 7
	s_ashr_i32 s5, s4, 31
	s_lshl_b64 s[4:5], s[4:5], 2
	s_add_u32 s4, s14, s4
	s_addc_u32 s5, s15, s5
	s_add_i32 s2, s2, 1
	s_mul_i32 s2, s10, s2
	s_load_dword s0, s[0:1], 0x0
	s_lshl_b32 s1, s3, 7
	s_lshl_b32 s10, s2, 12
	s_add_i32 s1, s1, s10
	v_or_b32_e32 v0, s1, v0
	s_lshl_b32 s1, s2, 5
	s_add_i32 s1, s3, s1
	s_lshl_b32 s2, s8, 5
	s_add_i32 s1, s1, s2
	s_add_i32 s7, s7, -1
	v_add_u32_e32 v0, 0xffffe000, v0
	s_sub_i32 s2, s1, 64
	s_waitcnt lgkmcnt(0)
	v_mov_b32_e32 v6, s9
	v_mov_b32_e32 v5, s0
	s_mov_b32 s8, 0x3fb8aa3b
	s_mov_b32 s9, 0xc2ce8ed0
	;; [unrolled: 1-line block ×3, first 2 shown]
	v_mov_b32_e32 v4, 0x7f800000
	s_mov_b32 s11, 0xc1a00000
.LBB26_3:                               ; =>This Inner Loop Header: Depth=1
	v_ashrrev_i32_e32 v1, 31, v0
	v_lshl_add_u64 v[8:9], v[0:1], 2, s[4:5]
	global_load_dword v1, v[8:9], off
	s_ashr_i32 s3, s2, 31
	s_lshl_b64 s[0:1], s[2:3], 3
	s_add_u32 s0, s14, s0
	s_addc_u32 s1, s15, s1
	s_load_dwordx2 s[12:13], s[0:1], 0x0
	s_waitcnt vmcnt(1)
	v_mov_b32_e32 v8, v7
	v_max_f32_e32 v7, v5, v5
	v_mov_b32_e32 v9, v6
	s_add_i32 s7, s7, -1
	s_waitcnt lgkmcnt(0)
	v_max_f32_e64 v6, s12, s12
	v_max_f32_e32 v6, v7, v6
	v_sub_f32_e32 v10, s12, v6
	v_sub_f32_e32 v7, v5, v6
	v_mul_f32_e32 v11, 0x3fb8aa3b, v10
	v_mov_b32_e32 v5, v6
	v_mul_f32_e32 v6, 0x3fb8aa3b, v7
	v_fma_f32 v14, v10, s8, -v11
	v_rndne_f32_e32 v15, v11
	v_fma_f32 v12, v7, s8, -v6
	v_rndne_f32_e32 v13, v6
	v_fmac_f32_e32 v14, 0x32a5705f, v10
	v_sub_f32_e32 v11, v11, v15
	v_fmac_f32_e32 v12, 0x32a5705f, v7
	v_sub_f32_e32 v6, v6, v13
	v_add_f32_e32 v11, v11, v14
	v_cvt_i32_f32_e32 v15, v15
	v_add_f32_e32 v6, v6, v12
	v_exp_f32_e32 v11, v11
	v_cvt_i32_f32_e32 v13, v13
	v_exp_f32_e32 v6, v6
	v_cmp_ngt_f32_e32 vcc, s9, v10
	v_ldexp_f32 v11, v11, v15
	v_cmp_ngt_f32_e64 s[0:1], s9, v7
	v_ldexp_f32 v6, v6, v13
	v_cndmask_b32_e32 v11, 0, v11, vcc
	v_cmp_nlt_f32_e32 vcc, s10, v10
	v_cndmask_b32_e64 v6, 0, v6, s[0:1]
	v_cmp_nlt_f32_e64 s[0:1], s10, v7
	v_cndmask_b32_e32 v11, v4, v11, vcc
	v_cmp_le_f32_e32 vcc, s11, v10
	v_cndmask_b32_e64 v6, v4, v6, s[0:1]
	v_cmp_le_f32_e64 s[0:1], s11, v7
	v_cndmask_b32_e32 v7, 0, v11, vcc
	s_sub_i32 s2, s2, 32
	v_cndmask_b32_e64 v10, 0, v6, s[0:1]
	v_mul_f32_e32 v6, s13, v7
	v_add_u32_e32 v0, 0xfffff000, v0
	s_cmp_le_i32 s7, s6
	v_fmac_f32_e32 v6, v9, v10
	s_waitcnt vmcnt(0)
	v_mul_f32_e32 v7, v1, v7
	v_fmac_f32_e32 v7, v8, v10
	s_cbranch_scc0 .LBB26_3
	s_branch .LBB26_5
.LBB26_4:
	s_waitcnt lgkmcnt(0)
	v_mov_b32_e32 v6, s9
.LBB26_5:
	s_waitcnt vmcnt(0)
	v_div_scale_f32 v0, s[0:1], v6, v6, v7
	v_rcp_f32_e32 v1, v0
	v_div_scale_f32 v4, vcc, v7, v6, v7
	v_fma_f32 v5, -v0, v1, 1.0
	v_fmac_f32_e32 v1, v5, v1
	v_mul_f32_e32 v5, v4, v1
	v_fma_f32 v8, -v0, v5, v4
	v_fmac_f32_e32 v5, v8, v1
	v_fma_f32 v0, -v0, v5, v4
	v_div_fmas_f32 v0, v0, v1, v5
	v_div_fixup_f32 v0, v0, v6, v7
	global_store_dword v[2:3], v0, off
.LBB26_6:
	s_endpgm
	.section	.rodata,"a",@progbits
	.p2align	6, 0x0
	.amdhsa_kernel _ZL33flash_attn_stream_k_fixup_uniformILi128ELi32ELi1EEvPfPK15HIP_vector_typeIfLj2EEiiiiiiS1_IjLj3EES5_S5_
		.amdhsa_group_segment_fixed_size 0
		.amdhsa_private_segment_fixed_size 0
		.amdhsa_kernarg_size 76
		.amdhsa_user_sgpr_count 2
		.amdhsa_user_sgpr_dispatch_ptr 0
		.amdhsa_user_sgpr_queue_ptr 0
		.amdhsa_user_sgpr_kernarg_segment_ptr 1
		.amdhsa_user_sgpr_dispatch_id 0
		.amdhsa_user_sgpr_kernarg_preload_length 0
		.amdhsa_user_sgpr_kernarg_preload_offset 0
		.amdhsa_user_sgpr_private_segment_size 0
		.amdhsa_uses_dynamic_stack 0
		.amdhsa_enable_private_segment 0
		.amdhsa_system_sgpr_workgroup_id_x 1
		.amdhsa_system_sgpr_workgroup_id_y 1
		.amdhsa_system_sgpr_workgroup_id_z 1
		.amdhsa_system_sgpr_workgroup_info 0
		.amdhsa_system_vgpr_workitem_id 0
		.amdhsa_next_free_vgpr 16
		.amdhsa_next_free_sgpr 24
		.amdhsa_accum_offset 16
		.amdhsa_reserve_vcc 1
		.amdhsa_float_round_mode_32 0
		.amdhsa_float_round_mode_16_64 0
		.amdhsa_float_denorm_mode_32 3
		.amdhsa_float_denorm_mode_16_64 3
		.amdhsa_dx10_clamp 1
		.amdhsa_ieee_mode 1
		.amdhsa_fp16_overflow 0
		.amdhsa_tg_split 0
		.amdhsa_exception_fp_ieee_invalid_op 0
		.amdhsa_exception_fp_denorm_src 0
		.amdhsa_exception_fp_ieee_div_zero 0
		.amdhsa_exception_fp_ieee_overflow 0
		.amdhsa_exception_fp_ieee_underflow 0
		.amdhsa_exception_fp_ieee_inexact 0
		.amdhsa_exception_int_div_zero 0
	.end_amdhsa_kernel
	.section	.text._ZL33flash_attn_stream_k_fixup_uniformILi128ELi32ELi1EEvPfPK15HIP_vector_typeIfLj2EEiiiiiiS1_IjLj3EES5_S5_,"axG",@progbits,_ZL33flash_attn_stream_k_fixup_uniformILi128ELi32ELi1EEvPfPK15HIP_vector_typeIfLj2EEiiiiiiS1_IjLj3EES5_S5_,comdat
.Lfunc_end26:
	.size	_ZL33flash_attn_stream_k_fixup_uniformILi128ELi32ELi1EEvPfPK15HIP_vector_typeIfLj2EEiiiiiiS1_IjLj3EES5_S5_, .Lfunc_end26-_ZL33flash_attn_stream_k_fixup_uniformILi128ELi32ELi1EEvPfPK15HIP_vector_typeIfLj2EEiiiiiiS1_IjLj3EES5_S5_
                                        ; -- End function
	.section	.AMDGPU.csdata,"",@progbits
; Kernel info:
; codeLenInByte = 820
; NumSgprs: 30
; NumVgprs: 16
; NumAgprs: 0
; TotalNumVgprs: 16
; ScratchSize: 0
; MemoryBound: 0
; FloatMode: 240
; IeeeMode: 1
; LDSByteSize: 0 bytes/workgroup (compile time only)
; SGPRBlocks: 3
; VGPRBlocks: 1
; NumSGPRsForWavesPerEU: 30
; NumVGPRsForWavesPerEU: 16
; AccumOffset: 16
; Occupancy: 8
; WaveLimiterHint : 0
; COMPUTE_PGM_RSRC2:SCRATCH_EN: 0
; COMPUTE_PGM_RSRC2:USER_SGPR: 2
; COMPUTE_PGM_RSRC2:TRAP_HANDLER: 0
; COMPUTE_PGM_RSRC2:TGID_X_EN: 1
; COMPUTE_PGM_RSRC2:TGID_Y_EN: 1
; COMPUTE_PGM_RSRC2:TGID_Z_EN: 1
; COMPUTE_PGM_RSRC2:TIDIG_COMP_CNT: 0
; COMPUTE_PGM_RSRC3_GFX90A:ACCUM_OFFSET: 3
; COMPUTE_PGM_RSRC3_GFX90A:TG_SPLIT: 0
	.section	.text._ZL33flash_attn_stream_k_fixup_generalILi128ELi32ELi1EEvPfPK15HIP_vector_typeIfLj2EEiiiiS1_IjLj3EES5_S5_S5_,"axG",@progbits,_ZL33flash_attn_stream_k_fixup_generalILi128ELi32ELi1EEvPfPK15HIP_vector_typeIfLj2EEiiiiS1_IjLj3EES5_S5_S5_,comdat
	.globl	_ZL33flash_attn_stream_k_fixup_generalILi128ELi32ELi1EEvPfPK15HIP_vector_typeIfLj2EEiiiiS1_IjLj3EES5_S5_S5_ ; -- Begin function _ZL33flash_attn_stream_k_fixup_generalILi128ELi32ELi1EEvPfPK15HIP_vector_typeIfLj2EEiiiiS1_IjLj3EES5_S5_S5_
	.p2align	8
	.type	_ZL33flash_attn_stream_k_fixup_generalILi128ELi32ELi1EEvPfPK15HIP_vector_typeIfLj2EEiiiiS1_IjLj3EES5_S5_S5_,@function
_ZL33flash_attn_stream_k_fixup_generalILi128ELi32ELi1EEvPfPK15HIP_vector_typeIfLj2EEiiiiS1_IjLj3EES5_S5_S5_: ; @_ZL33flash_attn_stream_k_fixup_generalILi128ELi32ELi1EEvPfPK15HIP_vector_typeIfLj2EEiiiiS1_IjLj3EES5_S5_S5_
; %bb.0:
	s_load_dwordx4 s[12:15], s[0:1], 0x10
	s_load_dword s5, s[0:1], 0x50
	s_mov_b32 s8, 0
	s_waitcnt lgkmcnt(0)
	s_mul_hi_i32 s9, s15, s2
	s_cmp_lg_u64 s[8:9], 0
	s_mul_i32 s8, s15, s2
	s_cbranch_scc0 .LBB27_21
; %bb.1:
	v_cvt_f32_u32_e32 v1, s5
	v_cvt_f32_ubyte0_e32 v2, 0
	s_sub_u32 s10, 0, s5
	s_subb_u32 s11, 0, 0
	v_fmamk_f32 v1, v2, 0x4f800000, v1
	v_rcp_f32_e32 v1, v1
	s_nop 0
	v_mul_f32_e32 v1, 0x5f7ffffc, v1
	v_mul_f32_e32 v2, 0x2f800000, v1
	v_trunc_f32_e32 v2, v2
	v_fmamk_f32 v1, v2, 0xcf800000, v1
	v_cvt_u32_f32_e32 v2, v2
	v_cvt_u32_f32_e32 v1, v1
	v_readfirstlane_b32 s16, v2
	v_readfirstlane_b32 s17, v1
	s_mul_i32 s18, s10, s16
	s_mul_hi_u32 s20, s10, s17
	s_mul_i32 s19, s11, s17
	s_add_i32 s18, s20, s18
	s_add_i32 s18, s18, s19
	s_mul_i32 s21, s10, s17
	s_mul_hi_u32 s19, s17, s18
	s_mul_i32 s20, s17, s18
	s_mul_hi_u32 s17, s17, s21
	s_add_u32 s17, s17, s20
	s_addc_u32 s19, 0, s19
	s_mul_hi_u32 s22, s16, s21
	s_mul_i32 s21, s16, s21
	s_add_u32 s17, s17, s21
	s_mul_hi_u32 s20, s16, s18
	s_addc_u32 s17, s19, s22
	s_addc_u32 s19, s20, 0
	s_mul_i32 s18, s16, s18
	s_add_u32 s17, s17, s18
	s_addc_u32 s18, 0, s19
	v_add_co_u32_e32 v1, vcc, s17, v1
	s_cmp_lg_u64 vcc, 0
	s_addc_u32 s16, s16, s18
	v_readfirstlane_b32 s18, v1
	s_mul_i32 s17, s10, s16
	s_mul_hi_u32 s19, s10, s18
	s_add_i32 s17, s19, s17
	s_mul_i32 s11, s11, s18
	s_add_i32 s17, s17, s11
	s_mul_i32 s10, s10, s18
	s_mul_hi_u32 s19, s16, s10
	s_mul_i32 s20, s16, s10
	s_mul_i32 s22, s18, s17
	s_mul_hi_u32 s10, s18, s10
	s_mul_hi_u32 s21, s18, s17
	s_add_u32 s10, s10, s22
	s_addc_u32 s18, 0, s21
	s_add_u32 s10, s10, s20
	s_mul_hi_u32 s11, s16, s17
	s_addc_u32 s10, s18, s19
	s_addc_u32 s11, s11, 0
	s_mul_i32 s17, s16, s17
	s_add_u32 s10, s10, s17
	s_addc_u32 s11, 0, s11
	v_add_co_u32_e32 v1, vcc, s10, v1
	s_cmp_lg_u64 vcc, 0
	s_addc_u32 s18, s16, s11
	s_ashr_i32 s10, s9, 31
	s_add_u32 s16, s8, s10
	s_mov_b32 s11, s10
	s_addc_u32 s17, s9, s10
	s_xor_b64 s[16:17], s[16:17], s[10:11]
	v_readfirstlane_b32 s20, v1
	s_mul_i32 s19, s16, s18
	s_mul_hi_u32 s21, s16, s20
	s_mul_hi_u32 s9, s16, s18
	s_add_u32 s19, s21, s19
	s_addc_u32 s9, 0, s9
	s_mul_hi_u32 s22, s17, s20
	s_mul_i32 s20, s17, s20
	s_add_u32 s19, s19, s20
	s_mul_hi_u32 s21, s17, s18
	s_addc_u32 s9, s9, s22
	s_addc_u32 s19, s21, 0
	s_mul_i32 s18, s17, s18
	s_add_u32 s9, s9, s18
	s_addc_u32 s18, 0, s19
	s_add_u32 s19, s9, 1
	s_addc_u32 s20, s18, 0
	s_add_u32 s21, s9, 2
	s_mul_i32 s23, s5, s18
	s_mul_hi_u32 s24, s5, s9
	s_addc_u32 s22, s18, 0
	s_add_i32 s24, s24, s23
	s_mul_i32 s23, s5, s9
	v_mov_b32_e32 v1, s23
	v_sub_co_u32_e32 v1, vcc, s16, v1
	s_cmp_lg_u64 vcc, 0
	s_subb_u32 s16, s17, s24
	v_subrev_co_u32_e32 v2, vcc, s5, v1
	s_cmp_lg_u64 vcc, 0
	s_subb_u32 s17, s16, 0
	v_readfirstlane_b32 s23, v2
	s_cmp_ge_u32 s23, s5
	s_cselect_b32 s23, -1, 0
	s_cmp_eq_u32 s17, 0
	s_cselect_b32 s17, s23, -1
	s_cmp_lg_u32 s17, 0
	s_cselect_b32 s17, s22, s20
	v_readfirstlane_b32 s20, v1
	s_cselect_b32 s19, s21, s19
	s_cmp_ge_u32 s20, s5
	s_cselect_b32 s20, -1, 0
	s_cmp_eq_u32 s16, 0
	s_cselect_b32 s16, s20, -1
	s_cmp_lg_u32 s16, 0
	s_cselect_b32 s17, s17, s18
	s_cselect_b32 s16, s19, s9
	s_xor_b64 s[16:17], s[16:17], s[10:11]
	s_sub_u32 s20, s16, s10
	s_load_dwordx4 s[16:19], s[0:1], 0x44
	s_cbranch_execnz .LBB27_3
.LBB27_2:
	v_cvt_f32_u32_e32 v1, s5
	s_sub_i32 s6, 0, s5
	v_rcp_iflag_f32_e32 v1, v1
	s_nop 0
	v_mul_f32_e32 v1, 0x4f7ffffe, v1
	v_cvt_u32_f32_e32 v1, v1
	s_nop 0
	v_readfirstlane_b32 s7, v1
	s_mul_i32 s6, s6, s7
	s_mul_hi_u32 s6, s7, s6
	s_add_i32 s7, s7, s6
	s_mul_hi_u32 s6, s8, s7
	s_mul_i32 s9, s6, s5
	s_sub_i32 s8, s8, s9
	s_add_i32 s7, s6, 1
	s_sub_i32 s9, s8, s5
	s_cmp_ge_u32 s8, s5
	s_cselect_b32 s6, s7, s6
	s_cselect_b32 s8, s9, s8
	s_add_i32 s7, s6, 1
	s_cmp_ge_u32 s8, s5
	s_cselect_b32 s20, s7, s6
.LBB27_3:
	s_add_i32 s6, s2, 1
	s_mul_hi_i32 s9, s15, s6
	s_mov_b32 s8, 0
	s_cmp_lg_u64 s[8:9], 0
	s_mul_i32 s8, s15, s6
	s_cbranch_scc0 .LBB27_22
; %bb.4:
	v_cvt_f32_u32_e32 v1, s5
	v_cvt_f32_ubyte0_e32 v2, 0
	s_sub_u32 s10, 0, s5
	s_subb_u32 s11, 0, 0
	v_fmamk_f32 v1, v2, 0x4f800000, v1
	v_rcp_f32_e32 v1, v1
	s_nop 0
	v_mul_f32_e32 v1, 0x5f7ffffc, v1
	v_mul_f32_e32 v2, 0x2f800000, v1
	v_trunc_f32_e32 v2, v2
	v_fmamk_f32 v1, v2, 0xcf800000, v1
	v_cvt_u32_f32_e32 v2, v2
	v_cvt_u32_f32_e32 v1, v1
	s_waitcnt lgkmcnt(0)
	v_readfirstlane_b32 s19, v2
	v_readfirstlane_b32 s21, v1
	s_mul_i32 s22, s10, s19
	s_mul_hi_u32 s24, s10, s21
	s_mul_i32 s23, s11, s21
	s_add_i32 s22, s24, s22
	s_add_i32 s22, s22, s23
	s_mul_i32 s25, s10, s21
	s_mul_hi_u32 s23, s21, s22
	s_mul_i32 s24, s21, s22
	s_mul_hi_u32 s21, s21, s25
	s_add_u32 s21, s21, s24
	s_addc_u32 s23, 0, s23
	s_mul_hi_u32 s26, s19, s25
	s_mul_i32 s25, s19, s25
	s_add_u32 s21, s21, s25
	s_mul_hi_u32 s24, s19, s22
	s_addc_u32 s21, s23, s26
	s_addc_u32 s23, s24, 0
	s_mul_i32 s22, s19, s22
	s_add_u32 s21, s21, s22
	s_addc_u32 s22, 0, s23
	v_add_co_u32_e32 v1, vcc, s21, v1
	s_cmp_lg_u64 vcc, 0
	s_addc_u32 s19, s19, s22
	v_readfirstlane_b32 s22, v1
	s_mul_i32 s21, s10, s19
	s_mul_hi_u32 s23, s10, s22
	s_add_i32 s21, s23, s21
	s_mul_i32 s11, s11, s22
	s_add_i32 s21, s21, s11
	s_mul_i32 s10, s10, s22
	s_mul_hi_u32 s23, s19, s10
	s_mul_i32 s24, s19, s10
	s_mul_i32 s26, s22, s21
	s_mul_hi_u32 s10, s22, s10
	s_mul_hi_u32 s25, s22, s21
	s_add_u32 s10, s10, s26
	s_addc_u32 s22, 0, s25
	s_add_u32 s10, s10, s24
	s_mul_hi_u32 s11, s19, s21
	s_addc_u32 s10, s22, s23
	s_addc_u32 s11, s11, 0
	s_mul_i32 s21, s19, s21
	s_add_u32 s10, s10, s21
	s_addc_u32 s11, 0, s11
	v_add_co_u32_e32 v1, vcc, s10, v1
	s_cmp_lg_u64 vcc, 0
	s_addc_u32 s19, s19, s11
	s_ashr_i32 s10, s9, 31
	s_add_u32 s22, s8, s10
	s_mov_b32 s11, s10
	s_addc_u32 s23, s9, s10
	s_xor_b64 s[22:23], s[22:23], s[10:11]
	v_readfirstlane_b32 s21, v1
	s_mul_i32 s11, s22, s19
	s_mul_hi_u32 s24, s22, s21
	s_mul_hi_u32 s9, s22, s19
	s_add_u32 s11, s24, s11
	s_addc_u32 s9, 0, s9
	s_mul_hi_u32 s25, s23, s21
	s_mul_i32 s21, s23, s21
	s_add_u32 s11, s11, s21
	s_mul_hi_u32 s24, s23, s19
	s_addc_u32 s9, s9, s25
	s_addc_u32 s11, s24, 0
	s_mul_i32 s19, s23, s19
	s_add_u32 s9, s9, s19
	s_addc_u32 s11, 0, s11
	s_mul_i32 s11, s5, s11
	s_mul_hi_u32 s24, s5, s9
	s_add_i32 s24, s24, s11
	s_mul_i32 s11, s5, s9
	v_mov_b32_e32 v1, s11
	s_add_u32 s19, s9, 1
	s_add_u32 s21, s9, 2
	v_sub_co_u32_e32 v1, vcc, s22, v1
	s_cmp_lg_u64 vcc, 0
	s_subb_u32 s11, s23, s24
	v_subrev_co_u32_e32 v2, vcc, s5, v1
	s_cmp_lg_u64 vcc, 0
	s_subb_u32 s22, s11, 0
	v_cmp_le_u32_e32 vcc, s5, v2
	s_cmp_eq_u32 s22, 0
	v_mov_b32_e32 v3, s19
	v_cndmask_b32_e64 v2, 0, -1, vcc
	s_cselect_b64 vcc, -1, 0
	v_cndmask_b32_e32 v2, -1, v2, vcc
	v_mov_b32_e32 v4, s21
	v_cmp_ne_u32_e32 vcc, 0, v2
	s_cmp_eq_u32 s11, 0
	s_nop 0
	v_cndmask_b32_e32 v2, v3, v4, vcc
	v_cmp_le_u32_e32 vcc, s5, v1
	v_mov_b32_e32 v3, s9
	s_nop 0
	v_cndmask_b32_e64 v1, 0, -1, vcc
	s_cselect_b64 vcc, -1, 0
	v_cndmask_b32_e32 v1, -1, v1, vcc
	v_cmp_ne_u32_e32 vcc, 0, v1
	s_nop 1
	v_cndmask_b32_e32 v1, v3, v2, vcc
	v_xor_b32_e32 v1, s10, v1
	v_subrev_co_u32_e32 v2, vcc, s10, v1
	s_cbranch_execnz .LBB27_6
.LBB27_5:
	v_cvt_f32_u32_e32 v1, s5
	s_sub_i32 s6, 0, s5
	s_mov_b32 s7, 0
	v_rcp_iflag_f32_e32 v1, v1
	s_nop 0
	v_mul_f32_e32 v1, 0x4f7ffffe, v1
	v_cvt_u32_f32_e32 v1, v1
	s_nop 0
	v_readfirstlane_b32 s9, v1
	s_mul_i32 s6, s6, s9
	s_mul_hi_u32 s6, s9, s6
	s_add_i32 s9, s9, s6
	s_mul_hi_u32 s6, s8, s9
	s_mul_i32 s10, s6, s5
	s_sub_i32 s8, s8, s10
	s_add_i32 s9, s6, 1
	s_sub_i32 s10, s8, s5
	s_cmp_ge_u32 s8, s5
	s_cselect_b32 s6, s9, s6
	s_cselect_b32 s8, s10, s8
	s_add_i32 s9, s6, 1
	s_cmp_ge_u32 s8, s5
	s_cselect_b32 s6, s9, s6
	v_mov_b64_e32 v[2:3], s[6:7]
.LBB27_6:
	s_waitcnt lgkmcnt(0)
	s_mul_hi_u32 s6, s20, s16
	s_add_i32 s6, s6, s20
	v_mul_hi_u32 v1, v2, s16
	s_lshr_b32 s19, s6, s17
	v_add_u32_e32 v1, v1, v2
	s_mul_i32 s6, s19, s18
	v_lshrrev_b32_e32 v1, s17, v1
	s_cmp_eq_u32 s6, s20
	v_cmp_eq_u32_e64 s[6:7], s19, v1
	v_mul_lo_u32 v1, v1, s18
	v_cmp_eq_u32_e32 vcc, s20, v2
	s_cselect_b64 s[10:11], -1, 0
	v_cmp_ne_u32_e64 s[8:9], v1, v2
	s_and_b64 s[6:7], s[6:7], s[8:9]
	s_or_b64 s[8:9], vcc, s[10:11]
	s_or_b64 s[6:7], s[8:9], s[6:7]
	s_and_b64 vcc, exec, s[6:7]
	s_cbranch_vccnz .LBB27_24
; %bb.7:
	s_load_dwordx8 s[24:31], s[0:1], 0x20
	s_load_dword s6, s[0:1], 0x40
	s_waitcnt lgkmcnt(0)
	s_mul_hi_u32 s7, s20, s24
	s_add_i32 s7, s7, s20
	s_lshr_b32 s7, s7, s25
	s_mul_i32 s8, s7, s26
	s_sub_i32 s8, s20, s8
	s_mul_hi_u32 s9, s8, s27
	s_add_i32 s9, s8, s9
	s_lshr_b32 s23, s9, s28
	s_mul_i32 s9, s23, s29
	s_sub_i32 s8, s8, s9
	;; [unrolled: 5-line block ×3, first 2 shown]
	s_mul_hi_u32 s8, s6, s16
	s_add_i32 s6, s6, s8
	s_lshr_b32 s24, s6, s17
	s_lshl_b32 s6, s24, 5
	s_add_i32 s6, s6, s3
	s_cmp_lt_i32 s6, s12
	s_cselect_b64 s[8:9], -1, 0
	s_add_i32 s6, s22, s4
	s_cmp_lt_i32 s6, s14
	s_cselect_b64 s[10:11], -1, 0
	s_and_b64 s[8:9], s[8:9], s[10:11]
	s_andn2_b64 vcc, exec, s[8:9]
	s_mov_b32 s6, 0
	s_cbranch_vccnz .LBB27_24
; %bb.8:
	s_load_dwordx4 s[8:11], s[0:1], 0x0
	s_lshl_b32 s0, s5, 7
	s_mov_b32 s1, s6
	s_add_i32 s21, s3, s4
	s_lshl_b64 s[0:1], s[0:1], 2
	s_waitcnt lgkmcnt(0)
	v_mov_b32_e32 v2, s8
	s_add_u32 s8, s10, s0
	s_mul_i32 s0, s7, s12
	v_mov_b32_e32 v3, s9
	s_addc_u32 s9, s11, s1
	s_add_i32 s0, s0, s3
	s_mul_i32 s0, s0, s13
	s_mul_i32 s23, s23, s14
	s_add_i32 s0, s0, s4
	s_add_i32 s0, s0, s23
	s_mul_i32 s1, s13, s24
	s_add_i32 s0, s0, s22
	s_lshl_b32 s1, s1, 12
	s_lshl_b32 s0, s0, 7
	s_add_i32 s1, s1, s0
	v_or_b32_e32 v4, s1, v0
	v_ashrrev_i32_e32 v5, 31, v4
	v_lshl_add_u64 v[2:3], v[4:5], 2, v[2:3]
	global_load_dword v5, v[2:3], off
	v_lshl_or_b32 v4, s21, 7, v0
	v_cvt_f32_u32_e32 v0, s5
	v_cvt_f32_ubyte0_e32 v1, 0
	s_lshl_b32 s0, s2, 5
	s_add_i32 s0, s0, s21
	v_fmac_f32_e32 v0, 0x4f800000, v1
	v_rcp_f32_e32 v0, v0
	v_cvt_f32_u32_e32 v1, s5
	s_ashr_i32 s1, s0, 31
	s_lshl_b64 s[0:1], s[0:1], 3
	v_mul_f32_e32 v0, 0x5f7ffffc, v0
	v_rcp_iflag_f32_e32 v1, v1
	s_add_u32 s0, s10, s0
	v_mul_f32_e32 v9, 0x2f800000, v0
	s_addc_u32 s1, s11, s1
	v_trunc_f32_e32 v10, v9
	s_load_dwordx2 s[0:1], s[0:1], 0x0
	v_fmac_f32_e32 v0, 0xcf800000, v10
	v_cvt_u32_f32_e32 v9, v0
	v_mul_f32_e32 v0, 0x4f7ffffe, v1
	v_cvt_u32_f32_e32 v10, v10
	v_cvt_u32_f32_e32 v11, v0
	s_add_i32 s13, s2, -1
	s_waitcnt lgkmcnt(0)
	v_mov_b32_e32 v6, s1
	v_mov_b32_e32 v7, s0
	;; [unrolled: 1-line block ×3, first 2 shown]
	s_mov_b32 s4, 0x3fb8aa3b
	s_mov_b32 s12, 0xc2ce8ed0
	;; [unrolled: 1-line block ×4, first 2 shown]
	v_mov_b32_e32 v12, 0x7f800000
	s_mul_hi_i32 s7, s13, s15
	s_cmp_lg_u64 s[6:7], 0
	s_mul_i32 s2, s13, s15
	s_cbranch_scc0 .LBB27_15
.LBB27_9:
	s_sub_u32 s0, 0, s5
	v_readfirstlane_b32 s3, v9
	v_readfirstlane_b32 s24, v10
	s_subb_u32 s1, 0, 0
	s_mul_hi_u32 s23, s0, s3
	s_mul_i32 s25, s0, s24
	s_mul_i32 s22, s1, s3
	s_add_i32 s23, s23, s25
	s_add_i32 s23, s23, s22
	s_mul_i32 s26, s0, s3
	s_mul_hi_u32 s22, s3, s23
	s_mul_i32 s25, s3, s23
	s_mul_hi_u32 s3, s3, s26
	s_add_u32 s3, s3, s25
	s_addc_u32 s22, 0, s22
	s_mul_hi_u32 s27, s24, s26
	s_mul_i32 s26, s24, s26
	s_add_u32 s3, s3, s26
	s_mul_hi_u32 s25, s24, s23
	s_addc_u32 s3, s22, s27
	s_addc_u32 s22, s25, 0
	s_mul_i32 s23, s24, s23
	s_add_u32 s3, s3, s23
	s_addc_u32 s22, 0, s22
	v_add_co_u32_e32 v0, vcc, s3, v9
	s_cmp_lg_u64 vcc, 0
	s_addc_u32 s3, s24, s22
	v_readfirstlane_b32 s23, v0
	s_mul_i32 s22, s0, s3
	s_mul_hi_u32 s24, s0, s23
	s_add_i32 s22, s24, s22
	s_mul_i32 s1, s1, s23
	s_add_i32 s22, s22, s1
	s_mul_i32 s0, s0, s23
	s_mul_hi_u32 s24, s3, s0
	s_mul_i32 s25, s3, s0
	s_mul_i32 s27, s23, s22
	s_mul_hi_u32 s0, s23, s0
	s_mul_hi_u32 s26, s23, s22
	s_add_u32 s0, s0, s27
	s_addc_u32 s23, 0, s26
	s_add_u32 s0, s0, s25
	s_mul_hi_u32 s1, s3, s22
	s_addc_u32 s0, s23, s24
	s_addc_u32 s1, s1, 0
	s_mul_i32 s22, s3, s22
	s_add_u32 s0, s0, s22
	s_addc_u32 s1, 0, s1
	v_add_co_u32_e32 v0, vcc, s0, v0
	s_cmp_lg_u64 vcc, 0
	s_addc_u32 s3, s3, s1
	s_ashr_i32 s0, s7, 31
	s_add_u32 s22, s2, s0
	s_mov_b32 s1, s0
	s_addc_u32 s23, s7, s0
	s_xor_b64 s[22:23], s[22:23], s[0:1]
	v_readfirstlane_b32 s24, v0
	s_mul_i32 s7, s22, s3
	s_mul_hi_u32 s25, s22, s24
	s_mul_hi_u32 s1, s22, s3
	s_add_u32 s7, s25, s7
	s_addc_u32 s1, 0, s1
	s_mul_hi_u32 s26, s23, s24
	s_mul_i32 s24, s23, s24
	s_add_u32 s7, s7, s24
	s_mul_hi_u32 s25, s23, s3
	s_addc_u32 s1, s1, s26
	s_addc_u32 s7, s25, 0
	s_mul_i32 s3, s23, s3
	s_add_u32 s1, s1, s3
	s_addc_u32 s3, 0, s7
	s_mul_i32 s3, s5, s3
	s_mul_hi_u32 s25, s5, s1
	s_add_i32 s25, s25, s3
	s_mul_i32 s3, s5, s1
	v_mov_b32_e32 v0, s3
	s_add_u32 s7, s1, 1
	s_add_u32 s24, s1, 2
	v_sub_co_u32_e32 v0, vcc, s22, v0
	s_cmp_lg_u64 vcc, 0
	s_subb_u32 s3, s23, s25
	v_subrev_co_u32_e32 v1, vcc, s5, v0
	s_cmp_lg_u64 vcc, 0
	s_subb_u32 s22, s3, 0
	v_cmp_le_u32_e32 vcc, s5, v1
	s_cmp_eq_u32 s22, 0
	v_mov_b32_e32 v13, s7
	v_cndmask_b32_e64 v1, 0, -1, vcc
	s_cselect_b64 vcc, -1, 0
	v_cndmask_b32_e32 v1, -1, v1, vcc
	v_mov_b32_e32 v14, s24
	v_cmp_ne_u32_e32 vcc, 0, v1
	s_cmp_eq_u32 s3, 0
	s_nop 0
	v_cndmask_b32_e32 v1, v13, v14, vcc
	v_cmp_le_u32_e32 vcc, s5, v0
	v_mov_b32_e32 v13, s1
	s_nop 0
	v_cndmask_b32_e64 v0, 0, -1, vcc
	s_cselect_b64 vcc, -1, 0
	v_cndmask_b32_e32 v0, -1, v0, vcc
	v_cmp_ne_u32_e32 vcc, 0, v0
	s_nop 1
	v_cndmask_b32_e32 v0, v13, v1, vcc
	v_xor_b32_e32 v0, s0, v0
	v_subrev_co_u32_e32 v0, vcc, s0, v0
	s_cbranch_execnz .LBB27_11
.LBB27_10:
	s_sub_i32 s0, 0, s5
	v_mul_lo_u32 v0, s0, v11
	v_mul_hi_u32 v0, v11, v0
	v_add_u32_e32 v0, v11, v0
	v_mul_hi_u32 v0, s2, v0
	v_mul_lo_u32 v13, v0, s5
	v_sub_u32_e32 v13, s2, v13
	v_add_u32_e32 v1, 1, v0
	v_subrev_u32_e32 v14, s5, v13
	v_cmp_le_u32_e32 vcc, s5, v13
	s_nop 1
	v_cndmask_b32_e32 v13, v13, v14, vcc
	v_cndmask_b32_e32 v0, v0, v1, vcc
	v_add_u32_e32 v1, 1, v0
	v_cmp_le_u32_e32 vcc, s5, v13
	s_nop 1
	v_cndmask_b32_e32 v0, v0, v1, vcc
.LBB27_11:
	v_cmp_ne_u32_e32 vcc, v8, v0
	s_cbranch_vccz .LBB27_14
; %bb.12:
	s_add_i32 s0, s13, s5
	s_lshl_b32 s0, s0, 5
	v_mul_hi_u32 v1, v0, s16
	s_add_i32 s0, s0, s21
	s_mov_b32 s1, s6
	v_add_u32_e32 v1, v1, v0
	s_lshl_b64 s[0:1], s[0:1], 3
	v_lshrrev_b32_e32 v1, s17, v1
	s_add_u32 s2, s10, s0
	v_mul_lo_u32 v13, v1, s18
	s_addc_u32 s3, s11, s1
	v_cmp_eq_u32_e32 vcc, v13, v0
	v_cmp_gt_u32_e64 s[0:1], s19, v1
	s_or_b64 s[0:1], s[0:1], vcc
	s_and_b64 vcc, exec, s[0:1]
	s_cbranch_vccnz .LBB27_16
; %bb.13:
	s_add_i32 s7, s13, -1
	s_mov_b64 s[0:1], 0
	s_branch .LBB27_17
.LBB27_14:
                                        ; implicit-def: $sgpr0_sgpr1
                                        ; implicit-def: $vgpr14
                                        ; implicit-def: $vgpr1
                                        ; implicit-def: $vgpr13
                                        ; implicit-def: $sgpr7
                                        ; implicit-def: $vgpr0
	s_branch .LBB27_18
.LBB27_15:
                                        ; implicit-def: $vgpr0_vgpr1
	s_branch .LBB27_10
.LBB27_16:
	s_mov_b64 s[0:1], -1
	s_mov_b32 s7, s13
	v_mov_b32_e32 v0, v8
.LBB27_17:
	v_lshl_add_u32 v14, s13, 12, v4
	v_ashrrev_i32_e32 v15, 31, v14
	v_lshl_add_u64 v[14:15], v[14:15], 2, s[8:9]
	global_load_dword v14, v[14:15], off
	s_load_dwordx2 s[2:3], s[2:3], 0x0
	v_max_f32_e32 v1, v7, v7
	s_waitcnt lgkmcnt(0)
	v_max_f32_e64 v13, s2, s2
	v_max_f32_e32 v1, v1, v13
	v_sub_f32_e32 v13, v7, v1
	v_sub_f32_e32 v15, s2, v1
	v_mul_f32_e32 v16, 0x3fb8aa3b, v13
	v_mul_f32_e32 v17, 0x3fb8aa3b, v15
	v_fma_f32 v18, v13, s4, -v16
	v_rndne_f32_e32 v19, v16
	v_fma_f32 v20, v15, s4, -v17
	v_rndne_f32_e32 v21, v17
	v_fmac_f32_e32 v18, 0x32a5705f, v13
	v_sub_f32_e32 v16, v16, v19
	v_fmac_f32_e32 v20, 0x32a5705f, v15
	v_sub_f32_e32 v17, v17, v21
	v_add_f32_e32 v16, v16, v18
	v_cvt_i32_f32_e32 v19, v19
	v_add_f32_e32 v17, v17, v20
	v_exp_f32_e32 v16, v16
	v_cvt_i32_f32_e32 v21, v21
	v_exp_f32_e32 v17, v17
	v_cmp_ngt_f32_e32 vcc, s12, v13
	v_ldexp_f32 v16, v16, v19
	v_ldexp_f32 v17, v17, v21
	v_cndmask_b32_e32 v16, 0, v16, vcc
	v_cmp_ngt_f32_e32 vcc, s12, v15
	s_nop 1
	v_cndmask_b32_e32 v17, 0, v17, vcc
	v_cmp_nlt_f32_e32 vcc, s14, v13
	s_nop 1
	v_cndmask_b32_e32 v16, v12, v16, vcc
	v_cmp_nlt_f32_e32 vcc, s14, v15
	s_nop 1
	v_cndmask_b32_e32 v17, v12, v17, vcc
	v_cmp_le_f32_e32 vcc, s20, v13
	s_nop 1
	v_cndmask_b32_e32 v16, 0, v16, vcc
	v_cmp_le_f32_e32 vcc, s20, v15
	s_nop 1
	v_cndmask_b32_e32 v15, 0, v17, vcc
	v_mul_f32_e32 v13, s3, v15
	v_fmac_f32_e32 v13, v6, v16
	s_waitcnt vmcnt(0)
	v_mul_f32_e32 v14, v14, v15
	v_fmac_f32_e32 v14, v5, v16
	s_cbranch_execnz .LBB27_19
.LBB27_18:
	s_add_i32 s7, s13, -1
	s_mov_b64 s[0:1], 0
	v_mov_b32_e32 v0, v8
	v_mov_b32_e32 v13, v6
	;; [unrolled: 1-line block ×3, first 2 shown]
	s_waitcnt vmcnt(0)
	v_mov_b32_e32 v14, v5
.LBB27_19:
	s_andn2_b64 vcc, exec, s[0:1]
	s_cbranch_vccz .LBB27_23
; %bb.20:
	v_mov_b32_e32 v8, v0
	s_mov_b32 s13, s7
	v_mov_b32_e32 v6, v13
	v_mov_b32_e32 v7, v1
	s_waitcnt vmcnt(0)
	v_mov_b32_e32 v5, v14
	s_mul_hi_i32 s7, s13, s15
	s_cmp_lg_u64 s[6:7], 0
	s_mul_i32 s2, s13, s15
	s_cbranch_scc1 .LBB27_9
	s_branch .LBB27_15
.LBB27_21:
                                        ; implicit-def: $sgpr20_sgpr21
	s_load_dwordx4 s[16:19], s[0:1], 0x44
	s_branch .LBB27_2
.LBB27_22:
                                        ; implicit-def: $vgpr2_vgpr3
	s_branch .LBB27_5
.LBB27_23:
	v_div_scale_f32 v0, s[0:1], v13, v13, v14
	v_rcp_f32_e32 v1, v0
	v_div_scale_f32 v4, vcc, v14, v13, v14
	s_waitcnt vmcnt(0)
	v_fma_f32 v5, -v0, v1, 1.0
	v_fmac_f32_e32 v1, v5, v1
	v_mul_f32_e32 v5, v4, v1
	v_fma_f32 v6, -v0, v5, v4
	v_fmac_f32_e32 v5, v6, v1
	v_fma_f32 v0, -v0, v5, v4
	v_div_fmas_f32 v0, v0, v1, v5
	v_div_fixup_f32 v0, v0, v13, v14
	global_store_dword v[2:3], v0, off
.LBB27_24:
	s_endpgm
	.section	.rodata,"a",@progbits
	.p2align	6, 0x0
	.amdhsa_kernel _ZL33flash_attn_stream_k_fixup_generalILi128ELi32ELi1EEvPfPK15HIP_vector_typeIfLj2EEiiiiS1_IjLj3EES5_S5_S5_
		.amdhsa_group_segment_fixed_size 0
		.amdhsa_private_segment_fixed_size 0
		.amdhsa_kernarg_size 336
		.amdhsa_user_sgpr_count 2
		.amdhsa_user_sgpr_dispatch_ptr 0
		.amdhsa_user_sgpr_queue_ptr 0
		.amdhsa_user_sgpr_kernarg_segment_ptr 1
		.amdhsa_user_sgpr_dispatch_id 0
		.amdhsa_user_sgpr_kernarg_preload_length 0
		.amdhsa_user_sgpr_kernarg_preload_offset 0
		.amdhsa_user_sgpr_private_segment_size 0
		.amdhsa_uses_dynamic_stack 0
		.amdhsa_enable_private_segment 0
		.amdhsa_system_sgpr_workgroup_id_x 1
		.amdhsa_system_sgpr_workgroup_id_y 1
		.amdhsa_system_sgpr_workgroup_id_z 1
		.amdhsa_system_sgpr_workgroup_info 0
		.amdhsa_system_vgpr_workitem_id 0
		.amdhsa_next_free_vgpr 22
		.amdhsa_next_free_sgpr 32
		.amdhsa_accum_offset 24
		.amdhsa_reserve_vcc 1
		.amdhsa_float_round_mode_32 0
		.amdhsa_float_round_mode_16_64 0
		.amdhsa_float_denorm_mode_32 3
		.amdhsa_float_denorm_mode_16_64 3
		.amdhsa_dx10_clamp 1
		.amdhsa_ieee_mode 1
		.amdhsa_fp16_overflow 0
		.amdhsa_tg_split 0
		.amdhsa_exception_fp_ieee_invalid_op 0
		.amdhsa_exception_fp_denorm_src 0
		.amdhsa_exception_fp_ieee_div_zero 0
		.amdhsa_exception_fp_ieee_overflow 0
		.amdhsa_exception_fp_ieee_underflow 0
		.amdhsa_exception_fp_ieee_inexact 0
		.amdhsa_exception_int_div_zero 0
	.end_amdhsa_kernel
	.section	.text._ZL33flash_attn_stream_k_fixup_generalILi128ELi32ELi1EEvPfPK15HIP_vector_typeIfLj2EEiiiiS1_IjLj3EES5_S5_S5_,"axG",@progbits,_ZL33flash_attn_stream_k_fixup_generalILi128ELi32ELi1EEvPfPK15HIP_vector_typeIfLj2EEiiiiS1_IjLj3EES5_S5_S5_,comdat
.Lfunc_end27:
	.size	_ZL33flash_attn_stream_k_fixup_generalILi128ELi32ELi1EEvPfPK15HIP_vector_typeIfLj2EEiiiiS1_IjLj3EES5_S5_S5_, .Lfunc_end27-_ZL33flash_attn_stream_k_fixup_generalILi128ELi32ELi1EEvPfPK15HIP_vector_typeIfLj2EEiiiiS1_IjLj3EES5_S5_S5_
                                        ; -- End function
	.section	.AMDGPU.csdata,"",@progbits
; Kernel info:
; codeLenInByte = 2856
; NumSgprs: 38
; NumVgprs: 22
; NumAgprs: 0
; TotalNumVgprs: 22
; ScratchSize: 0
; MemoryBound: 0
; FloatMode: 240
; IeeeMode: 1
; LDSByteSize: 0 bytes/workgroup (compile time only)
; SGPRBlocks: 4
; VGPRBlocks: 2
; NumSGPRsForWavesPerEU: 38
; NumVGPRsForWavesPerEU: 22
; AccumOffset: 24
; Occupancy: 8
; WaveLimiterHint : 0
; COMPUTE_PGM_RSRC2:SCRATCH_EN: 0
; COMPUTE_PGM_RSRC2:USER_SGPR: 2
; COMPUTE_PGM_RSRC2:TRAP_HANDLER: 0
; COMPUTE_PGM_RSRC2:TGID_X_EN: 1
; COMPUTE_PGM_RSRC2:TGID_Y_EN: 1
; COMPUTE_PGM_RSRC2:TGID_Z_EN: 1
; COMPUTE_PGM_RSRC2:TIDIG_COMP_CNT: 0
; COMPUTE_PGM_RSRC3_GFX90A:ACCUM_OFFSET: 5
; COMPUTE_PGM_RSRC3_GFX90A:TG_SPLIT: 0
	.section	.text._ZL26flash_attn_combine_resultsILi128EEvPKfPK15HIP_vector_typeIfLj2EEPfi,"axG",@progbits,_ZL26flash_attn_combine_resultsILi128EEvPKfPK15HIP_vector_typeIfLj2EEPfi,comdat
	.globl	_ZL26flash_attn_combine_resultsILi128EEvPKfPK15HIP_vector_typeIfLj2EEPfi ; -- Begin function _ZL26flash_attn_combine_resultsILi128EEvPKfPK15HIP_vector_typeIfLj2EEPfi
	.p2align	8
	.type	_ZL26flash_attn_combine_resultsILi128EEvPKfPK15HIP_vector_typeIfLj2EEPfi,@function
_ZL26flash_attn_combine_resultsILi128EEvPKfPK15HIP_vector_typeIfLj2EEPfi: ; @_ZL26flash_attn_combine_resultsILi128EEvPKfPK15HIP_vector_typeIfLj2EEPfi
; %bb.0:
	s_load_dwordx2 s[6:7], s[0:1], 0x20
	s_load_dword s19, s[0:1], 0x18
	s_load_dwordx4 s[8:11], s[0:1], 0x0
	s_load_dwordx2 s[14:15], s[0:1], 0x10
	s_waitcnt lgkmcnt(0)
	s_mul_i32 s0, s6, s4
	s_add_i32 s0, s0, s2
	s_mul_i32 s18, s0, s7
	s_add_i32 s18, s18, s3
	s_lshl_b32 s20, s19, 1
	s_mul_i32 s0, s18, s19
	v_cmp_gt_i32_e32 vcc, s20, v0
	s_and_saveexec_b64 s[2:3], vcc
	s_cbranch_execz .LBB28_13
; %bb.1:
	v_xad_u32 v1, v0, -1, s20
	s_movk_i32 s4, 0x7f
	s_ashr_i32 s1, s0, 31
	v_cmp_lt_u32_e32 vcc, s4, v1
	s_mov_b64 s[6:7], -1
	v_mov_b32_e32 v2, v0
	s_and_saveexec_b64 s[4:5], vcc
	s_cbranch_execz .LBB28_10
; %bb.2:
	v_lshrrev_b32_e32 v6, 7, v1
	s_lshl_b64 s[6:7], s[0:1], 3
	v_add_u32_e32 v2, -1, v6
	s_add_u32 s6, s10, s6
	v_or_b32_e32 v1, 0x80, v0
	v_lshrrev_b32_e32 v3, 1, v2
	s_addc_u32 s7, s11, s7
	v_add_u32_e32 v7, 1, v3
	v_cmp_lt_u32_e32 vcc, 13, v2
	v_mov_b32_e32 v4, 0
	v_mov_b64_e32 v[2:3], v[0:1]
	s_and_saveexec_b64 s[12:13], vcc
	s_cbranch_execz .LBB28_6
; %bb.3:
	v_and_b32_e32 v8, -8, v7
	s_mov_b32 s21, 0
	v_lshl_add_u32 v9, v0, 2, 0
	s_mov_b64 s[16:17], 0
	v_mov_b32_e32 v5, 0
	v_mov_b64_e32 v[2:3], v[0:1]
.LBB28_4:                               ; =>This Inner Loop Header: Depth=1
	v_mov_b32_e32 v4, v2
	v_lshl_add_u64 v[24:25], v[4:5], 2, s[6:7]
	v_mov_b32_e32 v4, v3
	v_lshl_add_u64 v[26:27], v[4:5], 2, s[6:7]
	v_add_u32_e32 v4, 0x100, v2
	v_add_u32_e32 v10, 0x100, v3
	v_mov_b32_e32 v11, v5
	global_load_dword v1, v[24:25], off
	global_load_dword v28, v[26:27], off
	v_lshl_add_u64 v[24:25], v[4:5], 2, s[6:7]
	v_add_u32_e32 v4, 0x200, v2
	v_lshl_add_u64 v[10:11], v[10:11], 2, s[6:7]
	v_lshl_add_u64 v[26:27], v[4:5], 2, s[6:7]
	v_add_u32_e32 v4, 0x300, v2
	v_add_u32_e32 v12, 0x200, v3
	v_mov_b32_e32 v13, v5
	v_add_u32_e32 v14, 0x300, v3
	v_mov_b32_e32 v15, v5
	global_load_dword v29, v[24:25], off
	global_load_dword v30, v[10:11], off
	v_lshl_add_u64 v[10:11], v[4:5], 2, s[6:7]
	v_add_u32_e32 v4, 0x400, v2
	v_lshl_add_u64 v[12:13], v[12:13], 2, s[6:7]
	v_lshl_add_u64 v[14:15], v[14:15], 2, s[6:7]
	global_load_dword v24, v[26:27], off
	global_load_dword v25, v[12:13], off
	;; [unrolled: 1-line block ×4, first 2 shown]
	v_lshl_add_u64 v[10:11], v[4:5], 2, s[6:7]
	v_add_u32_e32 v4, 0x500, v2
	v_add_u32_e32 v16, 0x400, v3
	v_mov_b32_e32 v17, v5
	v_add_u32_e32 v18, 0x500, v3
	v_mov_b32_e32 v19, v5
	v_lshl_add_u64 v[12:13], v[4:5], 2, s[6:7]
	v_add_u32_e32 v4, 0x600, v2
	v_add_u32_e32 v20, 0x600, v3
	v_mov_b32_e32 v21, v5
	v_add_u32_e32 v22, 0x700, v3
	v_mov_b32_e32 v23, v5
	v_lshl_add_u64 v[16:17], v[16:17], 2, s[6:7]
	v_lshl_add_u64 v[18:19], v[18:19], 2, s[6:7]
	global_load_dword v14, v[10:11], off
	global_load_dword v15, v[16:17], off
	v_lshl_add_u64 v[10:11], v[4:5], 2, s[6:7]
	v_add_u32_e32 v4, 0x700, v2
	v_lshl_add_u64 v[20:21], v[20:21], 2, s[6:7]
	v_lshl_add_u64 v[22:23], v[22:23], 2, s[6:7]
	global_load_dword v16, v[12:13], off
	global_load_dword v17, v[18:19], off
	v_lshl_add_u64 v[12:13], v[4:5], 2, s[6:7]
	global_load_dword v18, v[10:11], off
	global_load_dword v19, v[20:21], off
	;; [unrolled: 1-line block ×4, first 2 shown]
	v_add_u32_e32 v8, -8, v8
	s_add_i32 s21, s21, 16
	v_cmp_eq_u32_e32 vcc, 0, v8
	v_add_u32_e32 v3, 0x800, v3
	v_mov_b32_e32 v4, s21
	s_or_b64 s[16:17], vcc, s[16:17]
	v_add_u32_e32 v2, 0x800, v2
	s_waitcnt vmcnt(14)
	ds_write2st64_b32 v9, v1, v28 offset1:2
	s_waitcnt vmcnt(12)
	ds_write2st64_b32 v9, v29, v30 offset0:4 offset1:6
	s_waitcnt vmcnt(10)
	ds_write2st64_b32 v9, v24, v25 offset0:8 offset1:10
	;; [unrolled: 2-line block ×7, first 2 shown]
	v_add_u32_e32 v9, 0x2000, v9
	s_andn2_b64 exec, exec, s[16:17]
	s_cbranch_execnz .LBB28_4
; %bb.5:
	s_or_b64 exec, exec, s[16:17]
.LBB28_6:
	s_or_b64 exec, exec, s[12:13]
	v_and_b32_e32 v1, 7, v7
	v_cmp_ne_u32_e32 vcc, 0, v1
	s_and_saveexec_b64 s[12:13], vcc
	s_cbranch_execz .LBB28_9
; %bb.7:
	v_lshlrev_b32_e32 v5, 2, v0
	v_lshl_or_b32 v4, v4, 9, v5
	v_add_u32_e32 v7, 0, v4
	s_mov_b64 s[16:17], 0
	v_mov_b32_e32 v5, 0
.LBB28_8:                               ; =>This Inner Loop Header: Depth=1
	v_mov_b32_e32 v4, v2
	v_lshl_add_u64 v[8:9], v[4:5], 2, s[6:7]
	v_mov_b32_e32 v4, v3
	v_lshl_add_u64 v[10:11], v[4:5], 2, s[6:7]
	global_load_dword v4, v[8:9], off
	global_load_dword v12, v[10:11], off
	v_add_u32_e32 v1, -1, v1
	v_cmp_eq_u32_e32 vcc, 0, v1
	v_add_u32_e32 v2, 0x100, v2
	v_add_u32_e32 v3, 0x100, v3
	s_or_b64 s[16:17], vcc, s[16:17]
	s_waitcnt vmcnt(0)
	ds_write2st64_b32 v7, v4, v12 offset1:2
	v_add_u32_e32 v7, 0x400, v7
	s_andn2_b64 exec, exec, s[16:17]
	s_cbranch_execnz .LBB28_8
.LBB28_9:
	s_or_b64 exec, exec, s[12:13]
	v_add_u32_e32 v1, 1, v6
	v_and_b32_e32 v3, 0x3fffffe, v1
	v_cmp_ne_u32_e32 vcc, v1, v3
	v_lshl_or_b32 v2, v3, 7, v0
	s_orn2_b64 s[6:7], vcc, exec
.LBB28_10:
	s_or_b64 exec, exec, s[4:5]
	s_and_b64 exec, exec, s[6:7]
	s_cbranch_execz .LBB28_13
; %bb.11:
	s_lshl_b64 s[4:5], s[0:1], 3
	s_add_u32 s4, s10, s4
	v_mov_b32_e32 v3, 0
	s_addc_u32 s5, s11, s5
	v_lshl_add_u64 v[4:5], v[2:3], 2, s[4:5]
	v_lshl_add_u32 v1, v2, 2, 0
	s_mov_b64 s[4:5], 0
	s_mov_b64 s[6:7], 0x200
.LBB28_12:                              ; =>This Inner Loop Header: Depth=1
	global_load_dword v3, v[4:5], off
	v_add_u32_e32 v2, 0x80, v2
	v_cmp_le_i32_e32 vcc, s20, v2
	v_lshl_add_u64 v[4:5], v[4:5], 0, s[6:7]
	s_or_b64 s[4:5], vcc, s[4:5]
	s_waitcnt vmcnt(0)
	ds_write_b32 v1, v3
	v_add_u32_e32 v1, 0x200, v1
	s_andn2_b64 exec, exec, s[4:5]
	s_cbranch_execnz .LBB28_12
.LBB28_13:
	s_or_b64 exec, exec, s[2:3]
	v_mov_b32_e32 v1, 0
	s_waitcnt lgkmcnt(0)
	s_barrier
	ds_read_b32 v1, v1
	s_cmp_lt_i32 s19, 2
	s_cbranch_scc1 .LBB28_21
; %bb.14:
	s_add_i32 s1, s19, -1
	s_add_i32 s2, s19, -2
	s_cmp_lt_u32 s2, 7
	s_cbranch_scc1 .LBB28_18
; %bb.15:
	s_mov_b32 s4, 0
	s_add_i32 s2, 0, 8
	s_and_b32 s3, s1, -8
.LBB28_16:                              ; =>This Inner Loop Header: Depth=1
	v_mov_b32_e32 v8, s2
	ds_read2_b32 v[2:3], v8 offset1:2
	ds_read2_b32 v[4:5], v8 offset0:4 offset1:6
	ds_read2_b32 v[6:7], v8 offset0:8 offset1:10
	;; [unrolled: 1-line block ×3, first 2 shown]
	s_mov_b32 s5, s4
	s_waitcnt lgkmcnt(3)
	v_max3_f32 v1, v1, v2, v3
	s_waitcnt lgkmcnt(2)
	v_max3_f32 v1, v1, v4, v5
	s_add_i32 s2, s2, 64
	s_add_i32 s4, s4, 8
	s_waitcnt lgkmcnt(1)
	v_max3_f32 v1, v1, v6, v7
	s_cmp_eq_u32 s3, s4
	s_waitcnt lgkmcnt(0)
	v_max3_f32 v1, v1, v8, v9
	s_cbranch_scc0 .LBB28_16
; %bb.17:
	s_add_i32 s2, s5, 9
	s_and_b32 s1, s1, 7
	s_cmp_eq_u32 s1, 0
	s_cbranch_scc0 .LBB28_19
	s_branch .LBB28_21
.LBB28_18:
	s_mov_b32 s2, 1
	s_and_b32 s1, s1, 7
	s_cmp_eq_u32 s1, 0
	s_cbranch_scc1 .LBB28_21
.LBB28_19:
	s_lshl_b32 s2, s2, 3
	s_add_i32 s2, s2, 0
.LBB28_20:                              ; =>This Inner Loop Header: Depth=1
	v_mov_b32_e32 v2, s2
	ds_read_b32 v2, v2
	s_waitcnt lgkmcnt(1)
	v_max_f32_e32 v1, v1, v1
	s_add_i32 s2, s2, 8
	s_add_i32 s1, s1, -1
	s_cmp_lg_u32 s1, 0
	s_waitcnt lgkmcnt(0)
	v_max_f32_e32 v2, v2, v2
	v_max_f32_e32 v1, v1, v2
	s_cbranch_scc1 .LBB28_20
.LBB28_21:
	s_cmp_lt_i32 s19, 1
	s_cbranch_scc1 .LBB28_26
; %bb.22:
	s_lshl_b32 s0, s0, 7
	s_ashr_i32 s1, s0, 31
	s_lshl_b64 s[0:1], s[0:1], 2
	s_add_u32 s16, s8, s0
	s_addc_u32 s17, s9, s1
	s_cmp_lt_u32 s19, 8
	v_mov_b32_e32 v6, 0
	s_cbranch_scc1 .LBB28_27
; %bb.23:
	s_and_b32 s20, s19, 0x7ffffff8
	v_or_b32_e32 v2, 0x380, v0
	s_mov_b32 s21, 0
	v_mov_b32_e32 v5, 0
	s_mov_b32 s22, 0x3fb8aa3b
	s_mov_b32 s23, 0xc2ce8ed0
	;; [unrolled: 1-line block ×3, first 2 shown]
	v_mov_b32_e32 v8, 0x7f800000
	s_mov_b32 s25, 0
	v_mov_b32_e32 v7, 0
	v_mov_b32_e32 v6, 0
.LBB28_24:                              ; =>This Inner Loop Header: Depth=1
	v_add_u32_e32 v4, 0xfffffc80, v2
	v_mov_b32_e32 v9, s21
	v_mov_b32_e32 v3, v5
	v_lshl_add_u64 v[26:27], v[4:5], 2, s[16:17]
	v_add_u32_e32 v4, 0xfffffd00, v2
	ds_read2_b64 v[10:13], v9 offset1:1
	ds_read2_b64 v[14:17], v9 offset0:2 offset1:3
	ds_read2_b64 v[18:21], v9 offset0:4 offset1:5
	;; [unrolled: 1-line block ×3, first 2 shown]
	v_lshl_add_u64 v[28:29], v[2:3], 2, s[16:17]
	v_lshl_add_u64 v[30:31], v[4:5], 2, s[16:17]
	v_add_u32_e32 v4, 0xfffffd80, v2
	global_load_dword v3, v[26:27], off
	global_load_dword v9, v[30:31], off
	s_waitcnt lgkmcnt(3)
	v_sub_f32_e32 v10, v10, v1
	global_load_dword v28, v[28:29], off
	v_lshl_add_u64 v[26:27], v[4:5], 2, s[16:17]
	global_load_dword v32, v[26:27], off
	v_add_u32_e32 v4, 0xfffffe00, v2
	v_lshl_add_u64 v[30:31], v[4:5], 2, s[16:17]
	v_add_u32_e32 v4, 0xfffffe80, v2
	v_lshl_add_u64 v[26:27], v[4:5], 2, s[16:17]
	v_add_u32_e32 v4, 0xffffff00, v2
	global_load_dword v33, v[30:31], off
	global_load_dword v34, v[26:27], off
	v_lshl_add_u64 v[30:31], v[4:5], 2, s[16:17]
	v_add_u32_e32 v4, 0xffffff80, v2
	v_lshl_add_u64 v[26:27], v[4:5], 2, s[16:17]
	global_load_dword v30, v[30:31], off
	v_sub_f32_e32 v12, v12, v1
	global_load_dword v26, v[26:27], off
	v_mul_f32_e32 v35, 0x3fb8aa3b, v10
	v_mul_f32_e32 v36, 0x3fb8aa3b, v12
	s_waitcnt lgkmcnt(2)
	v_sub_f32_e32 v14, v14, v1
	v_sub_f32_e32 v16, v16, v1
	s_waitcnt lgkmcnt(1)
	v_sub_f32_e32 v18, v18, v1
	v_sub_f32_e32 v20, v20, v1
	s_waitcnt lgkmcnt(0)
	v_sub_f32_e32 v22, v22, v1
	v_fma_f32 v31, v10, s22, -v35
	v_rndne_f32_e32 v42, v35
	v_fma_f32 v43, v12, s22, -v36
	v_rndne_f32_e32 v44, v36
	v_mul_f32_e32 v37, 0x3fb8aa3b, v14
	v_mul_f32_e32 v38, 0x3fb8aa3b, v16
	;; [unrolled: 1-line block ×5, first 2 shown]
	v_fmac_f32_e32 v31, 0x32a5705f, v10
	v_sub_f32_e32 v35, v35, v42
	v_fmac_f32_e32 v43, 0x32a5705f, v12
	v_sub_f32_e32 v36, v36, v44
	v_fma_f32 v45, v14, s22, -v37
	v_rndne_f32_e32 v46, v37
	v_fma_f32 v47, v16, s22, -v38
	v_rndne_f32_e32 v48, v38
	;; [unrolled: 2-line block ×4, first 2 shown]
	v_add_f32_e32 v31, v35, v31
	v_fma_f32 v35, v22, s22, -v41
	v_add_f32_e32 v36, v36, v43
	v_rndne_f32_e32 v43, v41
	v_fmac_f32_e32 v45, 0x32a5705f, v14
	v_sub_f32_e32 v37, v37, v46
	v_fmac_f32_e32 v47, 0x32a5705f, v16
	v_sub_f32_e32 v38, v38, v48
	v_cvt_i32_f32_e32 v42, v42
	v_fmac_f32_e32 v49, 0x32a5705f, v18
	v_sub_f32_e32 v39, v39, v50
	v_fmac_f32_e32 v27, 0x32a5705f, v20
	v_sub_f32_e32 v40, v40, v29
	;; [unrolled: 2-line block ×3, first 2 shown]
	v_exp_f32_e32 v31, v31
	v_add_f32_e32 v37, v37, v45
	v_add_f32_e32 v38, v38, v47
	v_cvt_i32_f32_e32 v44, v44
	v_add_f32_e32 v39, v39, v49
	v_add_f32_e32 v27, v40, v27
	;; [unrolled: 1-line block ×3, first 2 shown]
	v_exp_f32_e32 v36, v36
	v_sub_f32_e32 v24, v24, v1
	v_cvt_i32_f32_e32 v46, v46
	v_cvt_i32_f32_e32 v48, v48
	;; [unrolled: 1-line block ×5, first 2 shown]
	v_exp_f32_e32 v37, v37
	v_exp_f32_e32 v38, v38
	;; [unrolled: 1-line block ×5, first 2 shown]
	v_mul_f32_e32 v4, 0x3fb8aa3b, v24
	v_fma_f32 v45, v24, s22, -v4
	v_rndne_f32_e32 v47, v4
	v_ldexp_f32 v31, v31, v42
	v_cmp_ngt_f32_e64 s[12:13], s23, v10
	v_fmac_f32_e32 v45, 0x32a5705f, v24
	v_sub_f32_e32 v4, v4, v47
	v_ldexp_f32 v36, v36, v44
	v_cmp_ngt_f32_e32 vcc, s23, v12
	v_cndmask_b32_e64 v31, 0, v31, s[12:13]
	v_cmp_nlt_f32_e64 s[12:13], s24, v10
	v_add_f32_e32 v4, v4, v45
	v_ldexp_f32 v37, v37, v46
	v_cmp_ngt_f32_e64 s[0:1], s23, v14
	v_ldexp_f32 v38, v38, v48
	v_cmp_ngt_f32_e64 s[2:3], s23, v16
	;; [unrolled: 2-line block ×5, first 2 shown]
	v_cndmask_b32_e32 v35, 0, v36, vcc
	v_cmp_nlt_f32_e32 vcc, s24, v12
	v_cndmask_b32_e64 v10, v8, v31, s[12:13]
	v_cvt_i32_f32_e32 v47, v47
	v_exp_f32_e32 v4, v4
	v_cndmask_b32_e64 v12, 0, v37, s[0:1]
	v_cmp_nlt_f32_e64 s[0:1], s24, v14
	v_cndmask_b32_e64 v14, 0, v38, s[2:3]
	v_cmp_nlt_f32_e64 s[2:3], s24, v16
	;; [unrolled: 2-line block ×5, first 2 shown]
	v_cndmask_b32_e32 v22, v8, v35, vcc
	v_fmac_f32_e32 v7, v10, v11
	s_waitcnt vmcnt(7)
	v_fmac_f32_e32 v6, v3, v10
	v_cndmask_b32_e64 v12, v8, v12, s[0:1]
	v_fmac_f32_e32 v7, v22, v13
	s_waitcnt vmcnt(6)
	v_fmac_f32_e32 v6, v9, v22
	v_cndmask_b32_e64 v14, v8, v14, s[2:3]
	;; [unrolled: 4-line block ×3, first 2 shown]
	v_fmac_f32_e32 v7, v14, v17
	s_waitcnt vmcnt(3)
	v_fmac_f32_e32 v6, v33, v14
	v_ldexp_f32 v4, v4, v47
	v_cmp_ngt_f32_e64 s[10:11], s23, v24
	v_cndmask_b32_e64 v18, v8, v18, s[6:7]
	v_fmac_f32_e32 v7, v16, v19
	s_waitcnt vmcnt(2)
	v_fmac_f32_e32 v6, v34, v16
	v_cndmask_b32_e64 v4, 0, v4, s[10:11]
	v_cmp_nlt_f32_e64 s[10:11], s24, v24
	v_cndmask_b32_e64 v20, v8, v20, s[8:9]
	v_fmac_f32_e32 v7, v18, v21
	s_waitcnt vmcnt(1)
	v_fmac_f32_e32 v6, v30, v18
	s_add_i32 s25, s25, 8
	s_add_i32 s21, s21, 64
	v_cndmask_b32_e64 v4, v8, v4, s[10:11]
	v_fmac_f32_e32 v7, v20, v23
	s_waitcnt vmcnt(0)
	v_fmac_f32_e32 v6, v26, v20
	s_cmp_eq_u32 s20, s25
	v_add_u32_e32 v2, 0x400, v2
	v_fmac_f32_e32 v7, v4, v25
	v_fmac_f32_e32 v6, v28, v4
	s_cbranch_scc0 .LBB28_24
; %bb.25:
	s_and_b32 s0, s19, 7
	s_cmp_eq_u32 s0, 0
	s_cbranch_scc0 .LBB28_28
	s_branch .LBB28_30
.LBB28_26:
	s_waitcnt lgkmcnt(0)
	v_mov_b32_e32 v1, 0x7fc00000
	s_branch .LBB28_31
.LBB28_27:
	s_mov_b32 s20, 0
	v_mov_b32_e32 v7, 0
	s_and_b32 s0, s19, 7
	s_cmp_eq_u32 s0, 0
	s_cbranch_scc1 .LBB28_30
.LBB28_28:
	s_lshl_b32 s1, s20, 3
	v_lshl_or_b32 v2, s20, 7, v0
	s_add_i32 s1, s1, 0
	s_mov_b32 s2, 0x3fb8aa3b
	s_mov_b32 s3, 0xc2ce8ed0
	;; [unrolled: 1-line block ×3, first 2 shown]
	v_mov_b32_e32 v4, 0x7f800000
	v_mov_b32_e32 v3, 0
.LBB28_29:                              ; =>This Inner Loop Header: Depth=1
	v_lshl_add_u64 v[8:9], v[2:3], 2, s[16:17]
	global_load_dword v5, v[8:9], off
	v_mov_b32_e32 v8, s1
	ds_read_b64 v[8:9], v8
	s_add_i32 s1, s1, 8
	s_add_i32 s0, s0, -1
	v_add_u32_e32 v2, 0x80, v2
	s_cmp_lg_u32 s0, 0
	s_waitcnt lgkmcnt(0)
	v_sub_f32_e32 v8, v8, v1
	v_mul_f32_e32 v10, 0x3fb8aa3b, v8
	v_fma_f32 v11, v8, s2, -v10
	v_rndne_f32_e32 v12, v10
	v_fmac_f32_e32 v11, 0x32a5705f, v8
	v_sub_f32_e32 v10, v10, v12
	v_add_f32_e32 v10, v10, v11
	v_cvt_i32_f32_e32 v12, v12
	v_exp_f32_e32 v10, v10
	v_cmp_ngt_f32_e32 vcc, s3, v8
	v_ldexp_f32 v10, v10, v12
	s_nop 0
	v_cndmask_b32_e32 v10, 0, v10, vcc
	v_cmp_nlt_f32_e32 vcc, s4, v8
	s_nop 1
	v_cndmask_b32_e32 v8, v4, v10, vcc
	v_fmac_f32_e32 v7, v8, v9
	s_waitcnt vmcnt(0)
	v_fmac_f32_e32 v6, v5, v8
	s_cbranch_scc1 .LBB28_29
.LBB28_30:
	s_waitcnt lgkmcnt(0)
	v_div_scale_f32 v1, s[0:1], v7, v7, v6
	v_rcp_f32_e32 v2, v1
	v_div_scale_f32 v3, vcc, v6, v7, v6
	v_fma_f32 v4, -v1, v2, 1.0
	v_fmac_f32_e32 v2, v4, v2
	v_mul_f32_e32 v4, v3, v2
	v_fma_f32 v5, -v1, v4, v3
	v_fmac_f32_e32 v4, v5, v2
	v_fma_f32 v1, -v1, v4, v3
	v_div_fmas_f32 v1, v1, v2, v4
	v_div_fixup_f32 v1, v1, v7, v6
.LBB28_31:
	s_lshl_b32 s0, s18, 7
	s_ashr_i32 s1, s0, 31
	s_lshl_b64 s[0:1], s[0:1], 2
	s_add_u32 s0, s14, s0
	s_addc_u32 s1, s15, s1
	v_lshlrev_b32_e32 v0, 2, v0
	global_store_dword v0, v1, s[0:1]
	s_endpgm
	.section	.rodata,"a",@progbits
	.p2align	6, 0x0
	.amdhsa_kernel _ZL26flash_attn_combine_resultsILi128EEvPKfPK15HIP_vector_typeIfLj2EEPfi
		.amdhsa_group_segment_fixed_size 0
		.amdhsa_private_segment_fixed_size 0
		.amdhsa_kernarg_size 288
		.amdhsa_user_sgpr_count 2
		.amdhsa_user_sgpr_dispatch_ptr 0
		.amdhsa_user_sgpr_queue_ptr 0
		.amdhsa_user_sgpr_kernarg_segment_ptr 1
		.amdhsa_user_sgpr_dispatch_id 0
		.amdhsa_user_sgpr_kernarg_preload_length 0
		.amdhsa_user_sgpr_kernarg_preload_offset 0
		.amdhsa_user_sgpr_private_segment_size 0
		.amdhsa_uses_dynamic_stack 0
		.amdhsa_enable_private_segment 0
		.amdhsa_system_sgpr_workgroup_id_x 1
		.amdhsa_system_sgpr_workgroup_id_y 1
		.amdhsa_system_sgpr_workgroup_id_z 1
		.amdhsa_system_sgpr_workgroup_info 0
		.amdhsa_system_vgpr_workitem_id 0
		.amdhsa_next_free_vgpr 51
		.amdhsa_next_free_sgpr 26
		.amdhsa_accum_offset 52
		.amdhsa_reserve_vcc 1
		.amdhsa_float_round_mode_32 0
		.amdhsa_float_round_mode_16_64 0
		.amdhsa_float_denorm_mode_32 3
		.amdhsa_float_denorm_mode_16_64 3
		.amdhsa_dx10_clamp 1
		.amdhsa_ieee_mode 1
		.amdhsa_fp16_overflow 0
		.amdhsa_tg_split 0
		.amdhsa_exception_fp_ieee_invalid_op 0
		.amdhsa_exception_fp_denorm_src 0
		.amdhsa_exception_fp_ieee_div_zero 0
		.amdhsa_exception_fp_ieee_overflow 0
		.amdhsa_exception_fp_ieee_underflow 0
		.amdhsa_exception_fp_ieee_inexact 0
		.amdhsa_exception_int_div_zero 0
	.end_amdhsa_kernel
	.section	.text._ZL26flash_attn_combine_resultsILi128EEvPKfPK15HIP_vector_typeIfLj2EEPfi,"axG",@progbits,_ZL26flash_attn_combine_resultsILi128EEvPKfPK15HIP_vector_typeIfLj2EEPfi,comdat
.Lfunc_end28:
	.size	_ZL26flash_attn_combine_resultsILi128EEvPKfPK15HIP_vector_typeIfLj2EEPfi, .Lfunc_end28-_ZL26flash_attn_combine_resultsILi128EEvPKfPK15HIP_vector_typeIfLj2EEPfi
                                        ; -- End function
	.section	.AMDGPU.csdata,"",@progbits
; Kernel info:
; codeLenInByte = 2808
; NumSgprs: 32
; NumVgprs: 51
; NumAgprs: 0
; TotalNumVgprs: 51
; ScratchSize: 0
; MemoryBound: 0
; FloatMode: 240
; IeeeMode: 1
; LDSByteSize: 0 bytes/workgroup (compile time only)
; SGPRBlocks: 3
; VGPRBlocks: 6
; NumSGPRsForWavesPerEU: 32
; NumVGPRsForWavesPerEU: 51
; AccumOffset: 52
; Occupancy: 8
; WaveLimiterHint : 0
; COMPUTE_PGM_RSRC2:SCRATCH_EN: 0
; COMPUTE_PGM_RSRC2:USER_SGPR: 2
; COMPUTE_PGM_RSRC2:TRAP_HANDLER: 0
; COMPUTE_PGM_RSRC2:TGID_X_EN: 1
; COMPUTE_PGM_RSRC2:TGID_Y_EN: 1
; COMPUTE_PGM_RSRC2:TGID_Z_EN: 1
; COMPUTE_PGM_RSRC2:TIDIG_COMP_CNT: 0
; COMPUTE_PGM_RSRC3_GFX90A:ACCUM_OFFSET: 12
; COMPUTE_PGM_RSRC3_GFX90A:TG_SPLIT: 0
	.section	.text._ZL18flash_attn_ext_f16ILi256ELi256ELi32ELi1ELb0ELb0EEvPKcS1_S1_S1_S1_PKiPfP15HIP_vector_typeIfLj2EEffffjfiS5_IjLj3EEiiiiiiiiiiiliiliiiiil,"axG",@progbits,_ZL18flash_attn_ext_f16ILi256ELi256ELi32ELi1ELb0ELb0EEvPKcS1_S1_S1_S1_PKiPfP15HIP_vector_typeIfLj2EEffffjfiS5_IjLj3EEiiiiiiiiiiiliiliiiiil,comdat
	.globl	_ZL18flash_attn_ext_f16ILi256ELi256ELi32ELi1ELb0ELb0EEvPKcS1_S1_S1_S1_PKiPfP15HIP_vector_typeIfLj2EEffffjfiS5_IjLj3EEiiiiiiiiiiiliiliiiiil ; -- Begin function _ZL18flash_attn_ext_f16ILi256ELi256ELi32ELi1ELb0ELb0EEvPKcS1_S1_S1_S1_PKiPfP15HIP_vector_typeIfLj2EEffffjfiS5_IjLj3EEiiiiiiiiiiiliiliiiiil
	.p2align	8
	.type	_ZL18flash_attn_ext_f16ILi256ELi256ELi32ELi1ELb0ELb0EEvPKcS1_S1_S1_S1_PKiPfP15HIP_vector_typeIfLj2EEffffjfiS5_IjLj3EEiiiiiiiiiiiliiliiiiil,@function
_ZL18flash_attn_ext_f16ILi256ELi256ELi32ELi1ELb0ELb0EEvPKcS1_S1_S1_S1_PKiPfP15HIP_vector_typeIfLj2EEffffjfiS5_IjLj3EEiiiiiiiiiiiliiliiiiil: ; @_ZL18flash_attn_ext_f16ILi256ELi256ELi32ELi1ELb0ELb0EEvPKcS1_S1_S1_S1_PKiPfP15HIP_vector_typeIfLj2EEffffjfiS5_IjLj3EEiiiiiiiiiiiliiliiiiil
; %bb.0:
	s_load_dwordx2 s[10:11], s[0:1], 0x80
	s_load_dwordx4 s[96:99], s[0:1], 0x64
	s_mov_b32 s72, s2
	v_mov_b32_e32 v19, v0
                                        ; implicit-def: $vgpr254 : SGPR spill to VGPR lane
	s_load_dword s65, s[0:1], 0xd0
	s_waitcnt lgkmcnt(0)
	s_abs_i32 s2, s11
	v_cvt_f32_u32_e32 v0, s2
	s_sub_i32 s6, 0, s2
	s_abs_i32 s5, s97
	s_xor_b32 s3, s97, s11
	v_rcp_iflag_f32_e32 v0, v0
	s_ashr_i32 s3, s3, 31
	v_cvt_f32_u32_e32 v1, s65
	s_mov_b32 s4, 0
	v_mul_f32_e32 v0, 0x4f7ffffe, v0
	v_cvt_u32_f32_e32 v0, v0
	v_cvt_f32_ubyte0_e32 v2, 0
	v_readfirstlane_b32 s7, v0
	s_mul_i32 s6, s6, s7
	s_mul_hi_u32 s6, s7, s6
	s_add_i32 s7, s7, s6
	s_mul_hi_u32 s6, s5, s7
	s_mul_i32 s7, s6, s2
	s_sub_i32 s5, s5, s7
	s_add_i32 s8, s6, 1
	s_sub_i32 s7, s5, s2
	s_cmp_ge_u32 s5, s2
	s_cselect_b32 s6, s8, s6
	s_cselect_b32 s5, s7, s5
	s_add_i32 s7, s6, 1
	s_cmp_ge_u32 s5, s2
	s_cselect_b32 s2, s7, s6
	s_add_i32 s5, s10, 63
	s_xor_b32 s2, s2, s3
	s_ashr_i32 s6, s5, 31
	s_sub_i32 s3, s2, s3
	s_lshr_b32 s2, s6, 26
	s_add_i32 s5, s5, s2
	s_add_i32 s2, s96, 31
	s_lshr_b32 s2, s2, 5
	s_ashr_i32 s5, s5, 6
	v_writelane_b32 v254, s2, 0
	v_writelane_b32 v254, s5, 1
	s_mul_i32 s2, s2, s5
	v_writelane_b32 v254, s3, 2
	v_writelane_b32 v254, s2, 3
	s_mul_i32 s3, s2, s3
	s_mov_b32 s2, s10
	v_writelane_b32 v254, s2, 4
	s_nop 1
	v_writelane_b32 v254, s3, 5
	s_mul_i32 s2, s3, s11
	s_mul_i32 s6, s2, s98
	v_writelane_b32 v254, s3, 6
	s_ashr_i32 s7, s6, 31
	v_writelane_b32 v254, s2, 7
	s_mul_i32 s2, s7, s72
	s_mul_hi_u32 s3, s6, s72
	s_add_i32 s5, s3, s2
	s_mul_i32 s8, s6, s72
	s_cmp_lg_u64 s[4:5], 0
	s_cbranch_scc0 .LBB29_2
; %bb.1:
	v_fmamk_f32 v0, v2, 0x4f800000, v1
	v_rcp_f32_e32 v0, v0
	s_sub_u32 s4, 0, s65
	s_subb_u32 s9, 0, 0
	s_mov_b64 s[2:3], 0
	v_mul_f32_e32 v0, 0x5f7ffffc, v0
	v_mul_f32_e32 v3, 0x2f800000, v0
	v_trunc_f32_e32 v3, v3
	v_fmamk_f32 v0, v3, 0xcf800000, v0
	v_cvt_u32_f32_e32 v3, v3
	v_cvt_u32_f32_e32 v0, v0
	v_readfirstlane_b32 s10, v3
	v_readfirstlane_b32 s11, v0
	s_mul_hi_u32 s13, s4, s11
	s_mul_i32 s14, s4, s10
	s_mul_i32 s12, s9, s11
	s_add_i32 s13, s13, s14
	s_add_i32 s13, s13, s12
	s_mul_i32 s15, s4, s11
	s_mul_hi_u32 s12, s11, s13
	s_mul_i32 s14, s11, s13
	s_mul_hi_u32 s11, s11, s15
	s_add_u32 s11, s11, s14
	s_addc_u32 s12, 0, s12
	s_mul_hi_u32 s16, s10, s15
	s_mul_i32 s15, s10, s15
	s_add_u32 s11, s11, s15
	s_mul_hi_u32 s14, s10, s13
	s_addc_u32 s11, s12, s16
	s_addc_u32 s12, s14, 0
	s_mul_i32 s13, s10, s13
	s_add_u32 s11, s11, s13
	s_addc_u32 s12, 0, s12
	v_add_co_u32_e32 v0, vcc, s11, v0
	s_cmp_lg_u64 vcc, 0
	s_addc_u32 s10, s10, s12
	v_readfirstlane_b32 s12, v0
	s_mul_i32 s11, s4, s10
	s_mul_hi_u32 s13, s4, s12
	s_add_i32 s11, s13, s11
	s_mul_i32 s9, s9, s12
	s_add_i32 s11, s11, s9
	s_mul_i32 s4, s4, s12
	s_mul_hi_u32 s13, s10, s4
	s_mul_i32 s14, s10, s4
	s_mul_i32 s16, s12, s11
	s_mul_hi_u32 s4, s12, s4
	s_mul_hi_u32 s15, s12, s11
	s_add_u32 s4, s4, s16
	s_addc_u32 s12, 0, s15
	s_add_u32 s4, s4, s14
	s_mul_hi_u32 s9, s10, s11
	s_addc_u32 s4, s12, s13
	s_addc_u32 s9, s9, 0
	s_mul_i32 s11, s10, s11
	s_add_u32 s4, s4, s11
	s_addc_u32 s9, 0, s9
	v_add_co_u32_e32 v0, vcc, s4, v0
	s_cmp_lg_u64 vcc, 0
	s_addc_u32 s9, s10, s9
	s_ashr_i32 s10, s5, 31
	s_add_u32 s4, s8, s10
	s_mov_b32 s11, s10
	s_addc_u32 s5, s5, s10
	s_xor_b64 s[4:5], s[4:5], s[10:11]
	v_readfirstlane_b32 s14, v0
	s_mul_i32 s13, s4, s9
	s_mul_hi_u32 s15, s4, s14
	s_mul_hi_u32 s12, s4, s9
	s_add_u32 s13, s15, s13
	s_addc_u32 s12, 0, s12
	s_mul_hi_u32 s16, s5, s14
	s_mul_i32 s14, s5, s14
	s_add_u32 s13, s13, s14
	s_mul_hi_u32 s15, s5, s9
	s_addc_u32 s12, s12, s16
	s_addc_u32 s13, s15, 0
	s_mul_i32 s9, s5, s9
	s_add_u32 s9, s12, s9
	s_addc_u32 s12, 0, s13
	s_add_u32 s13, s9, 1
	s_addc_u32 s14, s12, 0
	s_add_u32 s15, s9, 2
	s_mul_i32 s17, s65, s12
	s_mul_hi_u32 s18, s65, s9
	s_addc_u32 s16, s12, 0
	s_add_i32 s18, s18, s17
	s_mul_i32 s17, s65, s9
	v_mov_b32_e32 v0, s17
	v_sub_co_u32_e32 v0, vcc, s4, v0
	s_cmp_lg_u64 vcc, 0
	s_subb_u32 s4, s5, s18
	v_subrev_co_u32_e32 v3, vcc, s65, v0
	s_cmp_lg_u64 vcc, 0
	s_subb_u32 s5, s4, 0
	v_readfirstlane_b32 s17, v3
	s_cmp_ge_u32 s17, s65
	s_cselect_b32 s17, -1, 0
	s_cmp_eq_u32 s5, 0
	s_cselect_b32 s5, s17, -1
	s_cmp_lg_u32 s5, 0
	s_cselect_b32 s5, s16, s14
	v_readfirstlane_b32 s14, v0
	s_cselect_b32 s13, s15, s13
	s_cmp_ge_u32 s14, s65
	s_cselect_b32 s14, -1, 0
	s_cmp_eq_u32 s4, 0
	s_cselect_b32 s4, s14, -1
	s_cmp_lg_u32 s4, 0
	s_cselect_b32 s5, s5, s12
	s_cselect_b32 s4, s13, s9
	s_xor_b64 s[4:5], s[4:5], s[10:11]
	s_sub_u32 s42, s4, s10
	s_branch .LBB29_3
.LBB29_2:
	s_mov_b64 s[2:3], -1
                                        ; implicit-def: $sgpr42_sgpr43
.LBB29_3:
	s_load_dwordx2 s[4:5], s[0:1], 0x74
	v_cvt_f32_u32_e32 v0, s65
	s_andn2_b64 vcc, exec, s[2:3]
	s_waitcnt lgkmcnt(0)
	v_writelane_b32 v254, s4, 8
	s_nop 1
	v_writelane_b32 v254, s5, 9
	s_cbranch_vccnz .LBB29_5
; %bb.4:
	v_rcp_iflag_f32_e32 v3, v0
	s_sub_i32 s2, 0, s65
	v_mul_f32_e32 v3, 0x4f7ffffe, v3
	v_cvt_u32_f32_e32 v3, v3
	s_nop 0
	v_readfirstlane_b32 s3, v3
	s_mul_i32 s2, s2, s3
	s_mul_hi_u32 s2, s3, s2
	s_add_i32 s3, s3, s2
	s_mul_hi_u32 s2, s8, s3
	s_mul_i32 s4, s2, s65
	s_sub_i32 s4, s8, s4
	s_add_i32 s3, s2, 1
	s_sub_i32 s5, s4, s65
	s_cmp_ge_u32 s4, s65
	s_cselect_b32 s2, s3, s2
	s_cselect_b32 s4, s5, s4
	s_add_i32 s3, s2, 1
	s_cmp_ge_u32 s4, s65
	s_cselect_b32 s42, s3, s2
.LBB29_5:
	s_add_i32 s4, s72, 1
	s_mul_i32 s2, s7, s4
	s_mul_hi_u32 s3, s6, s4
	s_add_i32 s3, s3, s2
	s_mov_b32 s2, 0
	s_cmp_lg_u64 s[2:3], 0
	s_mul_i32 s6, s6, s4
	s_cbranch_scc0 .LBB29_370
; %bb.6:
	v_fmamk_f32 v1, v2, 0x4f800000, v1
	v_rcp_f32_e32 v1, v1
	s_sub_u32 s2, 0, s65
	s_subb_u32 s7, 0, 0
	v_mov_b32_e32 v5, 0
	v_mul_f32_e32 v1, 0x5f7ffffc, v1
	v_mul_f32_e32 v2, 0x2f800000, v1
	v_trunc_f32_e32 v2, v2
	v_fmamk_f32 v1, v2, 0xcf800000, v1
	v_cvt_u32_f32_e32 v6, v2
	v_cvt_u32_f32_e32 v1, v1
	s_ashr_i32 s8, s3, 31
	s_mov_b32 s9, s8
	v_mul_lo_u32 v2, s2, v6
	v_mul_hi_u32 v4, s2, v1
	v_mul_lo_u32 v3, s7, v1
	v_add_u32_e32 v2, v4, v2
	v_add_u32_e32 v7, v2, v3
	v_mul_lo_u32 v8, s2, v1
	v_mul_hi_u32 v3, v1, v7
	v_mul_lo_u32 v2, v1, v7
	v_mul_hi_u32 v4, v1, v8
	v_lshl_add_u64 v[2:3], v[4:5], 0, v[2:3]
	v_mul_hi_u32 v4, v6, v8
	v_mul_lo_u32 v8, v6, v8
	v_add_co_u32_e32 v2, vcc, v2, v8
	v_mul_hi_u32 v9, v6, v7
	s_nop 0
	v_addc_co_u32_e32 v4, vcc, v3, v4, vcc
	v_mul_lo_u32 v2, v6, v7
	s_nop 0
	v_addc_co_u32_e32 v3, vcc, 0, v9, vcc
	v_lshl_add_u64 v[2:3], v[4:5], 0, v[2:3]
	v_add_co_u32_e32 v1, vcc, v1, v2
	v_mul_lo_u32 v4, s2, v1
	s_nop 0
	v_addc_co_u32_e32 v6, vcc, v6, v3, vcc
	v_mul_lo_u32 v2, s2, v6
	v_mul_hi_u32 v3, s2, v1
	v_add_u32_e32 v2, v3, v2
	v_mul_lo_u32 v3, s7, v1
	v_add_u32_e32 v7, v2, v3
	v_mul_hi_u32 v9, v6, v4
	v_mul_lo_u32 v10, v6, v4
	v_mul_hi_u32 v3, v1, v7
	v_mul_lo_u32 v2, v1, v7
	v_mul_hi_u32 v4, v1, v4
	v_lshl_add_u64 v[2:3], v[4:5], 0, v[2:3]
	v_add_co_u32_e32 v2, vcc, v2, v10
	v_mul_hi_u32 v8, v6, v7
	s_nop 0
	v_addc_co_u32_e32 v4, vcc, v3, v9, vcc
	v_mul_lo_u32 v2, v6, v7
	s_nop 0
	v_addc_co_u32_e32 v3, vcc, 0, v8, vcc
	v_lshl_add_u64 v[2:3], v[4:5], 0, v[2:3]
	s_add_u32 s2, s6, s8
	v_add_co_u32_e32 v1, vcc, v1, v2
	s_addc_u32 s3, s3, s8
	s_nop 0
	v_addc_co_u32_e32 v6, vcc, v6, v3, vcc
	s_xor_b64 s[2:3], s[2:3], s[8:9]
	v_mul_hi_u32 v3, s2, v6
	v_mul_lo_u32 v2, s2, v6
	v_mul_hi_u32 v4, s2, v1
	v_lshl_add_u64 v[2:3], v[4:5], 0, v[2:3]
	v_mul_hi_u32 v4, s3, v1
	v_mul_lo_u32 v1, s3, v1
	v_add_co_u32_e32 v1, vcc, v2, v1
	v_mul_hi_u32 v7, s3, v6
	s_nop 0
	v_addc_co_u32_e32 v4, vcc, v3, v4, vcc
	v_mul_lo_u32 v2, s3, v6
	s_nop 0
	v_addc_co_u32_e32 v3, vcc, 0, v7, vcc
	v_lshl_add_u64 v[2:3], v[4:5], 0, v[2:3]
	v_lshl_add_u64 v[4:5], v[2:3], 0, 1
	;; [unrolled: 1-line block ×3, first 2 shown]
	v_mul_lo_u32 v1, s65, v3
	v_mul_hi_u32 v3, s65, v2
	v_add_u32_e32 v1, v3, v1
	v_mul_lo_u32 v3, s65, v2
	v_mov_b32_e32 v5, s3
	v_sub_co_u32_e32 v3, vcc, s2, v3
	s_nop 1
	v_subb_co_u32_e32 v1, vcc, v5, v1, vcc
	v_subrev_co_u32_e32 v5, vcc, s65, v3
	s_nop 1
	v_subbrev_co_u32_e32 v7, vcc, 0, v1, vcc
	v_cmp_le_u32_e32 vcc, s65, v5
	s_nop 1
	v_cndmask_b32_e64 v5, 0, -1, vcc
	v_cmp_eq_u32_e32 vcc, 0, v7
	s_nop 1
	v_cndmask_b32_e32 v5, -1, v5, vcc
	v_cmp_ne_u32_e32 vcc, 0, v5
	s_nop 1
	v_cndmask_b32_e32 v4, v4, v6, vcc
	v_cmp_le_u32_e32 vcc, s65, v3
	s_nop 1
	v_cndmask_b32_e64 v3, 0, -1, vcc
	v_cmp_eq_u32_e32 vcc, 0, v1
	s_nop 1
	v_cndmask_b32_e32 v1, -1, v3, vcc
	v_cmp_ne_u32_e32 vcc, 0, v1
	s_nop 1
	v_cndmask_b32_e32 v1, v2, v4, vcc
	v_xor_b32_e32 v1, s8, v1
	v_subrev_co_u32_e32 v144, vcc, s8, v1
	s_load_dwordx2 s[2:3], s[0:1], 0x5c
	s_cbranch_execnz .LBB29_8
.LBB29_7:
	v_rcp_iflag_f32_e32 v0, v0
	s_sub_i32 s4, 0, s65
	v_mul_f32_e32 v0, 0x4f7ffffe, v0
	v_cvt_u32_f32_e32 v0, v0
	v_mul_lo_u32 v1, s4, v0
	v_mul_hi_u32 v1, v0, v1
	v_add_u32_e32 v0, v0, v1
	v_mul_hi_u32 v0, s6, v0
	v_mul_lo_u32 v2, v0, s65
	v_sub_u32_e32 v2, s6, v2
	v_add_u32_e32 v1, 1, v0
	v_subrev_u32_e32 v3, s65, v2
	v_cmp_le_u32_e32 vcc, s65, v2
	s_nop 1
	v_cndmask_b32_e32 v2, v2, v3, vcc
	v_cndmask_b32_e32 v0, v0, v1, vcc
	v_add_u32_e32 v1, 1, v0
	v_cmp_le_u32_e32 vcc, s65, v2
	s_nop 1
	v_cndmask_b32_e32 v144, v0, v1, vcc
.LBB29_8:
	s_load_dwordx16 s[16:31], s[0:1], 0x0
	s_load_dwordx4 s[48:51], s[0:1], 0x40
	s_load_dword s4, s[0:1], 0x50
	s_ashr_i32 s91, s99, 3
	v_cmp_ge_i32_e32 vcc, s42, v144
	v_bfe_u32 v180, v19, 10, 10
	s_mov_b32 s37, 0
	s_waitcnt lgkmcnt(0)
	v_writelane_b32 v254, s4, 10
	s_load_dwordx2 s[4:5], s[0:1], 0x8c
	s_load_dwordx4 s[8:11], s[0:1], 0x98
	s_load_dwordx2 s[6:7], s[0:1], 0xa8
	s_load_dwordx2 s[14:15], s[0:1], 0xb8
	s_nop 0
	s_load_dwordx2 s[0:1], s[0:1], 0xc8
	v_cmp_lt_i32_e64 s[44:45], s42, v144
	s_waitcnt lgkmcnt(0)
	s_ashr_i32 s78, s4, 2
	s_ashr_i32 s98, s10, 2
	v_writelane_b32 v254, s6, 11
	s_ashr_i32 s40, s15, 1
	v_lshlrev_b32_e32 v124, 3, v180
	v_writelane_b32 v254, s7, 12
	v_writelane_b32 v254, s0, 13
	s_mov_b32 s7, s11
	v_add_u32_e32 v99, 4, v180
	v_writelane_b32 v254, s1, 14
	s_mov_b32 s1, s5
	v_readlane_b32 s6, v254, 1
	s_abs_i32 s90, s6
	v_cvt_f32_u32_e32 v0, s90
	v_writelane_b32 v254, s0, 15
	s_mov_b64 s[4:5], s[8:9]
	v_add_u32_e32 v98, 8, v180
	v_rcp_iflag_f32_e32 v0, v0
	v_writelane_b32 v254, s1, 16
	v_writelane_b32 v254, s4, 17
	s_ashr_i32 s1, s6, 31
	v_mul_f32_e32 v0, 0x4f7ffffe, v0
	v_cvt_u32_f32_e32 v0, v0
	v_writelane_b32 v254, s5, 18
	v_writelane_b32 v254, s6, 19
	;; [unrolled: 1-line block ×3, first 2 shown]
	s_sub_i32 s4, 0, s90
	v_readfirstlane_b32 s5, v0
	s_mul_i32 s4, s4, s5
	s_mul_hi_u32 s4, s5, s4
	v_writelane_b32 v254, s1, 21
	s_abs_i32 s1, s42
	s_add_i32 s88, s5, s4
	s_mul_hi_u32 s4, s1, s88
	s_mul_i32 s4, s4, s90
	v_writelane_b32 v254, s16, 22
	s_sub_i32 s1, s1, s4
	s_ashr_i32 s0, s42, 31
	v_writelane_b32 v254, s17, 23
	s_sub_i32 s4, s1, s90
	v_writelane_b32 v254, s18, 24
	s_cmp_ge_u32 s1, s90
	v_writelane_b32 v254, s19, 25
	s_cselect_b32 s1, s4, s1
	v_writelane_b32 v254, s20, 26
	s_sub_i32 s4, s1, s90
	v_writelane_b32 v254, s21, 27
	s_cmp_ge_u32 s1, s90
	v_writelane_b32 v254, s22, 28
	s_cselect_b32 s1, s4, s1
	v_writelane_b32 v254, s23, 29
	s_xor_b32 s1, s1, s0
	v_writelane_b32 v254, s24, 30
	s_sub_i32 s52, s1, s0
	v_subrev_u32_e32 v0, s42, v144
	v_writelane_b32 v254, s25, 31
	v_add_u32_e32 v0, s52, v0
	v_writelane_b32 v254, s26, 32
	v_min_i32_e32 v123, s6, v0
	v_cmp_gt_i32_e64 s[0:1], s6, v0
	v_cvt_f16_f32_e32 v0, s48
	v_writelane_b32 v254, s27, 33
	v_writelane_b32 v254, s28, 34
	;; [unrolled: 1-line block ×3, first 2 shown]
	s_or_b64 s[0:1], s[0:1], vcc
	v_writelane_b32 v254, s30, 36
	s_and_b64 vcc, exec, s[0:1]
	v_pack_b32_f16 v181, v0, v0
	v_add_u32_e32 v187, 12, v180
	v_add_u32_e32 v185, 16, v180
	;; [unrolled: 1-line block ×5, first 2 shown]
	v_lshlrev_b32_e32 v126, 4, v180
	v_and_b32_e32 v122, 1, v180
	v_writelane_b32 v254, s31, 37
	v_accvgpr_write_b32 a8, v180
	s_cbranch_vccz .LBB29_11
; %bb.9:
	s_andn2_b64 vcc, exec, s[44:45]
	s_cbranch_vccz .LBB29_320
.LBB29_10:
	s_endpgm
.LBB29_11:
	v_and_b32_e32 v146, 0x3ff, v19
	v_lshrrev_b32_e32 v2, 3, v146
	v_and_b32_e32 v0, 15, v146
	v_and_b32_e32 v2, 30, v2
	v_mul_u32_u24_e32 v1, 0x210, v0
	v_lshlrev_b32_e32 v3, 2, v2
	s_cmp_lg_u64 s[22:23], 0
	v_add3_u32 v1, 0, v1, v3
	v_lshrrev_b32_e32 v3, 5, v146
	v_lshlrev_b32_e32 v4, 2, v146
	v_writelane_b32 v254, s65, 38
	s_cselect_b64 s[0:1], -1, 0
	v_lshl_add_u32 v145, v180, 1, v3
	v_and_b32_e32 v4, 0x7c, v4
	v_writelane_b32 v254, s0, 39
	s_cmp_eq_u64 s[24:25], 0
	v_mul_u32_u24_e32 v3, 0x210, v145
	v_accvgpr_write_b32 a26, v4
	v_lshlrev_b32_e32 v4, 2, v4
	v_writelane_b32 v254, s1, 40
	s_cselect_b64 s[0:1], -1, 0
	v_add3_u32 v196, 0, v3, v4
	v_lshrrev_b32_e32 v3, 2, v146
	v_writelane_b32 v254, s0, 41
	s_cmp_lg_u64 s[26:27], 0
	v_and_b32_e32 v4, 60, v3
	v_writelane_b32 v254, s1, 42
	s_cselect_b64 s[0:1], -1, 0
	v_and_b32_e32 v5, 8, v124
	v_mul_u32_u24_e32 v6, 0x108, v4
	s_movk_i32 s4, 0x420
	v_writelane_b32 v254, s0, 43
	v_or_b32_e32 v6, v6, v0
	v_mul_u32_u24_e32 v7, 0x210, v4
	v_or_b32_e32 v3, 3, v3
	v_mul_u32_u24_e32 v8, 0x420, v5
	v_mad_u32_u24 v9, v5, s4, 0
	v_lshlrev_b32_e32 v10, 1, v0
	v_writelane_b32 v254, s1, 44
	s_movk_i32 s0, 0x210
	v_mul_u32_u24_e32 v3, 0x210, v3
	v_lshlrev_b32_e32 v6, 1, v6
	v_add3_u32 v198, v9, v7, v10
	v_add3_u32 v7, 0, 32, v8
	v_add_u32_e32 v197, v9, v6
	v_add3_u32 v199, v9, v3, v10
	v_add_u32_e32 v200, v7, v6
	v_mad_u32_u24 v9, v4, s0, v7
	v_add3_u32 v202, v7, v3, v10
	v_add3_u32 v7, 0, 64, v8
	s_add_i32 s5, 0, 0x60
	v_add_u32_e32 v203, v7, v6
	v_mad_u32_u24 v8, v4, s0, v7
	v_add3_u32 v251, v7, v3, v10
	v_mov_b32_e32 v7, s5
	s_movk_i32 s1, 0x4200
	v_mad_u32_u24 v7, v5, s4, v7
	s_add_i32 s5, 0, 0x80
	v_add3_u32 v100, v8, v10, s1
	v_add_u32_e32 v206, v7, v6
	v_mad_u32_u24 v8, v4, s0, v7
	v_add3_u32 v208, v7, v3, v10
	v_mov_b32_e32 v7, s5
	v_mad_u32_u24 v7, v5, s4, v7
	s_add_i32 s5, 0, 0xa0
	v_add3_u32 v207, v8, v10, s1
	v_add_u32_e32 v209, v7, v6
	v_mad_u32_u24 v8, v4, s0, v7
	v_add3_u32 v47, v7, v3, v10
	v_mov_b32_e32 v7, s5
	v_mad_u32_u24 v7, v5, s4, v7
	s_add_i32 s5, 0, 0xc0
	v_mov_b32_e32 v21, v122
	v_add3_u32 v122, v8, v10, s1
	v_add_u32_e32 v212, v7, v6
	v_mad_u32_u24 v8, v4, s0, v7
	v_add3_u32 v214, v7, v3, v10
	v_mov_b32_e32 v7, s5
	v_mad_u32_u24 v7, v5, s4, v7
	s_add_i32 s5, 0, 0xe0
	v_add3_u32 v213, v8, v10, s1
	v_add_u32_e32 v215, v7, v6
	v_mad_u32_u24 v8, v4, s0, v7
	v_add3_u32 v201, v7, v3, v10
	v_mov_b32_e32 v7, s5
	v_mad_u32_u24 v7, v5, s4, v7
	s_add_i32 s5, 0, 0x100
	;; [unrolled: 7-line block ×6, first 2 shown]
	v_add3_u32 v228, v8, v10, s1
	v_add_u32_e32 v230, v7, v6
	v_mad_u32_u24 v8, v4, s0, v7
	v_add3_u32 v232, v7, v3, v10
	v_mov_b32_e32 v7, s5
	s_add_i32 s5, 0, 0x1a0
	v_add3_u32 v231, v8, v10, s1
	v_mov_b32_e32 v8, s5
	s_add_i32 s5, 0, 0x1c0
	;; [unrolled: 3-line block ×3, first 2 shown]
	v_mov_b32_e32 v11, s5
	v_mad_u32_u24 v7, v5, s4, v7
	v_mad_u32_u24 v8, v5, s4, v8
	;; [unrolled: 1-line block ×4, first 2 shown]
	v_add3_u32 v235, v7, v3, v10
	v_add3_u32 v238, v8, v3, v10
	;; [unrolled: 1-line block ×4, first 2 shown]
	v_mad_u32_u24 v3, v4, s0, v5
	v_add_u32_e32 v233, v7, v6
	v_mad_u32_u24 v11, v4, s0, v7
	v_mad_u32_u24 v7, v4, s0, v8
	v_add3_u32 v244, v3, v10, s1
	v_and_b32_e32 v3, 16, v126
	v_add3_u32 v236, v7, v10, s1
	v_mad_u32_u24 v7, v4, s0, v9
	v_add_u32_e32 v147, v3, v4
	v_add_u16_e32 v4, v3, v4
	v_mad_u32_u24 v246, v3, s0, v1
	v_and_b32_e32 v3, 0x7f0, v124
	s_mov_b64 s[70:71], s[30:31]
	v_mad_u32_u24 v148, v3, s0, v1
	v_or_b32_e32 v1, v3, v0
	v_or_b32_e32 v0, v126, v0
	s_mov_b64 s[68:69], s[28:29]
	s_mov_b64 s[66:67], s[26:27]
	;; [unrolled: 1-line block ×7, first 2 shown]
	s_movk_i32 s28, 0x84
	v_lshrrev_b32_e32 v22, 1, v180
	v_mad_u32_u24 v3, v0, s28, v2
	v_add_u32_e32 v2, 2, v22
	s_movk_i32 s29, 0x1e0
	v_lshlrev_b32_e32 v0, 1, v2
	v_accvgpr_write_b32 a29, v2
	v_and_b32_e32 v2, 15, v2
	v_add_u32_e32 v242, v5, v6
	v_and_or_b32 v5, v0, s29, v2
	v_add_u32_e32 v2, 4, v22
	v_lshlrev_b32_e32 v0, 1, v2
	v_accvgpr_write_b32 a30, v2
	v_and_b32_e32 v2, 15, v2
	v_add_u32_e32 v237, v8, v6
	v_add_u32_e32 v240, v9, v6
	v_and_or_b32 v6, v0, s29, v2
	v_add_u32_e32 v2, 6, v22
	v_lshlrev_b32_e32 v0, 1, v2
	v_accvgpr_write_b32 a31, v2
	v_and_b32_e32 v2, 15, v2
	v_add3_u32 v239, v7, v10, s1
	v_and_or_b32 v7, v0, s29, v2
	v_add_u32_e32 v2, 8, v22
	v_lshlrev_b32_e32 v0, 1, v2
	v_accvgpr_write_b32 a32, v2
	v_and_b32_e32 v2, 15, v2
	v_and_or_b32 v8, v0, s29, v2
	v_add_u32_e32 v2, 10, v22
	v_lshlrev_b32_e32 v0, 1, v2
	v_accvgpr_write_b32 a33, v2
	v_and_b32_e32 v2, 15, v2
	;; [unrolled: 5-line block ×3, first 2 shown]
	v_add3_u32 v234, v11, v10, s1
	v_and_or_b32 v10, v0, s29, v2
	v_add_u32_e32 v2, 14, v22
	v_lshlrev_b32_e32 v0, 1, v2
	v_accvgpr_write_b32 a35, v2
	v_and_b32_e32 v2, 15, v2
	v_and_or_b32 v11, v0, s29, v2
	v_add_u32_e32 v2, 18, v22
	v_lshlrev_b32_e32 v0, 1, v2
	v_accvgpr_write_b32 a36, v2
	v_and_b32_e32 v2, 15, v2
	;; [unrolled: 5-line block ×4, first 2 shown]
	v_and_or_b32 v14, v0, s29, v2
	v_add_u32_e32 v2, 24, v22
	s_lshl_b32 s36, s72, 5
	v_lshlrev_b32_e32 v0, 1, v2
	v_accvgpr_write_b32 a39, v2
	v_and_b32_e32 v2, 15, v2
	s_ashr_i32 s41, s40, 31
	s_ashr_i32 s79, s78, 31
	;; [unrolled: 1-line block ×3, first 2 shown]
	s_lshl_b32 s18, s78, 3
	s_lshl_b32 s30, s98, 3
	v_writelane_b32 v254, s72, 45
	s_lshl_b64 s[0:1], s[36:37], 3
	v_and_or_b32 v15, v0, s29, v2
	v_add_u32_e32 v2, 26, v22
	s_add_u32 s26, s70, s0
	v_readlane_b32 s43, v254, 7
	v_lshlrev_b32_e32 v0, 1, v2
	v_accvgpr_write_b32 a40, v2
	v_and_b32_e32 v2, 15, v2
	s_addc_u32 s27, s71, s1
	s_abs_i32 s36, s43
	v_and_or_b32 v16, v0, s29, v2
	v_cvt_f32_u32_e32 v0, s36
	v_readlane_b32 s35, v254, 6
	s_abs_i32 s33, s35
	v_accvgpr_write_b32 a12, v19
	v_rcp_iflag_f32_e32 v0, v0
	v_cvt_f32_u32_e32 v19, s33
	v_add_u32_e32 v17, 28, v22
	v_lshlrev_b32_e32 v2, 1, v17
	v_mul_f32_e32 v0, 0x4f7ffffe, v0
	v_cvt_u32_f32_e32 v0, v0
	v_accvgpr_write_b32 a41, v17
	v_and_b32_e32 v17, 15, v17
	v_add_u32_e32 v18, 30, v22
	v_and_or_b32 v17, v2, s29, v17
	v_lshlrev_b32_e32 v2, 1, v18
	v_accvgpr_write_b32 a42, v18
	v_and_b32_e32 v18, 15, v18
	s_sub_i32 s0, 0, s36
	v_and_or_b32 v18, v2, s29, v18
	v_rcp_iflag_f32_e32 v2, v19
	v_mul_lo_u32 v19, s0, v0
	s_mov_b32 s0, s14
	v_readlane_b32 s34, v254, 3
	v_writelane_b32 v254, s0, 46
	v_mul_hi_u32 v19, v0, v19
	v_add_u32_e32 v0, v0, v19
	v_writelane_b32 v254, s1, 47
	s_abs_i32 s1, s14
	v_cvt_f32_u32_e32 v19, s1
	v_accvgpr_write_b32 a43, v0
	v_mul_f32_e32 v0, 0x4f7ffffe, v2
	v_cvt_u32_f32_e32 v0, v0
	v_rcp_iflag_f32_e32 v19, v19
	s_sub_i32 s0, 0, s33
	s_abs_i32 s92, s34
	v_mul_lo_u32 v20, s0, v0
	v_mul_f32_e32 v19, 0x4f7ffffe, v19
	v_cvt_u32_f32_e32 v19, v19
	v_cvt_f32_u32_e32 v2, s92
	v_mul_hi_u32 v20, v0, v20
	v_add_u32_e32 v0, v0, v20
	s_sub_i32 s0, 0, s1
	v_accvgpr_write_b32 a44, v0
	v_mul_lo_u32 v0, s0, v19
	v_mul_hi_u32 v0, v19, v0
	v_rcp_iflag_f32_e32 v2, v2
	v_add_u32_e32 v0, v19, v0
	v_accvgpr_write_b32 a45, v0
	s_movk_i32 s19, 0x90
	v_mul_u32_u24_e32 v0, 0x90, v180
	v_lshlrev_b32_e32 v52, 1, v146
	v_add3_u32 v19, 0, v0, v52
	v_mad_u32_u24 v0, v1, s19, 0
	v_lshrrev_b16_e32 v1, 1, v4
	v_lshl_add_u32 v1, v1, 2, v0
	v_add_u32_e32 v149, 32, v147
	v_add_u32_e32 v150, 34, v147
	v_mul_f32_e32 v2, 0x4f7ffffe, v2
	v_accvgpr_write_b32 a47, v1
	v_lshl_add_u32 v1, v149, 1, v0
	v_lshl_add_u32 v0, v150, 1, v0
	v_cvt_u32_f32_e32 v2, v2
	v_accvgpr_write_b32 a67, v0
	v_add_u32_e32 v0, v126, v146
	v_mul_u32_u24_e32 v0, 0x210, v0
	v_and_b32_e32 v4, 31, v146
	v_mul_lo_u32 v40, s98, v145
	v_accvgpr_write_b32 a84, v0
	v_add_u32_e32 v0, v126, v4
	v_add_u32_e32 v42, s30, v40
	v_mul_u32_u24_e32 v0, 0x210, v0
	v_readfirstlane_b32 s31, v2
	v_add_u32_e32 v44, s30, v42
	v_accvgpr_write_b32 a85, v0
	v_or_b32_e32 v0, v124, v146
	v_mov_b32_e32 v2, 0
	v_accvgpr_write_b32 a65, v1
	v_add_u32_e32 v54, s30, v44
	v_lshlrev_b32_e32 v0, 3, v0
	v_mov_b32_e32 v1, v2
	v_add_u32_e32 v56, s30, v54
	v_lshl_add_u64 v[0:1], s[26:27], 0, v[0:1]
	v_add_u32_e32 v58, s30, v56
	v_accvgpr_write_b32 a87, v1
	v_add_u32_e32 v60, s30, v58
	v_accvgpr_write_b32 a86, v0
	v_mad_u32_u24 v0, v180, s28, v146
	v_add_u32_e32 v1, 16, v22
	v_add_u32_e32 v62, s30, v60
	s_movk_i32 s30, 0xe0
	v_lshl_add_u32 v152, v0, 2, 0
	v_bfe_u32 v0, v180, 1, 4
	v_accvgpr_write_b32 a90, v1
	v_lshlrev_b32_e32 v1, 1, v1
	v_and_or_b32 v1, v1, s29, v0
	v_and_or_b32 v0, v180, s30, v0
	v_lshl_add_u32 v151, v3, 2, 0
	v_mad_u32_u24 v3, v0, s28, v146
	v_lshl_add_u32 v3, v3, 2, 0
	v_accvgpr_write_b32 a91, v3
	v_add_u32_e32 v3, 64, v146
	v_mul_u32_u24_e32 v20, 0x210, v0
	v_mad_u32_u24 v0, v0, s28, v3
	v_lshl_add_u32 v0, v0, 2, 0
	v_accvgpr_write_b32 a93, v0
	v_mad_u32_u24 v0, v5, s28, v146
	v_lshl_add_u32 v0, v0, 2, 0
	v_accvgpr_write_b32 a94, v0
	v_mul_u32_u24_e32 v0, 0x210, v5
	v_accvgpr_write_b32 a95, v0
	v_mad_u32_u24 v0, v5, s28, v3
	v_lshl_add_u32 v0, v0, 2, 0
	v_accvgpr_write_b32 a96, v0
	v_mad_u32_u24 v0, v6, s28, v146
	v_lshl_add_u32 v0, v0, 2, 0
	v_accvgpr_write_b32 a97, v0
	v_mul_u32_u24_e32 v0, 0x210, v6
	v_accvgpr_write_b32 a98, v0
	;; [unrolled: 8-line block ×14, first 2 shown]
	v_mad_u32_u24 v0, v17, s28, v3
	v_lshl_add_u32 v0, v0, 2, 0
	v_accvgpr_write_b32 a135, v0
	v_mad_u32_u24 v0, v18, s28, v3
	v_lshl_add_u32 v0, v0, 2, 0
	v_accvgpr_write_b32 a138, v0
                                        ; implicit-def: $vgpr0
	v_mul_u32_u24_e32 v1, 0x210, v18
	v_mbcnt_lo_u32_b32 v0, -1, 0
	v_mbcnt_hi_u32_b32 v162, -1, v0
	v_add_u32_e32 v0, 0x240, v19
	v_accvgpr_write_b32 a140, v0
	v_add_u32_e32 v0, 0x480, v19
	v_accvgpr_write_b32 a141, v0
	;; [unrolled: 2-line block ×5, first 2 shown]
	v_mad_u32_u24 v1, v18, s28, v146
	v_accvgpr_write_b32 a144, v0
	v_add_u32_e32 v0, 0xd80, v19
	v_ashrrev_i32_e32 v41, 31, v40
	v_lshl_add_u32 v1, v1, 2, 0
	v_accvgpr_write_b32 a145, v0
	v_add_u32_e32 v0, 0xfc0, v19
	v_accvgpr_write_b32 a137, v1
	v_accvgpr_write_b32 a146, v0
	v_lshl_add_u64 v[0:1], v[40:41], 2, s[60:61]
	v_ashrrev_i32_e32 v43, 31, v42
	v_accvgpr_write_b32 a161, v1
	v_accvgpr_write_b32 a160, v0
	v_lshl_add_u64 v[0:1], v[42:43], 2, s[60:61]
	v_ashrrev_i32_e32 v45, 31, v44
	;; [unrolled: 4-line block ×3, first 2 shown]
	v_accvgpr_write_b32 a165, v1
	v_accvgpr_write_b32 a164, v0
	v_lshl_add_u64 v[0:1], v[54:55], 2, s[60:61]
	v_writelane_b32 v254, s1, 48
	s_mul_i32 s0, s96, s97
	v_ashrrev_i32_e32 v57, 31, v56
	v_accvgpr_write_b32 a167, v1
	v_writelane_b32 v254, s0, 49
	s_mov_b64 s[6:7], s[50:51]
	s_mov_b32 s5, s49
	v_accvgpr_write_b32 a166, v0
	v_lshl_add_u64 v[0:1], v[56:57], 2, s[60:61]
	v_writelane_b32 v254, s4, 50
	v_ashrrev_i32_e32 v59, 31, v58
	v_accvgpr_write_b32 a169, v1
	v_writelane_b32 v254, s5, 51
	v_accvgpr_write_b32 a168, v0
	v_lshl_add_u64 v[0:1], v[58:59], 2, s[60:61]
	v_writelane_b32 v254, s6, 52
	v_ashrrev_i32_e32 v61, 31, v60
	v_accvgpr_write_b32 a171, v1
	v_writelane_b32 v254, s7, 53
	v_cmp_nle_f32_e64 s[0:1], s49, 0
	v_accvgpr_write_b32 a170, v0
	v_lshl_add_u64 v[0:1], v[60:61], 2, s[60:61]
	v_writelane_b32 v254, s0, 54
	v_ashrrev_i32_e32 v63, 31, v62
	v_accvgpr_write_b32 a173, v1
	v_writelane_b32 v254, s1, 55
	v_mul_lo_u32 v24, s78, v145
	s_lshl_b32 s26, s97, 7
	v_accvgpr_write_b32 a172, v0
	v_lshl_add_u64 v[0:1], v[62:63], 2, s[60:61]
	v_ashrrev_i32_e32 v25, 31, v24
	v_writelane_b32 v254, s26, 56
	s_ashr_i32 s26, s43, 31
	v_accvgpr_write_b32 a175, v1
	v_add_u32_e32 v26, s18, v24
	v_writelane_b32 v254, s26, 57
	s_ashr_i32 s26, s35, 31
	v_accvgpr_write_b32 a174, v0
	v_lshl_add_u64 v[0:1], v[24:25], 2, s[58:59]
	v_ashrrev_i32_e32 v27, 31, v26
	v_writelane_b32 v254, s26, 58
	s_ashr_i32 s26, s34, 31
	v_accvgpr_write_b32 a177, v1
	v_add_u32_e32 v28, s18, v26
	v_writelane_b32 v254, s26, 59
	s_sub_i32 s26, 0, s92
	v_accvgpr_write_b32 a176, v0
	v_lshl_add_u64 v[0:1], v[26:27], 2, s[58:59]
	v_ashrrev_i32_e32 v29, 31, v28
	s_mul_i32 s26, s26, s31
	v_accvgpr_write_b32 a179, v1
	v_add_u32_e32 v30, s18, v28
	s_mul_hi_u32 s26, s31, s26
	v_accvgpr_write_b32 a178, v0
	v_lshl_add_u64 v[0:1], v[28:29], 2, s[58:59]
	v_ashrrev_i32_e32 v31, 31, v30
	s_add_i32 s26, s31, s26
	v_accvgpr_write_b32 a181, v1
	v_add_u32_e32 v32, s18, v30
	v_writelane_b32 v254, s26, 60
	v_cmp_eq_u32_e64 s[44:45], 0, v21
	v_accvgpr_write_b32 a180, v0
	v_lshl_add_u64 v[0:1], v[30:31], 2, s[58:59]
	v_ashrrev_i32_e32 v33, 31, v32
	v_writelane_b32 v254, s44, 61
	v_accvgpr_write_b32 a183, v1
	v_add_u32_e32 v34, s18, v32
	v_writelane_b32 v254, s45, 62
	v_cmp_eq_u32_e64 s[44:45], 1, v21
	v_accvgpr_write_b32 a182, v0
	v_lshl_add_u64 v[0:1], v[32:33], 2, s[58:59]
	v_ashrrev_i32_e32 v35, 31, v34
                                        ; implicit-def: $vgpr255 : SGPR spill to VGPR lane
	v_writelane_b32 v254, s44, 63
	v_accvgpr_write_b32 a185, v1
	v_add_u32_e32 v36, s18, v34
	v_writelane_b32 v255, s45, 0
	v_cmp_gt_u32_e64 s[44:45], 16, v146
	v_accvgpr_write_b32 a184, v0
	v_lshl_add_u64 v[0:1], v[34:35], 2, s[58:59]
	v_ashrrev_i32_e32 v37, 31, v36
	v_writelane_b32 v255, s44, 1
	v_accvgpr_write_b32 a187, v1
	v_add_u32_e32 v38, s18, v36
	v_writelane_b32 v255, s45, 2
	v_cmp_gt_u32_e64 s[44:45], 32, v146
	v_accvgpr_write_b32 a186, v0
	v_lshl_add_u64 v[0:1], v[36:37], 2, s[58:59]
	v_ashrrev_i32_e32 v39, 31, v38
	v_writelane_b32 v255, s44, 3
	v_accvgpr_write_b32 a189, v1
	v_accvgpr_write_b32 a188, v0
	v_writelane_b32 v255, s45, 4
	s_lshl_b64 s[44:45], s[40:41], 1
	v_lshl_add_u64 v[0:1], v[38:39], 2, s[58:59]
	s_mov_b64 s[38:39], src_private_base
	v_add_u32_e32 v153, 8, v145
	v_add_u32_e32 v154, 16, v145
	;; [unrolled: 1-line block ×7, first 2 shown]
	v_or_b32_e32 v160, 1, v147
	v_or_b32_e32 v161, 2, v147
	;; [unrolled: 1-line block ×3, first 2 shown]
	v_add_u32_e32 v164, 33, v147
	v_add_u32_e32 v165, 35, v147
	;; [unrolled: 1-line block ×3, first 2 shown]
	v_accvgpr_write_b32 a69, v41
	v_accvgpr_write_b32 a71, v43
	;; [unrolled: 1-line block ×4, first 2 shown]
	v_writelane_b32 v255, s44, 5
	v_accvgpr_write_b32 a77, v57
	v_accvgpr_write_b32 a79, v59
	;; [unrolled: 1-line block ×13, first 2 shown]
	v_cmp_lt_u32_e64 s[0:1], 63, v146
	s_mov_b32 s38, 0
	v_cmp_gt_u32_e64 s[94:95], 64, v145
	v_cmp_gt_u32_e64 s[4:5], 56, v145
	;; [unrolled: 1-line block ×12, first 2 shown]
	v_accvgpr_write_b32 a9, v126
	v_accvgpr_write_b32 a10, v124
	;; [unrolled: 1-line block ×4, first 2 shown]
	v_lshlrev_b32_e32 v88, 4, v4
	v_mov_b32_e32 v89, v2
	v_mov_b32_e32 v53, v2
	s_mov_b32 s97, 0x42b17218
	s_mov_b32 s93, 0x3fb8aa3b
	;; [unrolled: 1-line block ×5, first 2 shown]
	v_accvgpr_write_b32 a46, v19
	v_add_u32_e32 v102, 0x1080, v196
	v_add_u32_e32 v104, 0x2100, v196
	;; [unrolled: 1-line block ×38, first 2 shown]
	v_mov_b32_e32 v193, 0x7f800000
	v_accvgpr_write_b32 a68, v40
	v_accvgpr_write_b32 a70, v42
	;; [unrolled: 1-line block ×4, first 2 shown]
	v_cmp_gt_u32_e64 s[26:27], 32, v147
	v_cmp_gt_u32_e64 s[28:29], 31, v147
	;; [unrolled: 1-line block ×4, first 2 shown]
	v_accvgpr_write_b32 a11, v21
	s_lshl_b64 s[80:81], s[98:99], 8
	s_lshl_b64 s[82:83], s[78:79], 8
	v_writelane_b32 v255, s45, 6
	s_mov_b64 s[86:87], 0x80
	v_accvgpr_write_b32 a76, v56
	v_accvgpr_write_b32 a78, v58
	v_accvgpr_write_b32 a80, v60
	v_accvgpr_write_b32 a82, v62
	v_accvgpr_write_b32 a48, v24
	v_accvgpr_write_b32 a50, v26
	v_accvgpr_write_b32 a52, v28
	v_accvgpr_write_b32 a54, v30
	v_accvgpr_write_b32 a56, v32
	v_accvgpr_write_b32 a58, v34
	v_accvgpr_write_b32 a60, v36
	v_accvgpr_write_b32 a62, v38
	v_accvgpr_write_b32 a190, v0
	v_accvgpr_write_b32 a19, v98
	v_accvgpr_write_b32 a20, v99
	v_accvgpr_write_b32 a22, v144
	v_accvgpr_write_b32 a24, v146
	v_accvgpr_write_b32 a21, v145
	v_accvgpr_write_b32 a25, v147
	v_accvgpr_write_b32 a27, v148
	v_accvgpr_write_b32 a64, v149
	v_accvgpr_write_b32 a66, v150
	v_accvgpr_write_b32 a88, v151
	v_accvgpr_write_b32 a89, v152
	v_accvgpr_write_b32 a139, v162
	v_accvgpr_write_b32 a147, v153
	v_accvgpr_write_b32 a148, v154
	v_accvgpr_write_b32 a149, v155
	v_accvgpr_write_b32 a150, v156
	v_accvgpr_write_b32 a151, v157
	v_accvgpr_write_b32 a152, v158
	v_accvgpr_write_b32 a153, v159
	v_accvgpr_write_b32 a154, v160
	v_accvgpr_write_b32 a155, v161
	v_accvgpr_write_b32 a156, v163
	v_accvgpr_write_b32 a157, v164
	v_accvgpr_write_b32 a158, v165
	v_accvgpr_write_b32 a159, v174
	s_branch .LBB29_14
.LBB29_12:                              ;   in Loop: Header=BB29_14 Depth=1
	s_or_b64 exec, exec, s[44:45]
	s_barrier
.LBB29_13:                              ;   in Loop: Header=BB29_14 Depth=1
	v_readlane_b32 s46, v254, 1
	s_add_i32 s41, s42, s46
	s_abs_i32 s44, s41
	s_mul_hi_u32 s45, s44, s88
	s_mul_i32 s45, s45, s90
	s_sub_i32 s44, s44, s45
	s_ashr_i32 s42, s41, 31
	s_sub_i32 s45, s44, s90
	s_cmp_ge_u32 s44, s90
	s_cselect_b32 s44, s45, s44
	s_sub_i32 s45, s44, s90
	s_cmp_ge_u32 s44, s90
	s_cselect_b32 s44, s45, s44
	s_xor_b32 s44, s44, s42
	s_sub_i32 s42, s42, s44
	s_add_i32 s42, s41, s42
	v_subrev_u32_e32 v0, s42, v144
	v_cmp_lt_i32_e64 s[44:45], s42, v144
	v_cmp_le_i32_e32 vcc, s46, v0
	v_min_i32_e32 v123, s46, v0
	s_and_b64 s[46:47], vcc, s[44:45]
	s_mov_b32 s52, 0
	s_and_b64 vcc, exec, s[46:47]
	s_cbranch_vccz .LBB29_319
.LBB29_14:                              ; =>This Loop Header: Depth=1
                                        ;     Child Loop BB29_211 Depth 2
                                        ;     Child Loop BB29_56 Depth 2
	s_ashr_i32 s41, s42, 31
	v_readlane_b32 s44, v254, 57
	s_xor_b32 s41, s41, s44
	s_abs_i32 s44, s42
	v_accvgpr_read_b32 v0, a43
	v_mul_hi_u32 v0, s44, v0
	v_mul_lo_u32 v1, v0, s36
	v_sub_u32_e32 v1, s44, v1
	v_add_u32_e32 v3, 1, v0
	v_subrev_u32_e32 v4, s36, v1
	v_cmp_le_u32_e32 vcc, s36, v1
	v_readlane_b32 s44, v254, 39
	v_readlane_b32 s45, v254, 40
	v_cndmask_b32_e32 v0, v0, v3, vcc
	v_cndmask_b32_e32 v1, v1, v4, vcc
	v_add_u32_e32 v3, 1, v0
	v_cmp_le_u32_e32 vcc, s36, v1
	s_nop 1
	v_cndmask_b32_e32 v0, v0, v3, vcc
	v_xor_b32_e32 v0, s41, v0
	v_subrev_u32_e32 v0, s41, v0
	s_andn2_b64 vcc, exec, s[44:45]
	v_ashrrev_i32_e32 v1, 31, v0
	s_cbranch_vccnz .LBB29_16
; %bb.15:                               ;   in Loop: Header=BB29_14 Depth=1
	v_sub_u32_e32 v3, 0, v0
	v_max_i32_e32 v3, v0, v3
	v_accvgpr_read_b32 v4, a45
	v_mul_hi_u32 v4, v3, v4
	v_readlane_b32 s41, v254, 48
	v_readlane_b32 s44, v254, 13
	;; [unrolled: 1-line block ×3, first 2 shown]
	v_mul_lo_u32 v4, v4, s41
	v_sub_u32_e32 v3, v3, v4
	v_subrev_u32_e32 v4, s41, v3
	v_cmp_le_u32_e32 vcc, s41, v3
	v_readlane_b32 s56, v254, 22
	v_readlane_b32 s62, v254, 28
	v_cndmask_b32_e32 v3, v3, v4, vcc
	v_subrev_u32_e32 v4, s41, v3
	v_cmp_le_u32_e32 vcc, s41, v3
	v_readlane_b32 s63, v254, 29
	v_readlane_b32 s57, v254, 23
	v_cndmask_b32_e32 v3, v3, v4, vcc
	v_xor_b32_e32 v3, v3, v1
	v_sub_u32_e32 v3, v3, v1
	v_ashrrev_i32_e32 v4, 31, v3
	v_mul_lo_u32 v5, v3, s45
	v_mul_hi_u32 v6, v3, s44
	v_add_u32_e32 v5, v6, v5
	v_mul_lo_u32 v4, v4, s44
	v_add_u32_e32 v5, v5, v4
	v_mul_lo_u32 v4, v3, s44
	v_lshl_add_u64 v[130:131], s[62:63], 0, v[4:5]
	v_readlane_b32 s58, v254, 24
	v_readlane_b32 s59, v254, 25
	;; [unrolled: 1-line block ×12, first 2 shown]
	s_branch .LBB29_17
.LBB29_16:                              ;   in Loop: Header=BB29_14 Depth=1
	v_mov_b64_e32 v[130:131], 0
.LBB29_17:                              ;   in Loop: Header=BB29_14 Depth=1
	v_readlane_b32 s41, v254, 7
	v_accvgpr_read_b32 v6, a44
	v_readlane_b32 s44, v254, 54
	v_mul_lo_u32 v3, v0, s41
	v_sub_u32_e32 v4, s42, v3
	v_sub_u32_e32 v5, 0, v4
	v_max_i32_e32 v5, v4, v5
	v_mul_hi_u32 v6, v5, v6
	v_mul_lo_u32 v7, v6, s33
	v_sub_u32_e32 v5, v5, v7
	v_add_u32_e32 v7, 1, v6
	v_subrev_u32_e32 v8, s33, v5
	v_cmp_le_u32_e32 vcc, s33, v5
	v_ashrrev_i32_e32 v3, 31, v4
	v_readlane_b32 s41, v254, 58
	v_cndmask_b32_e32 v6, v6, v7, vcc
	v_cndmask_b32_e32 v5, v5, v8, vcc
	v_add_u32_e32 v7, 1, v6
	v_cmp_le_u32_e32 vcc, s33, v5
	v_xor_b32_e32 v3, s41, v3
	v_readlane_b32 s41, v254, 6
	v_cndmask_b32_e32 v5, v6, v7, vcc
	v_xor_b32_e32 v5, v5, v3
	v_sub_u32_e32 v3, v5, v3
	v_mul_lo_u32 v5, v3, s41
	v_sub_u32_e32 v5, v4, v5
	v_ashrrev_i32_e32 v4, 31, v5
	v_readlane_b32 s41, v254, 59
	v_sub_u32_e32 v6, 0, v5
	v_max_i32_e32 v6, v5, v6
	v_xor_b32_e32 v4, s41, v4
	v_readlane_b32 s41, v254, 60
	v_readlane_b32 s45, v254, 55
	v_mov_b32_e32 v128, 1.0
	v_mul_hi_u32 v7, v6, s41
	v_mul_lo_u32 v8, v7, s92
	v_sub_u32_e32 v6, v6, v8
	v_add_u32_e32 v8, 1, v7
	v_subrev_u32_e32 v9, s92, v6
	v_cmp_le_u32_e32 vcc, s92, v6
	v_readlane_b32 s41, v254, 2
	s_nop 0
	v_cndmask_b32_e32 v7, v7, v8, vcc
	v_cndmask_b32_e32 v6, v6, v9, vcc
	v_add_u32_e32 v8, 1, v7
	v_cmp_le_u32_e32 vcc, s92, v6
	s_nop 1
	v_cndmask_b32_e32 v6, v7, v8, vcc
	v_xor_b32_e32 v6, v6, v4
	v_sub_u32_e32 v6, v6, v4
	v_mul_lo_u32 v4, v3, s41
	v_add_u32_e32 v4, v4, v6
	s_andn2_b64 vcc, exec, s[44:45]
	s_cbranch_vccnz .LBB29_19
; %bb.18:                               ;   in Loop: Header=BB29_14 Depth=1
	v_readlane_b32 s41, v254, 10
	v_add_u32_e32 v7, 1, v4
	v_readlane_b32 s44, v254, 50
	v_subrev_u32_e32 v8, s41, v4
	v_lshlrev_b32_e32 v8, 1, v8
	v_or_b32_e32 v8, 1, v8
	v_cmp_gt_u32_e32 vcc, s41, v4
	v_readlane_b32 s46, v254, 52
	v_readlane_b32 s47, v254, 53
	v_cndmask_b32_e32 v7, v8, v7, vcc
	v_cvt_f32_i32_e32 v7, v7
	v_mov_b32_e32 v9, s47
	v_mov_b32_e32 v10, s46
	v_cndmask_b32_e32 v24, v9, v10, vcc
	v_cmp_neq_f32_e32 vcc, 1.0, v24
	v_readlane_b32 s45, v254, 51
	s_mov_b32 s41, 0x3f2aaaab
	v_cndmask_b32_e32 v25, 1.0, v7, vcc
	v_cmp_eq_f32_e32 vcc, 0, v25
	s_mov_b32 s46, 0x7f800000
	v_cmp_gt_f32_e64 s[48:49], 0, v25
	v_cndmask_b32_e64 v26, |v24|, 1.0, vcc
	v_frexp_mant_f32_e32 v7, v26
	v_cmp_gt_f32_e64 s[44:45], s41, v7
	s_mov_b32 s41, 0x3f317218
	s_nop 0
	v_cndmask_b32_e64 v8, 1.0, 2.0, s[44:45]
	v_mul_f32_e32 v7, v7, v8
	v_add_f32_e32 v8, 1.0, v7
	v_rcp_f32_e32 v16, v8
	v_add_f32_e32 v9, -1.0, v8
	v_sub_f32_e32 v11, v7, v9
	v_add_f32_e32 v9, -1.0, v7
	v_mul_f32_e32 v7, v9, v16
	v_mul_f32_e32 v10, v8, v7
	v_fma_f32 v12, v7, v8, -v10
	v_fmac_f32_e32 v12, v7, v11
	v_add_f32_e32 v8, v10, v12
	v_sub_f32_e32 v11, v9, v8
	v_pk_add_f32 v[14:15], v[8:9], v[10:11] neg_lo:[0,1] neg_hi:[0,1]
	v_mov_b32_e32 v13, v8
	v_pk_add_f32 v[8:9], v[14:15], v[12:13] neg_lo:[0,1] neg_hi:[0,1]
	v_mov_b32_e32 v12, 0x3e91f4c4
	v_add_f32_e32 v8, v8, v9
	v_add_f32_e32 v8, v11, v8
	v_mul_f32_e32 v9, v16, v8
	v_add_f32_e32 v8, v7, v9
	v_sub_f32_e32 v7, v8, v7
	v_sub_f32_e32 v7, v9, v7
	v_mul_f32_e32 v9, v8, v8
	v_fma_f32 v11, v8, v8, -v9
	v_add_f32_e32 v10, v7, v7
	v_fmac_f32_e32 v11, v8, v10
	v_add_f32_e32 v10, v9, v11
	v_fmamk_f32 v12, v10, 0x3e76c4e1, v12
	v_fmaak_f32 v12, v10, v12, 0x3ecccdef
	v_sub_f32_e32 v9, v10, v9
	v_sub_f32_e32 v18, v11, v9
	v_mul_f32_e32 v9, v10, v12
	v_fma_f32 v11, v10, v12, -v9
	v_fmac_f32_e32 v11, v18, v12
	v_add_f32_e32 v12, v9, v11
	v_add_f32_e32 v13, 0x3f2aaaaa, v12
	v_sub_f32_e32 v9, v12, v9
	v_sub_f32_e32 v9, v11, v9
	v_add_f32_e32 v11, 0xbf2aaaaa, v13
	v_add_f32_e32 v9, 0x31739010, v9
	v_sub_f32_e32 v11, v12, v11
	v_pk_mul_f32 v[14:15], v[8:9], v[10:11]
	v_pk_add_f32 v[16:17], v[8:9], v[10:11]
	v_fma_f32 v12, v10, v8, -v14
	v_fmac_f32_e32 v12, v10, v7
	v_mov_b32_e32 v15, v17
	v_fmac_f32_e32 v12, v18, v8
	v_pk_add_f32 v[10:11], v[14:15], v[12:13]
	v_ldexp_f32 v7, v7, 1
	v_sub_f32_e32 v9, v10, v14
	v_sub_f32_e32 v9, v12, v9
	;; [unrolled: 1-line block ×3, first 2 shown]
	v_add_f32_e32 v16, v17, v12
	v_mov_b32_e32 v12, v11
	v_pk_mul_f32 v[12:13], v[10:11], v[12:13]
	v_cvt_f64_f32_e32 v[14:15], v26
	v_frexp_exp_i32_f64_e32 v13, v[14:15]
	v_subbrev_co_u32_e64 v13, s[44:45], 0, v13, s[44:45]
	v_cvt_f32_i32_e32 v13, v13
	v_fma_f32 v14, v10, v11, -v12
	v_fmac_f32_e32 v14, v10, v16
	v_fmac_f32_e32 v14, v9, v11
	v_mul_f32_e32 v10, 0x3f317218, v13
	v_fma_f32 v16, v13, s41, -v10
	v_fmac_f32_e32 v16, 0xb102e308, v13
	v_ldexp_f32 v17, v8, 1
	v_add_f32_e32 v11, v12, v14
	v_pk_add_f32 v[8:9], v[10:11], v[16:17]
	v_mov_b32_e32 v18, v11
	v_mov_b32_e32 v19, v9
	;; [unrolled: 1-line block ×3, first 2 shown]
	v_pk_add_f32 v[12:13], v[18:19], v[12:13] neg_lo:[0,1] neg_hi:[0,1]
	v_mov_b32_e32 v15, v11
	v_pk_add_f32 v[12:13], v[14:15], v[12:13] neg_lo:[0,1] neg_hi:[0,1]
	v_mov_b32_e32 v17, v8
	v_add_f32_e32 v7, v7, v12
	v_add_f32_e32 v11, v7, v13
	v_pk_add_f32 v[12:13], v[8:9], v[10:11] neg_lo:[0,1] neg_hi:[0,1]
	v_pk_add_f32 v[14:15], v[8:9], v[10:11]
	v_mov_b32_e32 v18, v12
	v_mov_b32_e32 v19, v15
	v_pk_add_f32 v[18:19], v[16:17], v[18:19]
	v_pk_add_f32 v[12:13], v[16:17], v[12:13] neg_lo:[0,1] neg_hi:[0,1]
	v_mov_b32_e32 v10, v19
	v_pk_add_f32 v[20:21], v[10:11], v[8:9] neg_lo:[0,1] neg_hi:[0,1]
	v_mov_b32_e32 v18, v15
	v_mov_b32_e32 v7, v20
	;; [unrolled: 1-line block ×4, first 2 shown]
	v_pk_add_f32 v[22:23], v[14:15], v[6:7] neg_lo:[0,1] neg_hi:[0,1]
	v_pk_add_f32 v[8:9], v[18:19], v[8:9] neg_lo:[0,1] neg_hi:[0,1]
	v_mov_b32_e32 v16, v11
	v_pk_add_f32 v[8:9], v[16:17], v[8:9] neg_lo:[0,1] neg_hi:[0,1]
	v_mov_b32_e32 v22, v12
	v_pk_add_f32 v[14:15], v[22:23], v[8:9]
	v_mov_b32_e32 v13, v19
	v_mov_b32_e32 v16, v15
	v_pk_add_f32 v[16:17], v[14:15], v[16:17]
	s_movk_i32 s41, 0x204
	v_pk_add_f32 v[10:11], v[10:11], v[16:17]
	v_mov_b32_e32 v9, v16
	v_mov_b32_e32 v15, v10
	v_pk_add_f32 v[18:19], v[14:15], v[12:13] neg_lo:[0,1] neg_hi:[0,1]
	s_nop 0
	v_sub_f32_e32 v7, v14, v18
	v_pk_add_f32 v[8:9], v[8:9], v[18:19] neg_lo:[0,1] neg_hi:[0,1]
	v_sub_f32_e32 v7, v12, v7
	v_add_f32_e32 v7, v8, v7
	v_add_f32_e32 v7, v7, v9
	;; [unrolled: 1-line block ×3, first 2 shown]
	v_sub_f32_e32 v9, v8, v10
	v_sub_f32_e32 v7, v7, v9
	v_mul_f32_e32 v9, v25, v8
	v_fma_f32 v8, v25, v8, -v9
	v_fmac_f32_e32 v8, v25, v7
	v_add_f32_e32 v7, v9, v8
	v_cmp_class_f32_e64 s[44:45], v9, s41
	v_sub_f32_e32 v10, v7, v9
	v_sub_f32_e32 v8, v8, v10
	v_cndmask_b32_e64 v7, v7, v9, s[44:45]
	v_cmp_eq_f32_e64 s[44:45], s97, v7
	v_mov_b32_e32 v9, 0x37000000
	s_nop 0
	v_cndmask_b32_e64 v9, 0, v9, s[44:45]
	v_sub_f32_e32 v10, v7, v9
	v_mul_f32_e32 v11, 0x3fb8aa3b, v10
	v_fma_f32 v12, v10, s93, -v11
	v_rndne_f32_e32 v13, v11
	v_fmac_f32_e32 v12, 0x32a5705f, v10
	v_sub_f32_e32 v11, v11, v13
	v_add_f32_e32 v11, v11, v12
	v_exp_f32_e32 v11, v11
	v_cvt_i32_f32_e32 v12, v13
	v_cmp_neq_f32_e64 s[44:45], |v7|, s46
	s_nop 1
	v_cndmask_b32_e64 v7, 0, v8, s[44:45]
	v_ldexp_f32 v8, v11, v12
	v_cmp_ngt_f32_e64 s[44:45], s84, v10
	v_add_f32_e32 v7, v9, v7
	v_trunc_f32_e32 v9, v25
	v_cndmask_b32_e64 v8, 0, v8, s[44:45]
	v_cmp_nlt_f32_e64 s[44:45], s97, v10
	v_mov_b32_e32 v11, 0x7fc00000
	s_nop 0
	v_cndmask_b32_e64 v8, v193, v8, s[44:45]
	v_fma_f32 v7, v8, v7, v8
	v_cmp_class_f32_e64 s[44:45], v8, s41
	s_brev_b32 s41, -2
	s_nop 0
	v_cndmask_b32_e64 v7, v7, v8, s[44:45]
	v_cndmask_b32_e64 v8, v24, 1.0, vcc
	v_cmp_eq_f32_e32 vcc, v9, v25
	v_mul_f32_e32 v9, 0.5, v25
	v_trunc_f32_e32 v10, v9
	v_cmp_neq_f32_e64 s[44:45], v10, v9
	s_and_b64 s[44:45], vcc, s[44:45]
	s_nop 0
	v_cndmask_b32_e64 v9, 1.0, v8, s[44:45]
	v_bfi_b32 v7, s41, v7, v9
	v_cndmask_b32_e32 v9, v11, v7, vcc
	v_cmp_gt_f32_e32 vcc, 0, v8
	v_cndmask_b32_e64 v10, 0, v8, s[44:45]
	s_nop 0
	v_cndmask_b32_e32 v7, v7, v9, vcc
	v_cmp_eq_f32_e32 vcc, s46, v26
	v_cmp_eq_f32_e64 s[46:47], 0, v8
	s_xor_b64 s[48:49], s[48:49], s[46:47]
	v_cndmask_b32_e64 v9, v193, 0, s[48:49]
	v_bfi_b32 v9, s41, v9, v10
	s_or_b64 vcc, vcc, s[46:47]
	v_cndmask_b32_e32 v7, v7, v9, vcc
	v_cmp_o_f32_e32 vcc, v8, v8
	s_nop 1
	v_cndmask_b32_e32 v128, v11, v7, vcc
.LBB29_19:                              ;   in Loop: Header=BB29_14 Depth=1
	v_readlane_b32 s41, v254, 3
	v_readlane_b32 s44, v254, 43
	;; [unrolled: 1-line block ×3, first 2 shown]
	v_mul_lo_u32 v6, v6, s41
	v_sub_u32_e32 v5, v5, v6
	v_sub_u32_e32 v7, 0, v5
	v_ashrrev_i32_e32 v6, 31, v5
	v_max_i32_e32 v5, v5, v7
	v_mul_hi_u32 v7, v5, s88
	v_mul_lo_u32 v8, v7, s90
	v_sub_u32_e32 v5, v5, v8
	v_add_u32_e32 v8, 1, v7
	v_subrev_u32_e32 v9, s90, v5
	v_cmp_le_u32_e32 vcc, s90, v5
	v_readlane_b32 s41, v254, 21
	v_readlane_b32 s56, v254, 22
	v_cndmask_b32_e32 v7, v7, v8, vcc
	v_cndmask_b32_e32 v5, v5, v9, vcc
	v_add_u32_e32 v8, 1, v7
	v_cmp_le_u32_e32 vcc, s90, v5
	v_xor_b32_e32 v6, s41, v6
	v_readlane_b32 s57, v254, 23
	v_cndmask_b32_e32 v5, v7, v8, vcc
	v_xor_b32_e32 v5, v5, v6
	s_andn2_b64 vcc, exec, s[44:45]
	v_sub_u32_e32 v6, v5, v6
	v_readlane_b32 s58, v254, 24
	v_readlane_b32 s59, v254, 25
	;; [unrolled: 1-line block ×14, first 2 shown]
	s_cbranch_vccnz .LBB29_21
; %bb.20:                               ;   in Loop: Header=BB29_14 Depth=1
	v_readlane_b32 s41, v254, 0
	s_nop 1
	v_mul_lo_u32 v5, v0, s41
	v_add_u32_e32 v8, v6, v5
	v_ashrrev_i32_e32 v9, 31, v8
	v_lshlrev_b64 v[8:9], 2, v[8:9]
	v_lshl_add_u64 v[8:9], s[66:67], 0, v[8:9]
	global_load_dword v5, v[8:9], off
	s_waitcnt vmcnt(0)
	v_ashrrev_i32_e32 v7, 31, v5
	v_lshrrev_b32_e32 v7, 26, v7
	v_add_u32_e32 v5, v5, v7
	v_ashrrev_i32_e32 v5, 6, v5
	v_min_i32_e32 v123, v123, v5
.LBB29_21:                              ;   in Loop: Header=BB29_14 Depth=1
	v_readlane_b32 s41, v254, 49
	v_readlane_b32 s44, v254, 11
	;; [unrolled: 1-line block ×3, first 2 shown]
	v_mul_lo_u32 v5, s41, v0
	v_add_u32_e32 v5, v4, v5
	v_lshlrev_b32_e32 v8, 7, v5
	v_mov_b32_e32 v9, v2
	v_mul_lo_u32 v5, v0, s45
	v_mul_hi_u32 v7, v0, s44
	v_lshlrev_b64 v[8:9], 3, v[8:9]
	v_add_u32_e32 v5, v7, v5
	v_mul_lo_u32 v7, v1, s44
	v_mul_lo_u32 v134, v0, s44
	v_readlane_b32 s44, v254, 17
	v_lshl_add_u64 v[8:9], s[68:69], 0, v[8:9]
	v_readlane_b32 s47, v254, 20
	v_accvgpr_write_b32 a193, v9
	v_add_u32_e32 v135, v5, v7
	v_mul_lo_u32 v136, v3, s47
	v_accvgpr_write_b32 a192, v8
	v_lshl_add_u64 v[8:9], s[60:61], 0, v[134:135]
	v_readlane_b32 s46, v254, 19
	v_ashrrev_i32_e32 v137, 31, v136
	v_ashrrev_i32_e32 v5, 31, v4
	v_lshl_add_u64 v[126:127], v[8:9], 0, v[136:137]
	v_lshlrev_b64 v[8:9], 2, v[4:5]
	v_readlane_b32 s46, v254, 41
	v_lshl_add_u64 v[8:9], s[64:65], 0, v[8:9]
	v_readlane_b32 s47, v254, 42
	v_readlane_b32 s45, v254, 18
	v_mul_lo_u32 v1, v1, s44
	v_cndmask_b32_e64 v205, v9, 0, s[46:47]
	v_cndmask_b32_e64 v204, v8, 0, s[46:47]
	v_readlane_b32 s46, v254, 8
	v_readlane_b32 s47, v254, 9
	v_mul_lo_u32 v138, v0, s44
	v_mul_lo_u32 v4, v4, s46
	;; [unrolled: 1-line block ×3, first 2 shown]
	v_ashrrev_i32_e32 v9, 31, v8
	v_lshl_add_u64 v[8:9], s[56:57], 0, v[8:9]
	v_ashrrev_i32_e32 v5, 31, v4
	v_lshl_add_u64 v[142:143], v[8:9], 0, v[4:5]
	v_mul_lo_u32 v4, v0, s45
	v_mul_hi_u32 v5, v0, s44
	v_readlane_b32 s44, v254, 15
	v_add_u32_e32 v4, v5, v4
	v_readlane_b32 s45, v254, 16
	v_add_u32_e32 v139, v4, v1
	v_lshl_add_u64 v[0:1], s[58:59], 0, v[138:139]
	v_mul_lo_u32 v140, v3, s45
	v_ashrrev_i32_e32 v141, 31, v140
	v_lshlrev_b32_e32 v84, 5, v6
	v_lshl_add_u64 v[132:133], v[0:1], 0, v[140:141]
	s_cmp_lg_u32 s52, 0
	v_add_u32_e32 v44, v180, v84
	s_cbranch_scc0 .LBB29_66
; %bb.22:                               ;   in Loop: Header=BB29_14 Depth=1
	v_cmp_le_i32_e32 vcc, s96, v44
	s_and_saveexec_b64 s[44:45], vcc
	s_xor_b64 s[44:45], exec, s[44:45]
	s_cbranch_execz .LBB29_24
; %bb.23:                               ;   in Loop: Header=BB29_14 Depth=1
	ds_write2st64_b32 v152, v2, v2 offset1:1
.LBB29_24:                              ;   in Loop: Header=BB29_14 Depth=1
	s_andn2_saveexec_b64 s[44:45], s[44:45]
	s_cbranch_execz .LBB29_26
; %bb.25:                               ;   in Loop: Header=BB29_14 Depth=1
	v_mad_u64_u32 v[0:1], s[46:47], v44, s91, v[146:147]
	v_ashrrev_i32_e32 v1, 31, v0
	v_lshl_add_u64 v[0:1], v[0:1], 3, v[142:143]
	global_load_dwordx2 v[4:5], v[0:1], off
	s_waitcnt vmcnt(0)
	v_cvt_f16_f32_e32 v3, v4
	global_load_dwordx2 v[0:1], v[0:1], off offset:512
	v_cvt_f16_f32_e32 v4, v5
	v_pack_b32_f16 v3, v3, v4
	v_pk_mul_f16 v3, v181, v3
	s_waitcnt vmcnt(0)
	v_cvt_f16_f32_e32 v0, v0
	v_cvt_f16_f32_e32 v1, v1
	v_pack_b32_f16 v0, v0, v1
	v_pk_mul_f16 v0, v181, v0
	ds_write2st64_b32 v152, v3, v0 offset1:1
.LBB29_26:                              ;   in Loop: Header=BB29_14 Depth=1
	s_or_b64 exec, exec, s[44:45]
	v_add_u32_e32 v1, v99, v84
	v_cmp_le_i32_e32 vcc, s96, v1
	s_and_saveexec_b64 s[44:45], vcc
	s_xor_b64 s[44:45], exec, s[44:45]
	s_cbranch_execz .LBB29_28
; %bb.27:                               ;   in Loop: Header=BB29_14 Depth=1
	ds_write2st64_b32 v174, v2, v2 offset1:1
.LBB29_28:                              ;   in Loop: Header=BB29_14 Depth=1
	s_andn2_saveexec_b64 s[44:45], s[44:45]
	s_cbranch_execz .LBB29_30
; %bb.29:                               ;   in Loop: Header=BB29_14 Depth=1
	v_mad_u64_u32 v[4:5], s[46:47], v1, s91, v[146:147]
	v_ashrrev_i32_e32 v5, 31, v4
	v_lshl_add_u64 v[4:5], v[4:5], 3, v[142:143]
	global_load_dwordx2 v[6:7], v[4:5], off
	s_waitcnt vmcnt(0)
	v_cvt_f16_f32_e32 v0, v6
	global_load_dwordx2 v[4:5], v[4:5], off offset:512
	v_cvt_f16_f32_e32 v3, v7
	v_pack_b32_f16 v0, v0, v3
	v_pk_mul_f16 v0, v181, v0
	s_waitcnt vmcnt(0)
	v_cvt_f16_f32_e32 v3, v4
	v_cvt_f16_f32_e32 v4, v5
	v_pack_b32_f16 v3, v3, v4
	v_pk_mul_f16 v3, v181, v3
	ds_write2st64_b32 v174, v0, v3 offset1:1
.LBB29_30:                              ;   in Loop: Header=BB29_14 Depth=1
	s_or_b64 exec, exec, s[44:45]
	v_add_u32_e32 v168, v98, v84
	v_cmp_le_i32_e32 vcc, s96, v168
	s_and_saveexec_b64 s[44:45], vcc
	s_xor_b64 s[44:45], exec, s[44:45]
	s_cbranch_execz .LBB29_32
; %bb.31:                               ;   in Loop: Header=BB29_14 Depth=1
	v_add_u32_e32 v0, 64, v174
	ds_write2st64_b32 v0, v2, v2 offset0:8 offset1:9
.LBB29_32:                              ;   in Loop: Header=BB29_14 Depth=1
	s_andn2_saveexec_b64 s[44:45], s[44:45]
	s_cbranch_execz .LBB29_34
; %bb.33:                               ;   in Loop: Header=BB29_14 Depth=1
	v_mad_u64_u32 v[4:5], s[46:47], v168, s91, v[146:147]
	v_ashrrev_i32_e32 v5, 31, v4
	v_lshl_add_u64 v[4:5], v[4:5], 3, v[142:143]
	global_load_dwordx2 v[6:7], v[4:5], off
	s_waitcnt vmcnt(0)
	v_cvt_f16_f32_e32 v0, v6
	global_load_dwordx2 v[4:5], v[4:5], off offset:512
	v_cvt_f16_f32_e32 v3, v7
	v_pack_b32_f16 v0, v0, v3
	v_pk_mul_f16 v0, v181, v0
	s_waitcnt vmcnt(0)
	v_cvt_f16_f32_e32 v3, v4
	v_cvt_f16_f32_e32 v4, v5
	v_pack_b32_f16 v3, v3, v4
	v_pk_mul_f16 v3, v181, v3
	v_add_u32_e32 v4, 64, v174
	ds_write2st64_b32 v4, v0, v3 offset0:8 offset1:9
.LBB29_34:                              ;   in Loop: Header=BB29_14 Depth=1
	s_or_b64 exec, exec, s[44:45]
	v_add_u32_e32 v170, v187, v84
	v_cmp_le_i32_e32 vcc, s96, v170
	s_and_saveexec_b64 s[44:45], vcc
	s_xor_b64 s[44:45], exec, s[44:45]
	s_cbranch_execz .LBB29_36
; %bb.35:                               ;   in Loop: Header=BB29_14 Depth=1
	v_add_u32_e32 v0, 0x80, v174
	ds_write2st64_b32 v0, v2, v2 offset0:16 offset1:17
.LBB29_36:                              ;   in Loop: Header=BB29_14 Depth=1
	s_andn2_saveexec_b64 s[44:45], s[44:45]
	s_cbranch_execz .LBB29_38
; %bb.37:                               ;   in Loop: Header=BB29_14 Depth=1
	v_mad_u64_u32 v[4:5], s[46:47], v170, s91, v[146:147]
	v_ashrrev_i32_e32 v5, 31, v4
	v_lshl_add_u64 v[4:5], v[4:5], 3, v[142:143]
	global_load_dwordx2 v[6:7], v[4:5], off
	s_waitcnt vmcnt(0)
	v_cvt_f16_f32_e32 v0, v6
	global_load_dwordx2 v[4:5], v[4:5], off offset:512
	v_cvt_f16_f32_e32 v3, v7
	v_pack_b32_f16 v0, v0, v3
	v_pk_mul_f16 v0, v181, v0
	s_waitcnt vmcnt(0)
	v_cvt_f16_f32_e32 v3, v4
	v_cvt_f16_f32_e32 v4, v5
	v_pack_b32_f16 v3, v3, v4
	v_pk_mul_f16 v3, v181, v3
	v_add_u32_e32 v4, 0x80, v174
	ds_write2st64_b32 v4, v0, v3 offset0:16 offset1:17
.LBB29_38:                              ;   in Loop: Header=BB29_14 Depth=1
	;; [unrolled: 31-line block ×3, first 2 shown]
	s_or_b64 exec, exec, s[44:45]
	v_add_u32_e32 v171, v184, v84
	v_cmp_le_i32_e32 vcc, s96, v171
	s_and_saveexec_b64 s[44:45], vcc
	s_xor_b64 s[44:45], exec, s[44:45]
	s_cbranch_execz .LBB29_44
; %bb.43:                               ;   in Loop: Header=BB29_14 Depth=1
	ds_write2st64_b32 v174, v2, v2 offset0:33 offset1:34
.LBB29_44:                              ;   in Loop: Header=BB29_14 Depth=1
	s_andn2_saveexec_b64 s[44:45], s[44:45]
	s_cbranch_execz .LBB29_46
; %bb.45:                               ;   in Loop: Header=BB29_14 Depth=1
	v_mad_u64_u32 v[4:5], s[46:47], v171, s91, v[146:147]
	v_ashrrev_i32_e32 v5, 31, v4
	v_lshl_add_u64 v[4:5], v[4:5], 3, v[142:143]
	global_load_dwordx2 v[6:7], v[4:5], off
	s_waitcnt vmcnt(0)
	v_cvt_f16_f32_e32 v0, v6
	global_load_dwordx2 v[4:5], v[4:5], off offset:512
	v_cvt_f16_f32_e32 v3, v7
	v_pack_b32_f16 v0, v0, v3
	v_pk_mul_f16 v0, v181, v0
	s_waitcnt vmcnt(0)
	v_cvt_f16_f32_e32 v3, v4
	v_cvt_f16_f32_e32 v4, v5
	v_pack_b32_f16 v3, v3, v4
	v_pk_mul_f16 v3, v181, v3
	ds_write2st64_b32 v174, v0, v3 offset0:33 offset1:34
.LBB29_46:                              ;   in Loop: Header=BB29_14 Depth=1
	s_or_b64 exec, exec, s[44:45]
	v_add_u32_e32 v172, v183, v84
	v_cmp_le_i32_e32 vcc, s96, v172
	s_and_saveexec_b64 s[44:45], vcc
	s_xor_b64 s[44:45], exec, s[44:45]
	s_cbranch_execz .LBB29_48
; %bb.47:                               ;   in Loop: Header=BB29_14 Depth=1
	v_add_u32_e32 v0, 64, v174
	ds_write2st64_b32 v0, v2, v2 offset0:41 offset1:42
.LBB29_48:                              ;   in Loop: Header=BB29_14 Depth=1
	s_andn2_saveexec_b64 s[44:45], s[44:45]
	s_cbranch_execz .LBB29_50
; %bb.49:                               ;   in Loop: Header=BB29_14 Depth=1
	v_mad_u64_u32 v[4:5], s[46:47], v172, s91, v[146:147]
	v_ashrrev_i32_e32 v5, 31, v4
	v_lshl_add_u64 v[4:5], v[4:5], 3, v[142:143]
	global_load_dwordx2 v[6:7], v[4:5], off
	s_waitcnt vmcnt(0)
	v_cvt_f16_f32_e32 v0, v6
	global_load_dwordx2 v[4:5], v[4:5], off offset:512
	v_cvt_f16_f32_e32 v3, v7
	v_pack_b32_f16 v0, v0, v3
	v_pk_mul_f16 v0, v181, v0
	s_waitcnt vmcnt(0)
	v_cvt_f16_f32_e32 v3, v4
	v_cvt_f16_f32_e32 v4, v5
	v_pack_b32_f16 v3, v3, v4
	v_pk_mul_f16 v3, v181, v3
	v_add_u32_e32 v4, 64, v174
	ds_write2st64_b32 v4, v0, v3 offset0:41 offset1:42
.LBB29_50:                              ;   in Loop: Header=BB29_14 Depth=1
	s_or_b64 exec, exec, s[44:45]
	v_add_u32_e32 v173, v182, v84
	v_cmp_le_i32_e32 vcc, s96, v173
	s_and_saveexec_b64 s[44:45], vcc
	s_xor_b64 s[44:45], exec, s[44:45]
	s_cbranch_execz .LBB29_52
; %bb.51:                               ;   in Loop: Header=BB29_14 Depth=1
	v_add_u32_e32 v0, 0x80, v174
	ds_write2st64_b32 v0, v2, v2 offset0:49 offset1:50
.LBB29_52:                              ;   in Loop: Header=BB29_14 Depth=1
	s_andn2_saveexec_b64 s[44:45], s[44:45]
	s_cbranch_execz .LBB29_54
; %bb.53:                               ;   in Loop: Header=BB29_14 Depth=1
	v_mad_u64_u32 v[4:5], s[46:47], v173, s91, v[146:147]
	v_ashrrev_i32_e32 v5, 31, v4
	v_lshl_add_u64 v[4:5], v[4:5], 3, v[142:143]
	global_load_dwordx2 v[6:7], v[4:5], off
	s_waitcnt vmcnt(0)
	v_cvt_f16_f32_e32 v0, v6
	global_load_dwordx2 v[4:5], v[4:5], off offset:512
	v_cvt_f16_f32_e32 v3, v7
	v_pack_b32_f16 v0, v0, v3
	v_pk_mul_f16 v0, v181, v0
	s_waitcnt vmcnt(0)
	v_cvt_f16_f32_e32 v3, v4
	v_cvt_f16_f32_e32 v4, v5
	v_pack_b32_f16 v3, v3, v4
	v_pk_mul_f16 v3, v181, v3
	v_add_u32_e32 v4, 0x80, v174
	ds_write2st64_b32 v4, v0, v3 offset0:49 offset1:50
.LBB29_54:                              ;   in Loop: Header=BB29_14 Depth=1
	s_or_b64 exec, exec, s[44:45]
	s_waitcnt lgkmcnt(0)
	s_barrier
	ds_read2_b64 v[34:37], v148 offset1:4
	ds_read2_b64 v[30:33], v148 offset0:8 offset1:12
	ds_read2_b64 v[26:29], v148 offset0:16 offset1:20
	;; [unrolled: 1-line block ×7, first 2 shown]
	v_add_u32_e32 v50, -1, v123
	v_cmp_ge_i32_e32 vcc, s52, v50
	v_mov_b32_e32 v192, v84
	v_mov_b32_e32 v68, 0
	s_waitcnt lgkmcnt(0)
	s_barrier
	s_cbranch_vccnz .LBB29_67
; %bb.55:                               ;   in Loop: Header=BB29_14 Depth=1
	v_mul_hi_u32 v0, s2, v44
	v_add_u32_e32 v0, v44, v0
	v_lshrrev_b32_e32 v0, s3, v0
	v_mul_lo_u32 v0, v0, s96
	v_sub_u32_e32 v0, v44, v0
	v_lshlrev_b32_e32 v4, 1, v146
	v_mad_i64_i32 v[146:147], s[46:47], v0, s40, 0
	v_mul_hi_u32 v0, s2, v1
	v_add_u32_e32 v0, v1, v0
	v_lshrrev_b32_e32 v0, s3, v0
	v_mul_lo_u32 v0, v0, s96
	v_sub_u32_e32 v0, v1, v0
	v_mad_i64_i32 v[148:149], s[46:47], v0, s40, 0
	v_mul_hi_u32 v0, s2, v168
	v_add_u32_e32 v0, v168, v0
	v_lshrrev_b32_e32 v0, s3, v0
	v_mul_lo_u32 v0, v0, s96
	v_sub_u32_e32 v0, v168, v0
	;; [unrolled: 6-line block ×7, first 2 shown]
	v_mad_i64_i32 v[160:161], s[46:47], v0, s40, 0
	v_and_b32_e32 v0, 64, v162
	v_add_u32_e32 v0, 64, v0
	v_xor_b32_e32 v3, 32, v162
	v_cmp_lt_i32_e32 vcc, v3, v0
	v_mov_b32_e32 v5, v2
	v_cmp_ne_u64_e64 s[44:45], 0, v[130:131]
	v_cndmask_b32_e32 v3, v162, v3, vcc
	v_lshlrev_b32_e32 v93, 2, v3
	v_xor_b32_e32 v3, 16, v162
	v_cmp_lt_i32_e32 vcc, v3, v0
	v_lshl_add_u64 v[144:145], v[130:131], 0, v[4:5]
	v_mov_b32_e32 v194, v44
	v_cndmask_b32_e32 v0, v162, v3, vcc
	v_mov_b32_e32 v66, 0
	v_lshlrev_b32_e32 v174, 2, v0
	v_mov_b32_e32 v162, v128
	v_mov_b32_e32 v163, v128
	s_lshl_b32 s48, s52, 6
	v_mov_b32_e32 v0, 0
	v_mov_b32_e32 v67, 0xfeffffff
	;; [unrolled: 1-line block ×33, first 2 shown]
.LBB29_56:                              ;   Parent Loop BB29_14 Depth=1
                                        ; =>  This Inner Loop Header: Depth=2
	v_cndmask_b32_e64 v3, 0, 1, s[44:45]
	v_cmp_ne_u32_e64 s[46:47], 1, v3
	s_andn2_b64 vcc, exec, s[44:45]
	s_ashr_i32 s49, s48, 31
	s_cbranch_vccnz .LBB29_62
; %bb.57:                               ;   in Loop: Header=BB29_56 Depth=2
                                        ; implicit-def: $sgpr41
	s_and_saveexec_b64 s[50:51], s[0:1]
	s_xor_b64 s[50:51], exec, s[50:51]
	s_cbranch_execz .LBB29_59
; %bb.58:                               ;   in Loop: Header=BB29_56 Depth=2
	v_accvgpr_read_b32 v3, a46
	ds_write_b16 v3, v2 offset:33792
	v_accvgpr_read_b32 v3, a140
	ds_write_b16 v3, v2 offset:33792
	;; [unrolled: 2-line block ×4, first 2 shown]
	s_mov_b32 s41, 0
.LBB29_59:                              ;   in Loop: Header=BB29_56 Depth=2
	s_or_saveexec_b64 s[50:51], s[50:51]
	v_mov_b32_e32 v3, s41
	v_mov_b32_e32 v4, s41
	;; [unrolled: 1-line block ×4, first 2 shown]
	s_xor_b64 exec, exec, s[50:51]
	s_cbranch_execz .LBB29_61
; %bb.60:                               ;   in Loop: Header=BB29_56 Depth=2
	v_lshl_add_u64 v[38:39], s[48:49], 1, v[144:145]
	v_lshl_add_u64 v[4:5], v[146:147], 1, v[38:39]
	flat_load_ushort v3, v[4:5]
	v_lshl_add_u64 v[4:5], v[148:149], 1, v[38:39]
	flat_load_ushort v40, v[4:5]
	;; [unrolled: 2-line block ×4, first 2 shown]
	v_accvgpr_read_b32 v5, a46
	s_waitcnt vmcnt(0) lgkmcnt(0)
	ds_write_b16 v5, v3 offset:33792
	v_accvgpr_read_b32 v3, a140
	ds_write_b16 v3, v40 offset:33792
	v_accvgpr_read_b32 v3, a141
	;; [unrolled: 2-line block ×3, first 2 shown]
	ds_write_b16 v3, v4 offset:33792
	v_lshl_add_u64 v[4:5], v[154:155], 1, v[38:39]
	flat_load_ushort v3, v[4:5]
	v_lshl_add_u64 v[4:5], v[156:157], 1, v[38:39]
	v_lshl_add_u64 v[40:41], v[158:159], 1, v[38:39]
	;; [unrolled: 1-line block ×3, first 2 shown]
	flat_load_ushort v4, v[4:5]
	s_nop 0
	flat_load_ushort v38, v[38:39]
	s_nop 0
	flat_load_ushort v5, v[40:41]
.LBB29_61:                              ;   in Loop: Header=BB29_56 Depth=2
	s_or_b64 exec, exec, s[50:51]
	v_accvgpr_read_b32 v39, a143
	s_waitcnt vmcnt(0) lgkmcnt(0)
	ds_write_b16 v39, v3 offset:33792
	v_accvgpr_read_b32 v3, a144
	ds_write_b16 v3, v4 offset:33792
	v_accvgpr_read_b32 v3, a145
	;; [unrolled: 2-line block ×3, first 2 shown]
	ds_write_b16 v3, v38 offset:33792
.LBB29_62:                              ;   in Loop: Header=BB29_56 Depth=2
	s_mul_hi_i32 s51, s48, s78
	s_mul_i32 s50, s48, s78
	s_lshl_b64 s[50:51], s[50:51], 2
	v_accvgpr_read_b32 v38, a48
	v_lshl_add_u64 v[42:43], v[132:133], 0, s[50:51]
	v_accvgpr_read_b32 v39, a49
	v_accvgpr_read_b32 v40, a26
	v_lshl_add_u64 v[38:39], v[38:39], 2, v[42:43]
	v_lshlrev_b32_e32 v164, 2, v40
	v_mov_b32_e32 v165, v2
	v_mov_b32_e32 v3, v2
	;; [unrolled: 1-line block ×4, first 2 shown]
	v_lshl_add_u64 v[38:39], v[38:39], 0, v[164:165]
	v_mov_b32_e32 v44, s39
	v_mov_b32_e32 v45, s38
	scratch_store_dwordx4 off, v[2:5], off
	v_cndmask_b32_e64 v39, v44, v39, s[94:95]
	v_cndmask_b32_e64 v38, v45, v38, s[94:95]
	flat_load_dwordx4 v[38:41], v[38:39]
	v_add_u32_e32 v46, 0x4000, v246
	s_and_b64 vcc, exec, s[46:47]
	s_waitcnt vmcnt(0) lgkmcnt(0)
	ds_write_b128 v196, v[38:41]
	v_accvgpr_read_b32 v38, a50
	v_accvgpr_read_b32 v39, a51
	v_lshl_add_u64 v[38:39], v[38:39], 2, v[42:43]
	v_lshl_add_u64 v[38:39], v[38:39], 0, v[164:165]
	v_cndmask_b32_e64 v39, v44, v39, s[4:5]
	v_cndmask_b32_e64 v38, v45, v38, s[4:5]
	flat_load_dwordx4 v[38:41], v[38:39]
	s_waitcnt vmcnt(0) lgkmcnt(0)
	ds_write_b128 v102, v[38:41]
	v_accvgpr_read_b32 v38, a52
	v_accvgpr_read_b32 v39, a53
	v_lshl_add_u64 v[38:39], v[38:39], 2, v[42:43]
	v_lshl_add_u64 v[38:39], v[38:39], 0, v[164:165]
	v_cndmask_b32_e64 v39, v44, v39, s[6:7]
	v_cndmask_b32_e64 v38, v45, v38, s[6:7]
	flat_load_dwordx4 v[38:41], v[38:39]
	;; [unrolled: 9-line block ×7, first 2 shown]
	s_waitcnt vmcnt(0) lgkmcnt(0)
	ds_write_b128 v114, v[38:41]
	s_waitcnt lgkmcnt(0)
	s_barrier
	ds_read2_b64 v[38:41], v246 offset1:4
	ds_read2_b64 v[42:45], v46 offset0:64 offset1:68
	s_waitcnt lgkmcnt(1)
	v_mfma_f32_16x16x16_f16 a[0:3], v[38:39], v[34:35], 0
	s_waitcnt lgkmcnt(0)
	v_mfma_f32_16x16x16_f16 a[4:7], v[42:43], v[34:35], 0
	v_mfma_f32_16x16x16_f16 a[0:3], v[40:41], v[36:37], a[0:3]
	ds_read2_b64 v[38:41], v246 offset0:8 offset1:12
	v_mfma_f32_16x16x16_f16 a[4:7], v[44:45], v[36:37], a[4:7]
	ds_read2_b64 v[42:45], v46 offset0:72 offset1:76
	s_waitcnt lgkmcnt(1)
	v_mfma_f32_16x16x16_f16 a[0:3], v[38:39], v[30:31], a[0:3]
	s_waitcnt lgkmcnt(0)
	v_mfma_f32_16x16x16_f16 a[4:7], v[42:43], v[30:31], a[4:7]
	v_mfma_f32_16x16x16_f16 a[0:3], v[40:41], v[32:33], a[0:3]
	ds_read2_b64 v[38:41], v246 offset0:16 offset1:20
	v_mfma_f32_16x16x16_f16 a[4:7], v[44:45], v[32:33], a[4:7]
	;; [unrolled: 8-line block ×7, first 2 shown]
	ds_read2_b64 v[42:45], v46 offset0:120 offset1:124
	s_waitcnt lgkmcnt(0)
	s_barrier
	v_mfma_f32_16x16x16_f16 a[0:3], v[38:39], v[6:7], a[0:3]
	v_mfma_f32_16x16x16_f16 a[4:7], v[42:43], v[6:7], a[4:7]
	;; [unrolled: 1-line block ×4, first 2 shown]
	s_cbranch_vccnz .LBB29_64
; %bb.63:                               ;   in Loop: Header=BB29_56 Depth=2
	v_accvgpr_read_b32 v46, a47
	v_add_u32_e32 v46, 0x8400, v46
	ds_read2_b32 v[82:83], v46 offset1:1
	s_nop 1
	v_accvgpr_read_b32 v41, a3
	v_accvgpr_read_b32 v40, a2
	;; [unrolled: 1-line block ×4, first 2 shown]
	s_waitcnt lgkmcnt(0)
	v_cvt_f32_f16_e32 v94, v82
	v_cvt_f32_f16_sdwa v95, v82 dst_sel:DWORD dst_unused:UNUSED_PAD src0_sel:WORD_1
	v_cvt_f32_f16_e32 v82, v83
	v_cvt_f32_f16_sdwa v83, v83 dst_sel:DWORD dst_unused:UNUSED_PAD src0_sel:WORD_1
	v_mov_b32_e32 v129, v128
	v_pk_fma_f32 v[38:39], v[162:163], v[94:95], v[38:39]
	v_accvgpr_read_b32 v45, a7
	v_pk_fma_f32 v[40:41], v[128:129], v[82:83], v[40:41]
	v_accvgpr_write_b32 a0, v38
	v_accvgpr_write_b32 a2, v40
	v_accvgpr_read_b32 v38, a65
	v_accvgpr_read_b32 v40, a67
	ds_read_b32 v38, v38 offset:33792
	ds_read_b32 v40, v40 offset:33792
	v_accvgpr_write_b32 a1, v39
	v_accvgpr_write_b32 a3, v41
	v_accvgpr_read_b32 v44, a6
	s_waitcnt lgkmcnt(1)
	v_cvt_f32_f16_sdwa v39, v38 dst_sel:DWORD dst_unused:UNUSED_PAD src0_sel:WORD_1
	v_cvt_f32_f16_e32 v38, v38
	s_waitcnt lgkmcnt(0)
	v_cvt_f32_f16_sdwa v41, v40 dst_sel:DWORD dst_unused:UNUSED_PAD src0_sel:WORD_1
	v_cvt_f32_f16_e32 v40, v40
	v_accvgpr_read_b32 v43, a5
	v_accvgpr_read_b32 v42, a4
	v_pk_fma_f32 v[38:39], v[162:163], v[38:39], v[42:43]
	v_pk_fma_f32 v[40:41], v[128:129], v[40:41], v[44:45]
	v_accvgpr_write_b32 a4, v38
	v_accvgpr_write_b32 a5, v39
	;; [unrolled: 1-line block ×4, first 2 shown]
.LBB29_64:                              ;   in Loop: Header=BB29_56 Depth=2
	s_nop 4
	v_accvgpr_read_b32 v41, a3
	v_accvgpr_read_b32 v38, a0
	v_add_f32_e32 v46, 0x40051340, v38
	v_max_f32_e32 v48, v67, v67
	v_max_f32_e32 v46, v48, v46
	v_accvgpr_read_b32 v39, a1
	v_cndmask_b32_e64 v46, v67, v46, s[18:19]
	v_add_f32_e32 v48, 0x40051340, v39
	v_max_f32_e32 v82, v46, v46
	v_max_f32_e32 v48, v82, v48
	v_accvgpr_read_b32 v40, a2
	v_cndmask_b32_e64 v46, v46, v48, s[20:21]
	v_add_f32_e32 v48, 0x40051340, v40
	v_max_f32_e32 v82, v46, v46
	v_max_f32_e32 v48, v82, v48
	v_cndmask_b32_e64 v46, v46, v48, s[22:23]
	v_add_f32_e32 v48, 0x40051340, v41
	v_max_f32_e32 v82, v46, v46
	v_accvgpr_read_b32 v45, a7
	v_max_f32_e32 v48, v82, v48
	v_accvgpr_read_b32 v42, a4
	v_cndmask_b32_e64 v46, v46, v48, s[24:25]
	v_add_f32_e32 v48, 0x40051340, v42
	v_max_f32_e32 v82, v46, v46
	v_max_f32_e32 v48, v82, v48
	v_accvgpr_read_b32 v43, a5
	v_cndmask_b32_e64 v46, v46, v48, s[26:27]
	v_add_f32_e32 v48, 0x40051340, v43
	v_max_f32_e32 v82, v46, v46
	;; [unrolled: 5-line block ×3, first 2 shown]
	v_max_f32_e32 v48, v82, v48
	v_cndmask_b32_e64 v46, v46, v48, s[30:31]
	v_add_f32_e32 v48, 0x40051340, v45
	v_max_f32_e32 v82, v46, v46
	v_max_f32_e32 v48, v82, v48
	v_cndmask_b32_e64 v46, v46, v48, s[34:35]
	ds_bpermute_b32 v48, v93, v46
	v_max_f32_e32 v46, v46, v46
	v_cndmask_b32_e64 v40, v40, v40, s[20:21]
	v_cndmask_b32_e64 v41, v41, v41, s[20:21]
	;; [unrolled: 1-line block ×3, first 2 shown]
	s_waitcnt lgkmcnt(0)
	v_max_f32_e32 v48, v48, v48
	v_max_f32_e32 v46, v46, v48
	ds_bpermute_b32 v48, v174, v46
	v_cndmask_b32_e64 v44, v44, v44, s[26:27]
	v_cndmask_b32_e64 v45, v45, v45, s[26:27]
	s_mul_hi_i32 s47, s48, s98
	s_mul_i32 s46, s48, s98
	s_waitcnt lgkmcnt(0)
	v_max_f32_e32 v48, v48, v48
	v_max_f32_e32 v46, v46, v48
	v_sub_f32_e32 v38, v38, v46
	v_mul_f32_e32 v48, 0x3fb8aa3b, v38
	v_fma_f32 v82, v38, s93, -v48
	v_rndne_f32_e32 v83, v48
	v_fmac_f32_e32 v82, 0x32a5705f, v38
	v_sub_f32_e32 v48, v48, v83
	v_add_f32_e32 v48, v48, v82
	v_exp_f32_e32 v48, v48
	v_cvt_i32_f32_e32 v82, v83
	v_cmp_ngt_f32_e32 vcc, s84, v38
	v_sub_f32_e32 v39, v39, v46
	v_sub_f32_e32 v40, v40, v46
	v_ldexp_f32 v48, v48, v82
	v_cndmask_b32_e32 v48, 0, v48, vcc
	v_cmp_nlt_f32_e32 vcc, s97, v38
	s_lshl_b64 s[46:47], s[46:47], 2
	v_accvgpr_read_b32 v97, a83
	v_cndmask_b32_e32 v38, v193, v48, vcc
	v_mul_f32_e32 v48, 0x3fb8aa3b, v39
	v_fma_f32 v82, v39, s93, -v48
	v_rndne_f32_e32 v83, v48
	v_fmac_f32_e32 v82, 0x32a5705f, v39
	v_sub_f32_e32 v48, v48, v83
	v_add_f32_e32 v48, v48, v82
	v_exp_f32_e32 v48, v48
	v_cvt_i32_f32_e32 v82, v83
	v_cmp_ngt_f32_e32 vcc, s84, v39
	v_cndmask_b32_e64 v38, 0, v38, s[18:19]
	v_accvgpr_read_b32 v96, a82
	v_ldexp_f32 v48, v48, v82
	v_cndmask_b32_e32 v48, 0, v48, vcc
	v_cmp_nlt_f32_e32 vcc, s97, v39
	v_mov_b32_e32 v39, s37
	scratch_store_dwordx4 off, v[2:5], off
	v_cndmask_b32_e32 v48, v193, v48, vcc
	v_add_f32_e32 v82, v48, v38
	v_cndmask_b32_e64 v94, v39, v48, s[20:21]
	v_mul_f32_e32 v48, 0x3fb8aa3b, v40
	v_cndmask_b32_e64 v39, v38, v82, s[20:21]
	v_fma_f32 v82, v40, s93, -v48
	v_rndne_f32_e32 v83, v48
	v_fmac_f32_e32 v82, 0x32a5705f, v40
	v_sub_f32_e32 v48, v48, v83
	v_add_f32_e32 v48, v48, v82
	v_exp_f32_e32 v48, v48
	v_cvt_i32_f32_e32 v82, v83
	v_cmp_ngt_f32_e32 vcc, s84, v40
	s_add_i32 s52, s52, 1
	s_add_i32 s48, s48, 64
	v_ldexp_f32 v48, v48, v82
	v_cndmask_b32_e32 v48, 0, v48, vcc
	v_cmp_nlt_f32_e32 vcc, s97, v40
	v_mov_b32_e32 v40, s37
	s_nop 0
	v_cndmask_b32_e32 v48, v193, v48, vcc
	v_add_f32_e32 v82, v39, v48
	v_cndmask_b32_e64 v95, v40, v48, s[22:23]
	v_cndmask_b32_e64 v40, v39, v82, s[22:23]
	v_sub_f32_e32 v39, v41, v46
	v_mul_f32_e32 v41, 0x3fb8aa3b, v39
	v_fma_f32 v48, v39, s93, -v41
	v_rndne_f32_e32 v82, v41
	v_fmac_f32_e32 v48, 0x32a5705f, v39
	v_sub_f32_e32 v41, v41, v82
	v_add_f32_e32 v41, v41, v48
	v_exp_f32_e32 v41, v41
	v_cvt_i32_f32_e32 v48, v82
	v_cmp_ngt_f32_e32 vcc, s84, v39
	v_ldexp_f32 v41, v41, v48
	s_nop 0
	v_cndmask_b32_e32 v41, 0, v41, vcc
	v_cmp_nlt_f32_e32 vcc, s97, v39
	v_mov_b32_e32 v39, s37
	s_nop 0
	v_cndmask_b32_e32 v41, v193, v41, vcc
	v_add_f32_e32 v48, v40, v41
	v_cndmask_b32_e64 v41, v39, v41, s[24:25]
	v_cndmask_b32_e64 v39, v40, v48, s[24:25]
	v_sub_f32_e32 v40, v42, v46
	v_mul_f32_e32 v42, 0x3fb8aa3b, v40
	v_fma_f32 v48, v40, s93, -v42
	v_rndne_f32_e32 v82, v42
	v_fmac_f32_e32 v48, 0x32a5705f, v40
	v_sub_f32_e32 v42, v42, v82
	v_add_f32_e32 v42, v42, v48
	v_exp_f32_e32 v42, v42
	v_cvt_i32_f32_e32 v48, v82
	v_cmp_ngt_f32_e32 vcc, s84, v40
	v_ldexp_f32 v42, v42, v48
	s_nop 0
	;; [unrolled: 20-line block ×5, first 2 shown]
	v_cndmask_b32_e32 v45, 0, v45, vcc
	v_cmp_nlt_f32_e32 vcc, s97, v39
	v_mov_b32_e32 v39, s37
	s_nop 0
	v_cndmask_b32_e32 v45, v193, v45, vcc
	v_add_f32_e32 v48, v45, v40
	v_cndmask_b32_e64 v48, v40, v48, s[34:35]
	v_sub_f32_e32 v40, v67, v46
	v_cndmask_b32_e64 v39, v39, v45, s[34:35]
	v_mul_f32_e32 v45, 0x3fb8aa3b, v40
	v_fma_f32 v67, v40, s93, -v45
	v_rndne_f32_e32 v82, v45
	v_fmac_f32_e32 v67, 0x32a5705f, v40
	v_sub_f32_e32 v45, v45, v82
	v_add_f32_e32 v45, v45, v67
	v_exp_f32_e32 v45, v45
	v_cvt_i32_f32_e32 v67, v82
	v_cmp_ngt_f32_e32 vcc, s84, v40
	v_cvt_f16_f32_e32 v39, v39
	v_ldexp_f32 v45, v45, v67
	v_cndmask_b32_e32 v45, 0, v45, vcc
	v_cmp_nlt_f32_e32 vcc, s97, v40
	s_nop 1
	v_cndmask_b32_e32 v45, v193, v45, vcc
	v_cmp_le_f32_e32 vcc, s85, v40
	s_nop 1
	v_cndmask_b32_e32 v40, 0, v45, vcc
	v_fmac_f32_e32 v48, v0, v40
	v_cvt_f16_f32_e32 v0, v40
	v_cmp_lt_i32_e32 vcc, s52, v50
	s_and_b64 vcc, exec, vcc
	v_pk_mul_f16 v69, v0, v69 op_sel_hi:[0,1]
	v_pk_mul_f16 v68, v0, v68 op_sel_hi:[0,1]
	;; [unrolled: 1-line block ×32, first 2 shown]
	v_cvt_f16_f32_e32 v0, v38
	v_cvt_f16_f32_e32 v38, v94
	v_mov_b32_e32 v94, s38
	v_pack_b32_f16 v40, v0, v38
	v_cvt_f16_f32_e32 v0, v95
	v_cvt_f16_f32_e32 v38, v41
	v_pack_b32_f16 v41, v0, v38
	v_cvt_f16_f32_e32 v0, v42
	v_cvt_f16_f32_e32 v38, v43
	v_lshl_add_u64 v[42:43], v[126:127], 0, s[46:47]
	v_pack_b32_f16 v38, v0, v38
	v_cvt_f16_f32_e32 v0, v44
	v_accvgpr_read_b32 v44, a68
	v_accvgpr_read_b32 v45, a69
	v_lshl_add_u64 v[44:45], v[44:45], 2, v[42:43]
	v_pack_b32_f16 v39, v0, v39
	v_lshl_add_u64 v[44:45], v[44:45], 0, v[164:165]
	v_mov_b32_e32 v0, s39
	v_cndmask_b32_e64 v81, v0, v45, s[94:95]
	v_cndmask_b32_e64 v80, v94, v44, s[94:95]
	v_accvgpr_read_b32 v44, a70
	v_accvgpr_read_b32 v45, a71
	v_lshl_add_u64 v[44:45], v[44:45], 2, v[42:43]
	v_lshl_add_u64 v[44:45], v[44:45], 0, v[164:165]
	v_cndmask_b32_e64 v99, v0, v45, s[4:5]
	v_cndmask_b32_e64 v98, v94, v44, s[4:5]
	v_accvgpr_read_b32 v44, a72
	v_accvgpr_read_b32 v45, a73
	v_lshl_add_u64 v[44:45], v[44:45], 2, v[42:43]
	v_lshl_add_u64 v[44:45], v[44:45], 0, v[164:165]
	;; [unrolled: 6-line block ×6, first 2 shown]
	v_lshl_add_u64 v[44:45], v[44:45], 0, v[164:165]
	v_lshl_add_u64 v[42:43], v[42:43], 0, v[164:165]
	v_cndmask_b32_e64 v44, v94, v44, s[14:15]
	v_cndmask_b32_e64 v42, v94, v42, s[16:17]
	flat_load_dwordx4 v[94:97], v[80:81]
	v_cndmask_b32_e64 v45, v0, v45, s[14:15]
	v_cndmask_b32_e64 v43, v0, v43, s[16:17]
	s_waitcnt vmcnt(0) lgkmcnt(0)
	ds_write_b128 v196, v[94:97]
	flat_load_dwordx4 v[94:97], v[98:99]
	s_waitcnt vmcnt(0) lgkmcnt(0)
	ds_write_b128 v102, v[94:97]
	flat_load_dwordx4 v[94:97], v[124:125]
	;; [unrolled: 3-line block ×7, first 2 shown]
	s_waitcnt vmcnt(0) lgkmcnt(0)
	ds_write_b128 v114, v[42:45]
	s_waitcnt lgkmcnt(0)
	s_barrier
	ds_read_u16 v0, v198 offset:528
	ds_read_u16 v3, v198 offset:1056
	ds_read_u16 v4, v199
	ds_read_u16 v80, v199 offset:32
	v_cvt_f32_f16_e32 v42, v69
	v_cvt_f32_f16_sdwa v43, v69 dst_sel:DWORD dst_unused:UNUSED_PAD src0_sel:WORD_1
	v_cvt_f32_f16_e32 v44, v68
	s_waitcnt lgkmcnt(1)
	v_perm_b32 v5, v4, v3, s43
	ds_read_u16 v3, v197
	ds_read_u16 v81, v197 offset:32
	v_cvt_f32_f16_sdwa v45, v68 dst_sel:DWORD dst_unused:UNUSED_PAD src0_sel:WORD_1
	v_accvgpr_write_b32 a0, v42
	v_accvgpr_write_b32 a1, v43
	s_waitcnt lgkmcnt(1)
	v_perm_b32 v4, v0, v3, s43
	v_accvgpr_write_b32 a2, v44
	v_accvgpr_write_b32 a3, v45
	ds_read_u16 v68, v197 offset:16896
	ds_read_u16 v69, v115 offset:528
	;; [unrolled: 1-line block ×4, first 2 shown]
	v_mfma_f32_16x16x16_f16 a[0:3], v[4:5], v[40:41], a[0:3]
	s_nop 6
	v_accvgpr_read_b32 v0, a0
	v_cvt_f16_f32_e32 v0, v0
	v_accvgpr_read_b32 v3, a1
	v_accvgpr_read_b32 v4, a2
	;; [unrolled: 1-line block ×3, first 2 shown]
	v_cvt_f16_f32_e32 v3, v3
	v_cvt_f16_f32_e32 v4, v4
	;; [unrolled: 1-line block ×3, first 2 shown]
	v_cvt_f32_f16_e32 v42, v0
	v_cvt_f32_f16_e32 v43, v3
	;; [unrolled: 1-line block ×4, first 2 shown]
	s_waitcnt lgkmcnt(0)
	v_perm_b32 v5, v95, v94, s43
	v_perm_b32 v4, v69, v68, s43
	v_accvgpr_write_b32 a0, v42
	v_accvgpr_write_b32 a1, v43
	;; [unrolled: 1-line block ×4, first 2 shown]
	v_cvt_f32_f16_e32 v42, v85
	v_cvt_f32_f16_sdwa v43, v85 dst_sel:DWORD dst_unused:UNUSED_PAD src0_sel:WORD_1
	v_mfma_f32_16x16x16_f16 a[0:3], v[4:5], v[38:39], a[0:3]
	v_cvt_f32_f16_e32 v44, v84
	v_cvt_f32_f16_sdwa v45, v84 dst_sel:DWORD dst_unused:UNUSED_PAD src0_sel:WORD_1
	s_nop 4
	v_accvgpr_read_b32 v0, a0
	v_accvgpr_read_b32 v3, a1
	v_cvt_f16_f32_e32 v0, v0
	v_cvt_f16_f32_e32 v3, v3
	v_accvgpr_read_b32 v4, a2
	v_accvgpr_read_b32 v5, a3
	v_cvt_f16_f32_e32 v4, v4
	v_pack_b32_f16 v69, v0, v3
	ds_read_u16 v0, v116 offset:528
	ds_read_u16 v3, v116 offset:1056
	v_cvt_f16_f32_e32 v5, v5
	v_accvgpr_write_b32 a0, v42
	v_accvgpr_write_b32 a1, v43
	;; [unrolled: 1-line block ×3, first 2 shown]
	v_pack_b32_f16 v68, v4, v5
	s_waitcnt lgkmcnt(0)
	v_perm_b32 v5, v80, v3, s43
	v_perm_b32 v4, v0, v81, s43
	v_accvgpr_write_b32 a3, v45
	ds_read_u16 v80, v200 offset:16896
	ds_read_u16 v81, v188 offset:528
	;; [unrolled: 1-line block ×4, first 2 shown]
	v_mfma_f32_16x16x16_f16 a[0:3], v[4:5], v[40:41], a[0:3]
	s_nop 6
	v_accvgpr_read_b32 v0, a0
	v_cvt_f16_f32_e32 v0, v0
	v_accvgpr_read_b32 v3, a1
	v_accvgpr_read_b32 v4, a2
	v_accvgpr_read_b32 v5, a3
	v_cvt_f16_f32_e32 v3, v3
	v_cvt_f16_f32_e32 v4, v4
	v_cvt_f16_f32_e32 v5, v5
	v_cvt_f32_f16_e32 v42, v0
	v_cvt_f32_f16_e32 v43, v3
	v_cvt_f32_f16_e32 v44, v4
	v_cvt_f32_f16_e32 v45, v5
	s_waitcnt lgkmcnt(0)
	v_perm_b32 v5, v85, v84, s43
	v_perm_b32 v4, v81, v80, s43
	v_accvgpr_write_b32 a0, v42
	v_accvgpr_write_b32 a1, v43
	v_accvgpr_write_b32 a2, v44
	v_accvgpr_write_b32 a3, v45
	v_cvt_f32_f16_e32 v42, v55
	v_cvt_f32_f16_sdwa v43, v55 dst_sel:DWORD dst_unused:UNUSED_PAD src0_sel:WORD_1
	v_mfma_f32_16x16x16_f16 a[0:3], v[4:5], v[38:39], a[0:3]
	v_cvt_f32_f16_e32 v44, v54
	v_cvt_f32_f16_sdwa v45, v54 dst_sel:DWORD dst_unused:UNUSED_PAD src0_sel:WORD_1
	s_nop 4
	v_accvgpr_read_b32 v0, a0
	v_accvgpr_read_b32 v3, a1
	v_accvgpr_read_b32 v4, a2
	v_accvgpr_read_b32 v5, a3
	v_cvt_f16_f32_e32 v0, v0
	v_cvt_f16_f32_e32 v3, v3
	v_cvt_f16_f32_e32 v4, v4
	v_cvt_f16_f32_e32 v5, v5
	v_accvgpr_write_b32 a0, v42
	v_pack_b32_f16 v85, v0, v3
	v_accvgpr_write_b32 a1, v43
	v_pack_b32_f16 v84, v4, v5
	ds_read_u16 v0, v197 offset:64
	ds_read_u16 v3, v118 offset:528
	ds_read_u16 v4, v118 offset:1056
	ds_read_u16 v5, v199 offset:64
	v_accvgpr_write_b32 a2, v44
	v_accvgpr_write_b32 a3, v45
	ds_read_u16 v54, v203 offset:16896
	ds_read_u16 v55, v100 offset:528
	ds_read_u16 v80, v119 offset:1056
	ds_read_u16 v81, v251 offset:16896
	s_waitcnt lgkmcnt(4)
	v_perm_b32 v5, v5, v4, s43
	v_perm_b32 v4, v3, v0, s43
	s_nop 1
	v_mfma_f32_16x16x16_f16 a[0:3], v[4:5], v[40:41], a[0:3]
	s_nop 6
	v_accvgpr_read_b32 v0, a0
	v_cvt_f16_f32_e32 v0, v0
	v_accvgpr_read_b32 v3, a1
	v_accvgpr_read_b32 v4, a2
	v_accvgpr_read_b32 v5, a3
	v_cvt_f16_f32_e32 v3, v3
	v_cvt_f16_f32_e32 v4, v4
	v_cvt_f16_f32_e32 v5, v5
	v_cvt_f32_f16_e32 v42, v0
	v_cvt_f32_f16_e32 v43, v3
	v_cvt_f32_f16_e32 v44, v4
	v_cvt_f32_f16_e32 v45, v5
	s_waitcnt lgkmcnt(0)
	v_perm_b32 v5, v81, v80, s43
	v_perm_b32 v4, v55, v54, s43
	v_accvgpr_write_b32 a0, v42
	v_accvgpr_write_b32 a1, v43
	v_accvgpr_write_b32 a2, v44
	v_accvgpr_write_b32 a3, v45
	v_cvt_f32_f16_e32 v42, v57
	v_cvt_f32_f16_sdwa v43, v57 dst_sel:DWORD dst_unused:UNUSED_PAD src0_sel:WORD_1
	v_mfma_f32_16x16x16_f16 a[0:3], v[4:5], v[38:39], a[0:3]
	v_cvt_f32_f16_e32 v44, v56
	v_cvt_f32_f16_sdwa v45, v56 dst_sel:DWORD dst_unused:UNUSED_PAD src0_sel:WORD_1
	s_nop 4
	v_accvgpr_read_b32 v0, a0
	v_accvgpr_read_b32 v3, a1
	v_accvgpr_read_b32 v4, a2
	v_accvgpr_read_b32 v5, a3
	v_cvt_f16_f32_e32 v0, v0
	v_cvt_f16_f32_e32 v3, v3
	v_cvt_f16_f32_e32 v4, v4
	v_cvt_f16_f32_e32 v5, v5
	v_accvgpr_write_b32 a0, v42
	v_pack_b32_f16 v55, v0, v3
	v_accvgpr_write_b32 a1, v43
	v_pack_b32_f16 v54, v4, v5
	ds_read_u16 v0, v197 offset:96
	ds_read_u16 v3, v120 offset:528
	ds_read_u16 v4, v120 offset:1056
	ds_read_u16 v5, v199 offset:96
	v_accvgpr_write_b32 a2, v44
	v_accvgpr_write_b32 a3, v45
	ds_read_u16 v56, v206 offset:16896
	ds_read_u16 v57, v207 offset:528
	ds_read_u16 v80, v121 offset:1056
	ds_read_u16 v81, v208 offset:16896
	s_waitcnt lgkmcnt(4)
	v_perm_b32 v5, v5, v4, s43
	v_perm_b32 v4, v3, v0, s43
	s_nop 1
	;; [unrolled: 53-line block ×13, first 2 shown]
	v_mfma_f32_16x16x16_f16 a[0:3], v[4:5], v[40:41], a[0:3]
	s_nop 6
	v_accvgpr_read_b32 v0, a0
	v_cvt_f16_f32_e32 v0, v0
	v_accvgpr_read_b32 v3, a1
	v_accvgpr_read_b32 v4, a2
	;; [unrolled: 1-line block ×3, first 2 shown]
	v_cvt_f16_f32_e32 v3, v3
	v_cvt_f16_f32_e32 v4, v4
	;; [unrolled: 1-line block ×3, first 2 shown]
	v_cvt_f32_f16_e32 v42, v0
	v_cvt_f32_f16_e32 v43, v3
	;; [unrolled: 1-line block ×4, first 2 shown]
	s_waitcnt lgkmcnt(0)
	v_perm_b32 v5, v83, v82, s43
	v_perm_b32 v4, v81, v80, s43
	v_accvgpr_write_b32 a0, v42
	v_accvgpr_write_b32 a1, v43
	;; [unrolled: 1-line block ×4, first 2 shown]
	v_cvt_f32_f16_e32 v42, v67
	v_cvt_f32_f16_sdwa v43, v67 dst_sel:DWORD dst_unused:UNUSED_PAD src0_sel:WORD_1
	v_mfma_f32_16x16x16_f16 a[0:3], v[4:5], v[38:39], a[0:3]
	v_cvt_f32_f16_e32 v44, v66
	v_cvt_f32_f16_sdwa v45, v66 dst_sel:DWORD dst_unused:UNUSED_PAD src0_sel:WORD_1
	s_nop 4
	v_accvgpr_read_b32 v0, a0
	v_accvgpr_read_b32 v3, a1
	v_accvgpr_read_b32 v4, a2
	v_accvgpr_read_b32 v5, a3
	v_cvt_f16_f32_e32 v0, v0
	v_cvt_f16_f32_e32 v3, v3
	;; [unrolled: 1-line block ×4, first 2 shown]
	v_accvgpr_write_b32 a0, v42
	v_pack_b32_f16 v81, v0, v3
	v_accvgpr_write_b32 a1, v43
	v_pack_b32_f16 v80, v4, v5
	ds_read_u16 v0, v197 offset:480
	ds_read_u16 v3, v190 offset:528
	;; [unrolled: 1-line block ×4, first 2 shown]
	v_accvgpr_write_b32 a2, v44
	v_accvgpr_write_b32 a3, v45
	ds_read_u16 v44, v242 offset:16896
	ds_read_u16 v45, v244 offset:528
	;; [unrolled: 1-line block ×4, first 2 shown]
	s_waitcnt lgkmcnt(0)
	v_perm_b32 v5, v5, v4, s43
	v_perm_b32 v4, v3, v0, s43
	s_barrier
	s_nop 0
	v_mfma_f32_16x16x16_f16 a[0:3], v[4:5], v[40:41], a[0:3]
	s_nop 6
	v_accvgpr_read_b32 v0, a0
	v_cvt_f16_f32_e32 v0, v0
	v_accvgpr_read_b32 v3, a1
	v_accvgpr_read_b32 v4, a2
	v_accvgpr_read_b32 v5, a3
	v_cvt_f16_f32_e32 v3, v3
	v_cvt_f16_f32_e32 v4, v4
	;; [unrolled: 1-line block ×3, first 2 shown]
	v_cvt_f32_f16_e32 v40, v0
	v_cvt_f32_f16_e32 v41, v3
	;; [unrolled: 1-line block ×4, first 2 shown]
	v_perm_b32 v5, v67, v66, s43
	v_perm_b32 v4, v45, v44, s43
	v_accvgpr_write_b32 a0, v40
	v_accvgpr_write_b32 a1, v41
	;; [unrolled: 1-line block ×4, first 2 shown]
	s_nop 1
	v_mfma_f32_16x16x16_f16 a[0:3], v[4:5], v[38:39], a[0:3]
	s_nop 6
	v_accvgpr_read_b32 v0, a0
	v_accvgpr_read_b32 v3, a1
	;; [unrolled: 1-line block ×4, first 2 shown]
	v_cvt_f16_f32_e32 v0, v0
	v_cvt_f16_f32_e32 v3, v3
	;; [unrolled: 1-line block ×4, first 2 shown]
	v_pack_b32_f16 v66, v0, v3
	v_pack_b32_f16 v124, v4, v5
	s_cbranch_vccz .LBB29_68
; %bb.65:                               ;   in Loop: Header=BB29_56 Depth=2
	v_mov_b32_e32 v0, v48
	v_mov_b32_e32 v67, v46
	s_branch .LBB29_56
.LBB29_66:                              ;   in Loop: Header=BB29_14 Depth=1
	s_cbranch_execz .LBB29_13
	s_branch .LBB29_172
.LBB29_67:                              ;   in Loop: Header=BB29_14 Depth=1
	v_mov_b32_e32 v194, v44
	v_mov_b32_e32 v48, 0
	;; [unrolled: 1-line block ×34, first 2 shown]
	s_branch .LBB29_69
.LBB29_68:                              ;   in Loop: Header=BB29_14 Depth=1
	v_accvgpr_read_b32 v98, a19
	v_accvgpr_read_b32 v99, a20
	;; [unrolled: 1-line block ×25, first 2 shown]
.LBB29_69:                              ;   in Loop: Header=BB29_14 Depth=1
	s_mov_b32 s68, s88
	s_lshl_b32 s88, s52, 6
	v_readlane_b32 s44, v254, 4
	v_cmp_eq_u64_e32 vcc, 0, v[130:131]
	s_sub_i32 s41, s44, s88
	v_cmp_ne_u64_e64 s[60:61], 0, v[130:131]
	s_ashr_i32 s89, s88, 31
	v_readlane_b32 s45, v254, 5
	s_cbranch_vccnz .LBB29_79
; %bb.70:                               ;   in Loop: Header=BB29_14 Depth=1
	v_cmp_le_i32_e32 vcc, s41, v146
                                        ; implicit-def: $sgpr46
	s_and_saveexec_b64 s[44:45], vcc
	s_xor_b64 s[44:45], exec, s[44:45]
	s_cbranch_execz .LBB29_72
; %bb.71:                               ;   in Loop: Header=BB29_14 Depth=1
	v_accvgpr_read_b32 v0, a46
	ds_write_b16 v0, v2 offset:33792
	v_accvgpr_read_b32 v0, a140
	ds_write_b16 v0, v2 offset:33792
	s_mov_b32 s46, 0
                                        ; implicit-def: $vgpr1
                                        ; implicit-def: $vgpr168
                                        ; implicit-def: $vgpr170
.LBB29_72:                              ;   in Loop: Header=BB29_14 Depth=1
	s_or_saveexec_b64 s[44:45], s[44:45]
	s_lshl_b64 s[48:49], s[88:89], 1
	v_lshl_add_u64 v[4:5], v[130:131], 0, s[48:49]
	v_lshlrev_b32_e32 v38, 1, v146
	v_mov_b32_e32 v39, v2
	v_lshl_add_u64 v[4:5], v[4:5], 0, v[38:39]
	v_mov_b32_e32 v0, s46
	v_mov_b32_e32 v3, s46
	s_xor_b64 exec, exec, s[44:45]
	s_cbranch_execz .LBB29_74
; %bb.73:                               ;   in Loop: Header=BB29_14 Depth=1
	v_mov_b32_e32 v3, v194
	v_mul_hi_u32 v0, s2, v3
	v_add_u32_e32 v0, v3, v0
	v_lshrrev_b32_e32 v0, s3, v0
	v_mul_lo_u32 v0, v0, s96
	v_sub_u32_e32 v0, v3, v0
	v_mad_i64_i32 v[38:39], s[46:47], v0, s40, 0
	v_mul_hi_u32 v0, s2, v1
	v_add_u32_e32 v0, v1, v0
	v_lshrrev_b32_e32 v0, s3, v0
	v_mul_lo_u32 v0, v0, s96
	v_sub_u32_e32 v0, v1, v0
	v_lshl_add_u64 v[38:39], v[38:39], 1, v[4:5]
	v_mad_i64_i32 v[0:1], s[46:47], v0, s40, 0
	flat_load_ushort v3, v[38:39]
	v_lshl_add_u64 v[0:1], v[0:1], 1, v[4:5]
	flat_load_ushort v0, v[0:1]
	v_accvgpr_read_b32 v1, a46
	s_waitcnt vmcnt(0) lgkmcnt(0)
	ds_write_b16 v1, v3 offset:33792
	v_accvgpr_read_b32 v1, a140
	ds_write_b16 v1, v0 offset:33792
	v_mul_hi_u32 v0, s2, v168
	v_add_u32_e32 v0, v168, v0
	v_lshrrev_b32_e32 v0, s3, v0
	v_mul_lo_u32 v0, v0, s96
	v_sub_u32_e32 v0, v168, v0
	v_mad_i64_i32 v[0:1], s[46:47], v0, s40, 0
	v_lshl_add_u64 v[0:1], v[0:1], 1, v[4:5]
	flat_load_ushort v0, v[0:1]
	v_mul_hi_u32 v1, s2, v170
	v_add_u32_e32 v1, v170, v1
	v_lshrrev_b32_e32 v1, s3, v1
	v_mul_lo_u32 v1, v1, s96
	v_sub_u32_e32 v1, v170, v1
	v_mad_i64_i32 v[38:39], s[46:47], v1, s40, 0
	v_lshl_add_u64 v[38:39], v[38:39], 1, v[4:5]
	flat_load_ushort v3, v[38:39]
.LBB29_74:                              ;   in Loop: Header=BB29_14 Depth=1
	s_or_b64 exec, exec, s[44:45]
	v_accvgpr_read_b32 v1, a141
	s_waitcnt vmcnt(0) lgkmcnt(0)
	ds_write_b16 v1, v0 offset:33792
	v_accvgpr_read_b32 v0, a142
	ds_write_b16 v0, v3 offset:33792
                                        ; implicit-def: $sgpr46
	s_and_saveexec_b64 s[44:45], vcc
	s_xor_b64 s[44:45], exec, s[44:45]
	s_cbranch_execz .LBB29_76
; %bb.75:                               ;   in Loop: Header=BB29_14 Depth=1
	v_accvgpr_read_b32 v0, a143
	ds_write_b16 v0, v2 offset:33792
	v_accvgpr_read_b32 v0, a144
	ds_write_b16 v0, v2 offset:33792
	s_mov_b32 s46, 0
                                        ; implicit-def: $vgpr169
                                        ; implicit-def: $vgpr4_vgpr5
                                        ; implicit-def: $vgpr171
                                        ; implicit-def: $vgpr172
                                        ; implicit-def: $vgpr173
.LBB29_76:                              ;   in Loop: Header=BB29_14 Depth=1
	s_or_saveexec_b64 s[44:45], s[44:45]
	v_mov_b32_e32 v0, s46
	v_mov_b32_e32 v1, s46
	s_xor_b64 exec, exec, s[44:45]
	s_cbranch_execz .LBB29_78
; %bb.77:                               ;   in Loop: Header=BB29_14 Depth=1
	v_mul_hi_u32 v0, s2, v169
	v_add_u32_e32 v0, v169, v0
	v_lshrrev_b32_e32 v0, s3, v0
	v_mul_lo_u32 v0, v0, s96
	v_sub_u32_e32 v0, v169, v0
	v_mad_i64_i32 v[0:1], s[46:47], v0, s40, 0
	v_lshl_add_u64 v[0:1], v[0:1], 1, v[4:5]
	flat_load_ushort v3, v[0:1]
	v_mul_hi_u32 v0, s2, v171
	v_add_u32_e32 v0, v171, v0
	v_lshrrev_b32_e32 v0, s3, v0
	v_mul_lo_u32 v0, v0, s96
	v_sub_u32_e32 v0, v171, v0
	v_mad_i64_i32 v[0:1], s[46:47], v0, s40, 0
	v_lshl_add_u64 v[0:1], v[0:1], 1, v[4:5]
	flat_load_ushort v0, v[0:1]
	v_accvgpr_read_b32 v1, a143
	s_waitcnt vmcnt(0) lgkmcnt(0)
	ds_write_b16 v1, v3 offset:33792
	v_accvgpr_read_b32 v1, a144
	ds_write_b16 v1, v0 offset:33792
	v_mul_hi_u32 v0, s2, v172
	v_add_u32_e32 v0, v172, v0
	v_lshrrev_b32_e32 v0, s3, v0
	v_mul_lo_u32 v0, v0, s96
	v_sub_u32_e32 v0, v172, v0
	v_mad_i64_i32 v[0:1], s[46:47], v0, s40, 0
	v_lshl_add_u64 v[0:1], v[0:1], 1, v[4:5]
	flat_load_ushort v0, v[0:1]
	v_mul_hi_u32 v1, s2, v173
	v_add_u32_e32 v1, v173, v1
	v_lshrrev_b32_e32 v1, s3, v1
	v_mul_lo_u32 v1, v1, s96
	v_sub_u32_e32 v1, v173, v1
	v_mad_i64_i32 v[38:39], s[46:47], v1, s40, 0
	v_lshl_add_u64 v[4:5], v[38:39], 1, v[4:5]
	flat_load_ushort v1, v[4:5]
.LBB29_78:                              ;   in Loop: Header=BB29_14 Depth=1
	s_or_b64 exec, exec, s[44:45]
	v_accvgpr_read_b32 v3, a145
	s_waitcnt vmcnt(0) lgkmcnt(0)
	ds_write_b16 v3, v0 offset:33792
	v_accvgpr_read_b32 v0, a146
	ds_write_b16 v0, v1 offset:33792
.LBB29_79:                              ;   in Loop: Header=BB29_14 Depth=1
	s_mul_hi_i32 s45, s88, s78
	s_mul_i32 s44, s88, s78
	s_lshl_b64 s[44:45], s[44:45], 2
	v_accvgpr_read_b32 v38, a48
	v_lshl_add_u64 v[0:1], v[132:133], 0, s[44:45]
	v_accvgpr_read_b32 v39, a49
	v_accvgpr_read_b32 v40, a26
	v_lshl_add_u64 v[38:39], v[38:39], 2, v[0:1]
	v_lshlrev_b32_e32 v42, 2, v40
	v_mov_b32_e32 v43, v2
	v_mov_b32_e32 v3, v2
	;; [unrolled: 1-line block ×4, first 2 shown]
	v_cmp_gt_i32_e64 s[44:45], s41, v145
	v_lshl_add_u64 v[38:39], v[38:39], 0, v[42:43]
	v_mov_b32_e32 v44, s39
	v_mov_b32_e32 v45, s38
	scratch_store_dwordx4 off, v[2:5], off
	v_cndmask_b32_e64 v39, v44, v39, s[44:45]
	v_cndmask_b32_e64 v38, v45, v38, s[44:45]
	flat_load_dwordx4 v[38:41], v[38:39]
	v_cmp_gt_i32_e64 s[46:47], s41, v153
	v_cmp_gt_i32_e64 s[48:49], s41, v154
	;; [unrolled: 1-line block ×7, first 2 shown]
	s_andn2_b64 vcc, exec, s[60:61]
	s_waitcnt vmcnt(0) lgkmcnt(0)
	ds_write_b128 v196, v[38:41]
	v_accvgpr_read_b32 v38, a50
	v_accvgpr_read_b32 v39, a51
	v_lshl_add_u64 v[38:39], v[38:39], 2, v[0:1]
	v_lshl_add_u64 v[38:39], v[38:39], 0, v[42:43]
	v_cndmask_b32_e64 v39, v44, v39, s[46:47]
	v_cndmask_b32_e64 v38, v45, v38, s[46:47]
	flat_load_dwordx4 v[38:41], v[38:39]
	s_waitcnt vmcnt(0) lgkmcnt(0)
	ds_write_b128 v102, v[38:41]
	v_accvgpr_read_b32 v38, a52
	v_accvgpr_read_b32 v39, a53
	v_lshl_add_u64 v[38:39], v[38:39], 2, v[0:1]
	v_lshl_add_u64 v[38:39], v[38:39], 0, v[42:43]
	v_cndmask_b32_e64 v39, v44, v39, s[48:49]
	v_cndmask_b32_e64 v38, v45, v38, s[48:49]
	flat_load_dwordx4 v[38:41], v[38:39]
	;; [unrolled: 9-line block ×7, first 2 shown]
	v_add_u32_e32 v0, 0x4000, v246
	s_waitcnt vmcnt(0) lgkmcnt(0)
	ds_write_b128 v114, v[38:41]
	s_waitcnt lgkmcnt(0)
	s_barrier
	ds_read2_b64 v[38:41], v246 offset1:4
	ds_read2_b64 v[94:97], v0 offset0:64 offset1:68
	s_waitcnt lgkmcnt(1)
	v_mfma_f32_16x16x16_f16 a[0:3], v[38:39], v[34:35], 0
	s_waitcnt lgkmcnt(0)
	v_mfma_f32_16x16x16_f16 a[4:7], v[94:95], v[34:35], 0
	v_mfma_f32_16x16x16_f16 a[0:3], v[40:41], v[36:37], a[0:3]
	ds_read2_b64 v[38:41], v246 offset0:8 offset1:12
	v_mfma_f32_16x16x16_f16 a[4:7], v[96:97], v[36:37], a[4:7]
	ds_read2_b64 v[34:37], v0 offset0:72 offset1:76
	s_waitcnt lgkmcnt(1)
	v_mfma_f32_16x16x16_f16 a[0:3], v[38:39], v[30:31], a[0:3]
	s_waitcnt lgkmcnt(0)
	v_mfma_f32_16x16x16_f16 a[4:7], v[34:35], v[30:31], a[4:7]
	v_mfma_f32_16x16x16_f16 a[0:3], v[40:41], v[32:33], a[0:3]
	ds_read2_b64 v[38:41], v246 offset0:16 offset1:20
	v_mfma_f32_16x16x16_f16 a[4:7], v[36:37], v[32:33], a[4:7]
	;; [unrolled: 8-line block ×7, first 2 shown]
	ds_read2_b64 v[10:13], v0 offset0:120 offset1:124
	s_waitcnt lgkmcnt(0)
	s_barrier
	v_mfma_f32_16x16x16_f16 a[0:3], v[38:39], v[6:7], a[0:3]
	v_mfma_f32_16x16x16_f16 a[4:7], v[10:11], v[6:7], a[4:7]
	;; [unrolled: 1-line block ×4, first 2 shown]
	s_cbranch_vccnz .LBB29_81
; %bb.80:                               ;   in Loop: Header=BB29_14 Depth=1
	v_accvgpr_read_b32 v0, a47
	v_add_u32_e32 v0, 0x8400, v0
	ds_read2_b32 v[0:1], v0 offset1:1
	s_nop 1
	v_accvgpr_read_b32 v41, a3
	v_accvgpr_read_b32 v40, a2
	;; [unrolled: 1-line block ×4, first 2 shown]
	s_waitcnt lgkmcnt(0)
	v_cvt_f32_f16_e32 v10, v0
	v_cvt_f32_f16_sdwa v11, v0 dst_sel:DWORD dst_unused:UNUSED_PAD src0_sel:WORD_1
	v_cvt_f32_f16_e32 v0, v1
	v_cvt_f32_f16_sdwa v1, v1 dst_sel:DWORD dst_unused:UNUSED_PAD src0_sel:WORD_1
	v_accvgpr_read_b32 v9, a7
	v_pk_fma_f32 v[10:11], v[128:129], v[10:11], v[38:39] op_sel_hi:[0,1,1]
	v_accvgpr_write_b32 a0, v10
	v_pk_fma_f32 v[0:1], v[128:129], v[0:1], v[40:41] op_sel_hi:[0,1,1]
	v_accvgpr_write_b32 a2, v0
	v_accvgpr_read_b32 v0, a65
	v_accvgpr_read_b32 v10, a67
	ds_read_b32 v0, v0 offset:33792
	ds_read_b32 v10, v10 offset:33792
	v_accvgpr_write_b32 a1, v11
	v_accvgpr_write_b32 a3, v1
	v_accvgpr_read_b32 v8, a6
	s_waitcnt lgkmcnt(1)
	v_cvt_f32_f16_sdwa v1, v0 dst_sel:DWORD dst_unused:UNUSED_PAD src0_sel:WORD_1
	v_cvt_f32_f16_e32 v0, v0
	s_waitcnt lgkmcnt(0)
	v_cvt_f32_f16_sdwa v11, v10 dst_sel:DWORD dst_unused:UNUSED_PAD src0_sel:WORD_1
	v_cvt_f32_f16_e32 v10, v10
	v_accvgpr_read_b32 v7, a5
	v_accvgpr_read_b32 v6, a4
	v_pk_fma_f32 v[0:1], v[128:129], v[0:1], v[6:7] op_sel_hi:[0,1,1]
	v_pk_fma_f32 v[8:9], v[128:129], v[10:11], v[8:9] op_sel_hi:[0,1,1]
	v_accvgpr_write_b32 a4, v0
	v_accvgpr_write_b32 a5, v1
	;; [unrolled: 1-line block ×4, first 2 shown]
.LBB29_81:                              ;   in Loop: Header=BB29_14 Depth=1
	s_nop 4
	v_accvgpr_read_b32 v11, a3
	v_accvgpr_read_b32 v8, a0
	v_add_f32_e32 v0, 0x40051340, v8
	v_max_f32_e32 v1, v46, v46
	v_cmp_gt_u32_e64 s[70:71], s41, v147
	v_max_f32_e32 v0, v1, v0
	v_accvgpr_read_b32 v9, a1
	v_cndmask_b32_e64 v0, v46, v0, s[70:71]
	v_add_f32_e32 v1, 0x40051340, v9
	v_max_f32_e32 v6, v0, v0
	v_cmp_gt_u32_e64 s[72:73], s41, v160
	v_max_f32_e32 v1, v6, v1
	v_accvgpr_read_b32 v10, a2
	v_cndmask_b32_e64 v0, v0, v1, s[72:73]
	;; [unrolled: 6-line block ×6, first 2 shown]
	v_add_f32_e32 v1, 0x40051340, v14
	v_max_f32_e32 v6, v0, v0
	v_cmp_gt_u32_e64 s[60:61], s41, v150
	v_max_f32_e32 v1, v6, v1
	v_cmp_gt_u32_e32 vcc, s41, v165
	v_cndmask_b32_e64 v0, v0, v1, s[60:61]
	v_add_f32_e32 v1, 0x40051340, v15
	v_max_f32_e32 v6, v0, v0
	v_max_f32_e32 v1, v6, v1
	v_cndmask_b32_e32 v0, v0, v1, vcc
	v_and_b32_e32 v1, 64, v162
	v_add_u32_e32 v1, 64, v1
	v_xor_b32_e32 v6, 32, v162
	v_cmp_lt_i32_e64 s[76:77], v6, v1
	v_cndmask_b32_e64 v10, v10, v10, s[72:73]
	v_cndmask_b32_e64 v11, v11, v11, s[72:73]
	;; [unrolled: 1-line block ×3, first 2 shown]
	v_lshlrev_b32_e32 v7, 2, v6
	ds_bpermute_b32 v6, v7, v0
	v_max_f32_e32 v0, v0, v0
	v_cndmask_b32_e64 v13, v13, v13, s[64:65]
	v_cndmask_b32_e64 v14, v14, v14, s[64:65]
	scratch_store_dwordx4 off, v[2:5], off
	s_waitcnt lgkmcnt(0)
	v_max_f32_e32 v6, v6, v6
	v_max_f32_e32 v0, v0, v6
	v_xor_b32_e32 v6, 16, v162
	v_cmp_lt_i32_e64 s[76:77], v6, v1
	s_nop 1
	v_cndmask_b32_e64 v1, v162, v6, s[76:77]
	v_lshlrev_b32_e32 v37, 2, v1
	ds_bpermute_b32 v1, v37, v0
	s_waitcnt lgkmcnt(0)
	v_max_f32_e32 v1, v1, v1
	v_max_f32_e32 v6, v0, v1
	v_sub_f32_e32 v0, v8, v6
	v_mul_f32_e32 v1, 0x3fb8aa3b, v0
	v_fma_f32 v8, v0, s93, -v1
	v_rndne_f32_e32 v16, v1
	v_fmac_f32_e32 v8, 0x32a5705f, v0
	v_sub_f32_e32 v1, v1, v16
	v_add_f32_e32 v1, v1, v8
	v_exp_f32_e32 v1, v1
	v_cvt_i32_f32_e32 v8, v16
	v_cmp_ngt_f32_e64 s[76:77], s84, v0
	v_ldexp_f32 v1, v1, v8
	s_nop 0
	v_cndmask_b32_e64 v1, 0, v1, s[76:77]
	v_cmp_nlt_f32_e64 s[76:77], s97, v0
	s_nop 1
	v_cndmask_b32_e64 v0, v193, v1, s[76:77]
	v_sub_f32_e32 v1, v9, v6
	v_mul_f32_e32 v8, 0x3fb8aa3b, v1
	v_fma_f32 v9, v1, s93, -v8
	v_rndne_f32_e32 v16, v8
	v_fmac_f32_e32 v9, 0x32a5705f, v1
	v_sub_f32_e32 v8, v8, v16
	v_add_f32_e32 v8, v8, v9
	v_exp_f32_e32 v8, v8
	v_cvt_i32_f32_e32 v9, v16
	v_cndmask_b32_e64 v0, 0, v0, s[70:71]
	v_cmp_ngt_f32_e64 s[70:71], s84, v1
	v_ldexp_f32 v8, v8, v9
	s_nop 0
	v_cndmask_b32_e64 v8, 0, v8, s[70:71]
	v_cmp_nlt_f32_e64 s[70:71], s97, v1
	v_mov_b32_e32 v1, s37
	s_nop 0
	v_cndmask_b32_e64 v8, v193, v8, s[70:71]
	v_add_f32_e32 v9, v8, v0
	v_cndmask_b32_e64 v16, v1, v8, s[72:73]
	v_sub_f32_e32 v8, v10, v6
	v_cndmask_b32_e64 v1, v0, v9, s[72:73]
	v_mul_f32_e32 v9, 0x3fb8aa3b, v8
	v_fma_f32 v10, v8, s93, -v9
	v_rndne_f32_e32 v17, v9
	v_fmac_f32_e32 v10, 0x32a5705f, v8
	v_sub_f32_e32 v9, v9, v17
	v_add_f32_e32 v9, v9, v10
	v_exp_f32_e32 v9, v9
	v_cvt_i32_f32_e32 v10, v17
	v_cmp_ngt_f32_e64 s[70:71], s84, v8
	v_cvt_f16_f32_e32 v0, v0
	v_ldexp_f32 v9, v9, v10
	v_cndmask_b32_e64 v9, 0, v9, s[70:71]
	v_cmp_nlt_f32_e64 s[70:71], s97, v8
	v_mov_b32_e32 v8, s37
	s_nop 0
	v_cndmask_b32_e64 v9, v193, v9, s[70:71]
	v_cndmask_b32_e64 v17, v8, v9, s[74:75]
	v_sub_f32_e32 v8, v11, v6
	v_add_f32_e32 v10, v1, v9
	v_mul_f32_e32 v9, 0x3fb8aa3b, v8
	v_cndmask_b32_e64 v1, v1, v10, s[74:75]
	v_fma_f32 v10, v8, s93, -v9
	v_rndne_f32_e32 v11, v9
	v_fmac_f32_e32 v10, 0x32a5705f, v8
	v_sub_f32_e32 v9, v9, v11
	v_add_f32_e32 v9, v9, v10
	v_exp_f32_e32 v9, v9
	v_cvt_i32_f32_e32 v10, v11
	v_cmp_ngt_f32_e64 s[70:71], s84, v8
	v_ldexp_f32 v9, v9, v10
	s_nop 0
	v_cndmask_b32_e64 v9, 0, v9, s[70:71]
	v_cmp_nlt_f32_e64 s[70:71], s97, v8
	s_nop 1
	v_cndmask_b32_e64 v8, v193, v9, s[70:71]
	v_mov_b32_e32 v9, s37
	v_add_f32_e32 v10, v1, v8
	v_cndmask_b32_e64 v11, v9, v8, s[66:67]
	v_sub_f32_e32 v8, v12, v6
	v_mul_f32_e32 v9, 0x3fb8aa3b, v8
	v_cndmask_b32_e64 v1, v1, v10, s[66:67]
	v_fma_f32 v10, v8, s93, -v9
	v_rndne_f32_e32 v12, v9
	v_fmac_f32_e32 v10, 0x32a5705f, v8
	v_sub_f32_e32 v9, v9, v12
	v_add_f32_e32 v9, v9, v10
	v_exp_f32_e32 v9, v9
	v_cvt_i32_f32_e32 v10, v12
	v_cmp_ngt_f32_e64 s[66:67], s84, v8
	v_cndmask_b32_e64 v12, v15, v15, s[64:65]
	v_ldexp_f32 v9, v9, v10
	v_cndmask_b32_e64 v9, 0, v9, s[66:67]
	v_cmp_nlt_f32_e64 s[66:67], s97, v8
	v_mov_b32_e32 v8, s37
	s_nop 0
	v_cndmask_b32_e64 v9, v193, v9, s[66:67]
	v_add_f32_e32 v10, v9, v1
	v_cndmask_b32_e64 v15, v8, v9, s[64:65]
	v_cndmask_b32_e64 v8, v1, v10, s[64:65]
	v_sub_f32_e32 v1, v13, v6
	v_mul_f32_e32 v9, 0x3fb8aa3b, v1
	v_fma_f32 v10, v1, s93, -v9
	v_rndne_f32_e32 v13, v9
	v_fmac_f32_e32 v10, 0x32a5705f, v1
	v_sub_f32_e32 v9, v9, v13
	v_add_f32_e32 v9, v9, v10
	v_exp_f32_e32 v9, v9
	v_cvt_i32_f32_e32 v10, v13
	v_cmp_ngt_f32_e64 s[64:65], s84, v1
	v_ldexp_f32 v9, v9, v10
	s_nop 0
	v_cndmask_b32_e64 v9, 0, v9, s[64:65]
	v_cmp_nlt_f32_e64 s[64:65], s97, v1
	v_mov_b32_e32 v1, s37
	s_nop 0
	v_cndmask_b32_e64 v9, v193, v9, s[64:65]
	v_add_f32_e32 v10, v9, v8
	v_cndmask_b32_e64 v13, v1, v9, s[62:63]
	v_cndmask_b32_e64 v1, v8, v10, s[62:63]
	v_sub_f32_e32 v8, v14, v6
	v_mul_f32_e32 v9, 0x3fb8aa3b, v8
	v_fma_f32 v10, v8, s93, -v9
	v_rndne_f32_e32 v14, v9
	v_fmac_f32_e32 v10, 0x32a5705f, v8
	v_sub_f32_e32 v9, v9, v14
	v_add_f32_e32 v9, v9, v10
	v_exp_f32_e32 v9, v9
	v_cvt_i32_f32_e32 v10, v14
	v_cmp_ngt_f32_e64 s[62:63], s84, v8
	v_ldexp_f32 v9, v9, v10
	s_nop 0
	v_cndmask_b32_e64 v9, 0, v9, s[62:63]
	v_cmp_nlt_f32_e64 s[62:63], s97, v8
	v_mov_b32_e32 v8, s37
	s_nop 0
	v_cndmask_b32_e64 v9, v193, v9, s[62:63]
	v_cndmask_b32_e64 v14, v8, v9, s[60:61]
	v_sub_f32_e32 v8, v12, v6
	v_add_f32_e32 v10, v9, v1
	v_mul_f32_e32 v9, 0x3fb8aa3b, v8
	v_cndmask_b32_e64 v1, v1, v10, s[60:61]
	v_fma_f32 v10, v8, s93, -v9
	v_rndne_f32_e32 v12, v9
	v_fmac_f32_e32 v10, 0x32a5705f, v8
	v_sub_f32_e32 v9, v9, v12
	v_add_f32_e32 v9, v9, v10
	v_exp_f32_e32 v9, v9
	v_cvt_i32_f32_e32 v10, v12
	v_cmp_ngt_f32_e64 s[60:61], s84, v8
	v_ldexp_f32 v9, v9, v10
	s_nop 0
	v_cndmask_b32_e64 v9, 0, v9, s[60:61]
	v_cmp_nlt_f32_e64 s[60:61], s97, v8
	s_nop 1
	v_cndmask_b32_e64 v8, v193, v9, s[60:61]
	v_add_f32_e32 v10, v8, v1
	v_mov_b32_e32 v9, s37
	v_cndmask_b32_e32 v39, v1, v10, vcc
	v_sub_f32_e32 v1, v46, v6
	v_cndmask_b32_e32 v9, v9, v8, vcc
	v_mul_f32_e32 v8, 0x3fb8aa3b, v1
	v_fma_f32 v10, v1, s93, -v8
	v_rndne_f32_e32 v12, v8
	v_fmac_f32_e32 v10, 0x32a5705f, v1
	v_sub_f32_e32 v8, v8, v12
	v_add_f32_e32 v8, v8, v10
	v_exp_f32_e32 v8, v8
	v_cvt_i32_f32_e32 v10, v12
	v_cmp_ngt_f32_e32 vcc, s84, v1
	v_cvt_f16_f32_e32 v9, v9
	s_mul_hi_i32 s61, s88, s98
	v_ldexp_f32 v8, v8, v10
	v_cndmask_b32_e32 v8, 0, v8, vcc
	v_cmp_nlt_f32_e32 vcc, s97, v1
	s_mul_i32 s60, s88, s98
	s_lshl_b64 s[60:61], s[60:61], 2
	v_cndmask_b32_e32 v8, v193, v8, vcc
	v_cmp_le_f32_e32 vcc, s85, v1
	s_nop 1
	v_cndmask_b32_e32 v1, 0, v8, vcc
	v_cvt_f16_f32_e32 v8, v1
	v_fmac_f32_e32 v39, v48, v1
	v_cmp_eq_u64_e32 vcc, 0, v[204:205]
	v_pk_mul_f16 v69, v8, v69 op_sel_hi:[0,1]
	v_pk_mul_f16 v1, v8, v68 op_sel_hi:[0,1]
	;; [unrolled: 1-line block ×32, first 2 shown]
	v_cvt_f16_f32_e32 v8, v16
	v_mov_b32_e32 v54, s38
	v_accvgpr_read_b32 v58, a82
	v_accvgpr_read_b32 v59, a83
	v_pack_b32_f16 v10, v0, v8
	v_cvt_f16_f32_e32 v0, v17
	v_cvt_f16_f32_e32 v8, v11
	v_pack_b32_f16 v11, v0, v8
	v_cvt_f16_f32_e32 v0, v15
	v_cvt_f16_f32_e32 v8, v13
	v_lshl_add_u64 v[12:13], v[126:127], 0, s[60:61]
	v_pack_b32_f16 v8, v0, v8
	v_cvt_f16_f32_e32 v0, v14
	v_accvgpr_read_b32 v14, a68
	v_accvgpr_read_b32 v15, a69
	v_lshl_add_u64 v[14:15], v[14:15], 2, v[12:13]
	v_pack_b32_f16 v9, v0, v9
	v_lshl_add_u64 v[14:15], v[14:15], 0, v[42:43]
	v_mov_b32_e32 v0, s39
	v_cndmask_b32_e64 v57, v0, v15, s[44:45]
	v_cndmask_b32_e64 v56, v54, v14, s[44:45]
	v_accvgpr_read_b32 v14, a70
	v_accvgpr_read_b32 v15, a71
	v_lshl_add_u64 v[14:15], v[14:15], 2, v[12:13]
	v_lshl_add_u64 v[14:15], v[14:15], 0, v[42:43]
	v_cndmask_b32_e64 v61, v0, v15, s[46:47]
	v_cndmask_b32_e64 v60, v54, v14, s[46:47]
	v_accvgpr_read_b32 v14, a72
	v_accvgpr_read_b32 v15, a73
	v_lshl_add_u64 v[14:15], v[14:15], 2, v[12:13]
	v_lshl_add_u64 v[14:15], v[14:15], 0, v[42:43]
	;; [unrolled: 6-line block ×6, first 2 shown]
	flat_load_dwordx4 v[56:59], v[56:57]
	v_lshl_add_u64 v[14:15], v[14:15], 0, v[42:43]
	v_cndmask_b32_e64 v15, v0, v15, s[56:57]
	v_cndmask_b32_e64 v14, v54, v14, s[56:57]
	v_lshl_add_u64 v[12:13], v[12:13], 0, v[42:43]
	v_cndmask_b32_e64 v13, v0, v13, s[58:59]
	v_cndmask_b32_e64 v12, v54, v12, s[58:59]
	v_readlane_b32 s50, v254, 61
	v_readlane_b32 s51, v254, 62
	s_xor_b64 s[44:45], s[50:51], -1
	s_or_b64 s[44:45], s[44:45], vcc
	s_waitcnt vmcnt(0) lgkmcnt(0)
	ds_write_b128 v196, v[56:59]
	flat_load_dwordx4 v[56:59], v[60:61]
	s_waitcnt vmcnt(0) lgkmcnt(0)
	ds_write_b128 v102, v[56:59]
	flat_load_dwordx4 v[56:59], v[62:63]
	;; [unrolled: 3-line block ×6, first 2 shown]
	v_cvt_f32_f16_e32 v56, v46
	v_cvt_f32_f16_sdwa v57, v46 dst_sel:DWORD dst_unused:UNUSED_PAD src0_sel:WORD_1
	s_waitcnt vmcnt(0) lgkmcnt(0)
	ds_write_b128 v112, v[14:17]
	flat_load_dwordx4 v[12:15], v[12:13]
	s_waitcnt vmcnt(0) lgkmcnt(0)
	ds_write_b128 v114, v[12:15]
	s_waitcnt lgkmcnt(0)
	s_barrier
	ds_read_u16 v0, v198 offset:528
	ds_read_u16 v3, v198 offset:1056
	v_cvt_f32_f16_e32 v14, v1
	v_cvt_f32_f16_sdwa v15, v1 dst_sel:DWORD dst_unused:UNUSED_PAD src0_sel:WORD_1
	ds_read_u16 v1, v199
	ds_read_u16 v5, v199 offset:32
	v_cvt_f32_f16_e32 v12, v69
	v_cvt_f32_f16_sdwa v13, v69 dst_sel:DWORD dst_unused:UNUSED_PAD src0_sel:WORD_1
	s_waitcnt lgkmcnt(1)
	v_perm_b32 v1, v1, v3, s43
	ds_read_u16 v3, v197
	ds_read_u16 v16, v197 offset:32
	v_accvgpr_write_b32 a0, v12
	v_accvgpr_write_b32 a1, v13
	;; [unrolled: 1-line block ×3, first 2 shown]
	s_waitcnt lgkmcnt(1)
	v_perm_b32 v0, v0, v3, s43
	v_accvgpr_write_b32 a3, v15
	ds_read_u16 v17, v197 offset:16896
	ds_read_u16 v42, v115 offset:528
	;; [unrolled: 1-line block ×4, first 2 shown]
	v_mfma_f32_16x16x16_f16 a[0:3], v[0:1], v[10:11], a[0:3]
	s_nop 6
	v_accvgpr_read_b32 v0, a0
	v_cvt_f16_f32_e32 v0, v0
	v_accvgpr_read_b32 v1, a1
	v_accvgpr_read_b32 v3, a2
	;; [unrolled: 1-line block ×3, first 2 shown]
	v_cvt_f16_f32_e32 v1, v1
	v_cvt_f16_f32_e32 v3, v3
	;; [unrolled: 1-line block ×3, first 2 shown]
	v_cvt_f32_f16_e32 v12, v0
	v_cvt_f32_f16_e32 v13, v1
	;; [unrolled: 1-line block ×4, first 2 shown]
	s_waitcnt lgkmcnt(0)
	v_perm_b32 v1, v54, v43, s43
	v_perm_b32 v0, v42, v17, s43
	v_accvgpr_write_b32 a0, v12
	v_accvgpr_write_b32 a1, v13
	;; [unrolled: 1-line block ×4, first 2 shown]
	v_cvt_f32_f16_sdwa v13, v68 dst_sel:DWORD dst_unused:UNUSED_PAD src0_sel:WORD_1
	v_cvt_f32_f16_e32 v14, v67
	v_mfma_f32_16x16x16_f16 a[0:3], v[0:1], v[8:9], a[0:3]
	v_cvt_f32_f16_sdwa v15, v67 dst_sel:DWORD dst_unused:UNUSED_PAD src0_sel:WORD_1
	s_nop 5
	v_accvgpr_read_b32 v0, a0
	v_accvgpr_read_b32 v1, a1
	;; [unrolled: 1-line block ×4, first 2 shown]
	v_cvt_f16_f32_e32 v0, v0
	v_cvt_f16_f32_e32 v1, v1
	;; [unrolled: 1-line block ×4, first 2 shown]
	v_pack_b32_f16 v4, v0, v1
	v_pack_b32_f16 v1, v3, v12
	ds_read_u16 v0, v116 offset:528
	ds_read_u16 v3, v116 offset:1056
	v_cvt_f32_f16_e32 v12, v68
	s_waitcnt lgkmcnt(1)
	v_perm_b32 v16, v0, v16, s43
	s_waitcnt lgkmcnt(0)
	v_perm_b32 v17, v5, v3, s43
	v_accvgpr_write_b32 a0, v12
	v_accvgpr_write_b32 a1, v13
	;; [unrolled: 1-line block ×4, first 2 shown]
	s_nop 1
	v_mfma_f32_16x16x16_f16 a[0:3], v[16:17], v[10:11], a[0:3]
	ds_read_u16 v16, v200 offset:16896
	ds_read_u16 v42, v188 offset:528
	;; [unrolled: 1-line block ×4, first 2 shown]
	s_waitcnt lgkmcnt(2)
	v_perm_b32 v16, v42, v16, s43
	s_nop 0
	v_accvgpr_read_b32 v0, a0
	v_cvt_f16_f32_e32 v0, v0
	v_accvgpr_read_b32 v3, a1
	v_accvgpr_read_b32 v5, a2
	;; [unrolled: 1-line block ×3, first 2 shown]
	v_cvt_f16_f32_e32 v3, v3
	v_cvt_f16_f32_e32 v5, v5
	;; [unrolled: 1-line block ×3, first 2 shown]
	v_cvt_f32_f16_e32 v12, v0
	v_cvt_f32_f16_e32 v13, v3
	;; [unrolled: 1-line block ×4, first 2 shown]
	s_waitcnt lgkmcnt(0)
	v_perm_b32 v17, v43, v17, s43
	v_accvgpr_write_b32 a0, v12
	v_accvgpr_write_b32 a1, v13
	;; [unrolled: 1-line block ×4, first 2 shown]
	v_cvt_f32_f16_e32 v14, v55
	v_cvt_f32_f16_sdwa v15, v55 dst_sel:DWORD dst_unused:UNUSED_PAD src0_sel:WORD_1
	v_mfma_f32_16x16x16_f16 a[0:3], v[16:17], v[8:9], a[0:3]
	v_cvt_f32_f16_e32 v16, v50
	v_cvt_f32_f16_sdwa v17, v50 dst_sel:DWORD dst_unused:UNUSED_PAD src0_sel:WORD_1
	v_cvt_f32_f16_sdwa v55, v48 dst_sel:DWORD dst_unused:UNUSED_PAD src0_sel:WORD_1
	s_nop 3
	v_accvgpr_read_b32 v0, a0
	v_accvgpr_read_b32 v3, a1
	;; [unrolled: 1-line block ×4, first 2 shown]
	v_cvt_f16_f32_e32 v0, v0
	v_cvt_f16_f32_e32 v3, v3
	v_cvt_f16_f32_e32 v5, v5
	v_cvt_f16_f32_e32 v13, v12
	v_accvgpr_write_b32 a0, v14
	v_pack_b32_f16 v12, v0, v3
	v_accvgpr_write_b32 a1, v15
	v_pack_b32_f16 v3, v5, v13
	ds_read_u16 v0, v197 offset:64
	ds_read_u16 v5, v118 offset:528
	;; [unrolled: 1-line block ×4, first 2 shown]
	v_accvgpr_write_b32 a2, v16
	v_accvgpr_write_b32 a3, v17
	s_waitcnt lgkmcnt(0)
	v_perm_b32 v43, v42, v13, s43
	v_perm_b32 v42, v5, v0, s43
	s_nop 1
	v_mfma_f32_16x16x16_f16 a[0:3], v[42:43], v[10:11], a[0:3]
	ds_read_u16 v42, v203 offset:16896
	ds_read_u16 v50, v100 offset:528
	;; [unrolled: 1-line block ×4, first 2 shown]
	s_waitcnt lgkmcnt(2)
	v_perm_b32 v42, v50, v42, s43
	s_nop 0
	v_accvgpr_read_b32 v0, a0
	v_cvt_f16_f32_e32 v0, v0
	v_accvgpr_read_b32 v5, a1
	v_accvgpr_read_b32 v13, a2
	;; [unrolled: 1-line block ×3, first 2 shown]
	v_cvt_f16_f32_e32 v5, v5
	v_cvt_f16_f32_e32 v13, v13
	;; [unrolled: 1-line block ×3, first 2 shown]
	v_cvt_f32_f16_e32 v14, v0
	v_cvt_f32_f16_e32 v15, v5
	;; [unrolled: 1-line block ×4, first 2 shown]
	s_waitcnt lgkmcnt(0)
	v_perm_b32 v43, v54, v43, s43
	v_accvgpr_write_b32 a0, v14
	v_accvgpr_write_b32 a1, v15
	;; [unrolled: 1-line block ×4, first 2 shown]
	v_cvt_f32_f16_e32 v54, v48
	s_nop 0
	v_mfma_f32_16x16x16_f16 a[0:3], v[42:43], v[8:9], a[0:3]
	s_nop 6
	v_accvgpr_read_b32 v0, a0
	v_accvgpr_read_b32 v5, a1
	;; [unrolled: 1-line block ×4, first 2 shown]
	v_cvt_f16_f32_e32 v0, v0
	v_cvt_f16_f32_e32 v5, v5
	;; [unrolled: 1-line block ×4, first 2 shown]
	v_accvgpr_write_b32 a0, v54
	v_pack_b32_f16 v14, v0, v5
	v_accvgpr_write_b32 a1, v55
	v_pack_b32_f16 v5, v13, v15
	ds_read_u16 v0, v197 offset:96
	ds_read_u16 v13, v120 offset:528
	;; [unrolled: 1-line block ×4, first 2 shown]
	v_accvgpr_write_b32 a2, v56
	v_accvgpr_write_b32 a3, v57
	s_waitcnt lgkmcnt(0)
	v_perm_b32 v17, v16, v15, s43
	v_perm_b32 v16, v13, v0, s43
	s_nop 1
	v_mfma_f32_16x16x16_f16 a[0:3], v[16:17], v[10:11], a[0:3]
	ds_read_u16 v42, v206 offset:16896
	ds_read_u16 v43, v207 offset:528
	;; [unrolled: 1-line block ×4, first 2 shown]
	s_waitcnt lgkmcnt(0)
	v_perm_b32 v17, v46, v17, s43
	s_nop 0
	v_accvgpr_read_b32 v0, a0
	v_cvt_f16_f32_e32 v0, v0
	v_accvgpr_read_b32 v13, a1
	v_accvgpr_read_b32 v15, a2
	v_accvgpr_read_b32 v16, a3
	v_cvt_f16_f32_e32 v13, v13
	v_cvt_f16_f32_e32 v15, v15
	;; [unrolled: 1-line block ×3, first 2 shown]
	v_cvt_f32_f16_e32 v54, v0
	v_cvt_f32_f16_e32 v55, v13
	;; [unrolled: 1-line block ×4, first 2 shown]
	v_perm_b32 v16, v43, v42, s43
	v_accvgpr_write_b32 a0, v54
	v_accvgpr_write_b32 a1, v55
	;; [unrolled: 1-line block ×4, first 2 shown]
	v_cvt_f32_f16_e32 v54, v45
	v_cvt_f32_f16_sdwa v55, v45 dst_sel:DWORD dst_unused:UNUSED_PAD src0_sel:WORD_1
	v_mfma_f32_16x16x16_f16 a[0:3], v[16:17], v[8:9], a[0:3]
	v_cvt_f32_f16_e32 v56, v18
	v_cvt_f32_f16_sdwa v57, v18 dst_sel:DWORD dst_unused:UNUSED_PAD src0_sel:WORD_1
	s_nop 4
	v_accvgpr_read_b32 v0, a0
	v_accvgpr_read_b32 v13, a1
	;; [unrolled: 1-line block ×4, first 2 shown]
	v_cvt_f16_f32_e32 v0, v0
	v_cvt_f16_f32_e32 v13, v13
	;; [unrolled: 1-line block ×4, first 2 shown]
	v_accvgpr_write_b32 a0, v54
	v_pack_b32_f16 v16, v0, v13
	v_accvgpr_write_b32 a1, v55
	v_pack_b32_f16 v13, v15, v17
	ds_read_u16 v0, v197 offset:128
	ds_read_u16 v15, v86 offset:528
	;; [unrolled: 1-line block ×4, first 2 shown]
	v_accvgpr_write_b32 a2, v56
	v_accvgpr_write_b32 a3, v57
	s_waitcnt lgkmcnt(0)
	v_perm_b32 v43, v42, v17, s43
	v_perm_b32 v42, v15, v0, s43
	s_nop 1
	v_mfma_f32_16x16x16_f16 a[0:3], v[42:43], v[10:11], a[0:3]
	ds_read_u16 v42, v209 offset:16896
	ds_read_u16 v45, v122 offset:528
	;; [unrolled: 1-line block ×4, first 2 shown]
	s_waitcnt lgkmcnt(2)
	v_perm_b32 v42, v45, v42, s43
	s_nop 0
	v_accvgpr_read_b32 v0, a0
	v_cvt_f16_f32_e32 v0, v0
	v_accvgpr_read_b32 v15, a1
	v_accvgpr_read_b32 v17, a2
	;; [unrolled: 1-line block ×3, first 2 shown]
	v_cvt_f16_f32_e32 v15, v15
	v_cvt_f16_f32_e32 v17, v17
	;; [unrolled: 1-line block ×3, first 2 shown]
	v_cvt_f32_f16_e32 v54, v0
	v_cvt_f32_f16_e32 v55, v15
	;; [unrolled: 1-line block ×4, first 2 shown]
	s_waitcnt lgkmcnt(0)
	v_perm_b32 v43, v46, v43, s43
	v_accvgpr_write_b32 a0, v54
	v_accvgpr_write_b32 a1, v55
	;; [unrolled: 1-line block ×4, first 2 shown]
	v_cvt_f32_f16_sdwa v45, v20 dst_sel:DWORD dst_unused:UNUSED_PAD src0_sel:WORD_1
	s_nop 0
	v_mfma_f32_16x16x16_f16 a[0:3], v[42:43], v[8:9], a[0:3]
	v_cvt_f32_f16_sdwa v43, v44 dst_sel:DWORD dst_unused:UNUSED_PAD src0_sel:WORD_1
	s_nop 5
	v_accvgpr_read_b32 v0, a0
	v_accvgpr_read_b32 v15, a1
	;; [unrolled: 1-line block ×4, first 2 shown]
	v_cvt_f16_f32_e32 v0, v0
	v_cvt_f16_f32_e32 v15, v15
	;; [unrolled: 1-line block ×4, first 2 shown]
	v_pack_b32_f16 v18, v0, v15
	v_pack_b32_f16 v15, v17, v42
	ds_read_u16 v0, v197 offset:160
	ds_read_u16 v17, v92 offset:528
	;; [unrolled: 1-line block ×4, first 2 shown]
	v_cvt_f32_f16_e32 v42, v44
	v_cvt_f32_f16_e32 v44, v20
	s_waitcnt lgkmcnt(2)
	v_perm_b32 v54, v17, v0, s43
	s_waitcnt lgkmcnt(0)
	v_perm_b32 v55, v48, v46, s43
	v_accvgpr_write_b32 a0, v42
	v_accvgpr_write_b32 a1, v43
	v_accvgpr_write_b32 a2, v44
	v_accvgpr_write_b32 a3, v45
	s_nop 1
	v_mfma_f32_16x16x16_f16 a[0:3], v[54:55], v[10:11], a[0:3]
	ds_read_u16 v46, v212 offset:16896
	ds_read_u16 v48, v213 offset:528
	ds_read_u16 v50, v189 offset:1056
	ds_read_u16 v54, v214 offset:16896
	s_waitcnt lgkmcnt(0)
	v_perm_b32 v55, v54, v50, s43
	s_nop 0
	v_accvgpr_read_b32 v0, a0
	v_cvt_f16_f32_e32 v0, v0
	v_accvgpr_read_b32 v17, a1
	v_accvgpr_read_b32 v20, a2
	v_accvgpr_read_b32 v42, a3
	v_cvt_f16_f32_e32 v17, v17
	v_cvt_f16_f32_e32 v20, v20
	v_cvt_f16_f32_e32 v45, v42
	v_cvt_f32_f16_e32 v42, v0
	v_cvt_f32_f16_e32 v43, v17
	v_cvt_f32_f16_e32 v44, v20
	v_cvt_f32_f16_e32 v45, v45
	v_perm_b32 v54, v48, v46, s43
	v_accvgpr_write_b32 a0, v42
	v_accvgpr_write_b32 a1, v43
	v_accvgpr_write_b32 a2, v44
	v_accvgpr_write_b32 a3, v45
	v_cvt_f32_f16_e32 v44, v19
	v_cvt_f32_f16_sdwa v45, v19 dst_sel:DWORD dst_unused:UNUSED_PAD src0_sel:WORD_1
	v_mfma_f32_16x16x16_f16 a[0:3], v[54:55], v[8:9], a[0:3]
	s_nop 6
	v_accvgpr_read_b32 v0, a0
	v_accvgpr_read_b32 v17, a1
	v_cvt_f16_f32_e32 v0, v0
	v_cvt_f16_f32_e32 v17, v17
	v_accvgpr_read_b32 v20, a2
	v_cvt_f16_f32_e32 v42, v20
	v_accvgpr_read_b32 v20, a3
	v_cvt_f16_f32_e32 v43, v20
	v_pack_b32_f16 v20, v0, v17
	ds_read_u16 v0, v197 offset:192
	ds_read_u16 v46, v253 offset:528
	ds_read_u16 v48, v253 offset:1056
	ds_read_u16 v50, v199 offset:192
	v_pack_b32_f16 v17, v42, v43
	v_cvt_f32_f16_e32 v42, v22
	v_cvt_f32_f16_sdwa v43, v22 dst_sel:DWORD dst_unused:UNUSED_PAD src0_sel:WORD_1
	s_waitcnt lgkmcnt(0)
	v_perm_b32 v55, v50, v48, s43
	v_perm_b32 v54, v46, v0, s43
	v_accvgpr_write_b32 a0, v42
	v_accvgpr_write_b32 a1, v43
	v_accvgpr_write_b32 a2, v44
	v_accvgpr_write_b32 a3, v45
	s_nop 1
	v_mfma_f32_16x16x16_f16 a[0:3], v[54:55], v[10:11], a[0:3]
	ds_read_u16 v46, v215 offset:16896
	ds_read_u16 v48, v90 offset:528
	ds_read_u16 v50, v252 offset:1056
	ds_read_u16 v54, v201 offset:16896
	s_waitcnt lgkmcnt(0)
	v_perm_b32 v55, v54, v50, s43
	s_nop 0
	v_accvgpr_read_b32 v0, a0
	v_cvt_f16_f32_e32 v0, v0
	v_accvgpr_read_b32 v19, a1
	v_accvgpr_read_b32 v22, a2
	v_accvgpr_read_b32 v42, a3
	v_cvt_f16_f32_e32 v19, v19
	v_cvt_f16_f32_e32 v22, v22
	v_cvt_f16_f32_e32 v45, v42
	v_cvt_f32_f16_e32 v42, v0
	v_cvt_f32_f16_e32 v43, v19
	v_cvt_f32_f16_e32 v44, v22
	v_cvt_f32_f16_e32 v45, v45
	v_perm_b32 v54, v48, v46, s43
	v_accvgpr_write_b32 a0, v42
	v_accvgpr_write_b32 a1, v43
	v_accvgpr_write_b32 a2, v44
	v_accvgpr_write_b32 a3, v45
	v_cvt_f32_f16_e32 v44, v21
	v_cvt_f32_f16_sdwa v45, v21 dst_sel:DWORD dst_unused:UNUSED_PAD src0_sel:WORD_1
	v_mfma_f32_16x16x16_f16 a[0:3], v[54:55], v[8:9], a[0:3]
	s_nop 6
	v_accvgpr_read_b32 v0, a0
	v_accvgpr_read_b32 v19, a1
	v_cvt_f16_f32_e32 v0, v0
	v_cvt_f16_f32_e32 v19, v19
	v_accvgpr_read_b32 v22, a2
	v_cvt_f16_f32_e32 v42, v22
	v_accvgpr_read_b32 v22, a3
	v_cvt_f16_f32_e32 v43, v22
	v_pack_b32_f16 v22, v0, v19
	ds_read_u16 v0, v197 offset:224
	ds_read_u16 v46, v248 offset:528
	ds_read_u16 v48, v248 offset:1056
	ds_read_u16 v50, v199 offset:224
	v_pack_b32_f16 v19, v42, v43
	v_cvt_f32_f16_e32 v42, v24
	v_cvt_f32_f16_sdwa v43, v24 dst_sel:DWORD dst_unused:UNUSED_PAD src0_sel:WORD_1
	s_waitcnt lgkmcnt(0)
	v_perm_b32 v55, v50, v48, s43
	;; [unrolled: 53-line block ×10, first 2 shown]
	v_perm_b32 v40, v46, v0, s43
	v_accvgpr_write_b32 a0, v42
	v_accvgpr_write_b32 a1, v43
	v_accvgpr_write_b32 a2, v44
	v_accvgpr_write_b32 a3, v45
	s_nop 1
	v_mfma_f32_16x16x16_f16 a[0:3], v[40:41], v[10:11], a[0:3]
	ds_read_u16 v41, v242 offset:16896
	ds_read_u16 v46, v244 offset:528
	;; [unrolled: 1-line block ×4, first 2 shown]
	s_waitcnt lgkmcnt(0)
	s_barrier
	s_nop 0
	v_accvgpr_read_b32 v0, a0
	v_cvt_f16_f32_e32 v0, v0
	v_accvgpr_read_b32 v10, a1
	v_accvgpr_read_b32 v11, a2
	;; [unrolled: 1-line block ×3, first 2 shown]
	v_cvt_f16_f32_e32 v10, v10
	v_cvt_f16_f32_e32 v11, v11
	;; [unrolled: 1-line block ×3, first 2 shown]
	v_cvt_f32_f16_e32 v42, v0
	v_cvt_f32_f16_e32 v43, v10
	;; [unrolled: 1-line block ×4, first 2 shown]
	v_perm_b32 v11, v50, v48, s43
	v_perm_b32 v10, v46, v41, s43
	v_accvgpr_write_b32 a0, v42
	v_accvgpr_write_b32 a1, v43
	;; [unrolled: 1-line block ×4, first 2 shown]
	s_nop 1
	v_mfma_f32_16x16x16_f16 a[0:3], v[10:11], v[8:9], a[0:3]
	s_nop 6
	v_accvgpr_read_b32 v0, a0
	v_accvgpr_read_b32 v8, a1
	v_cvt_f16_f32_e32 v0, v0
	v_cvt_f16_f32_e32 v8, v8
	v_accvgpr_read_b32 v9, a2
	v_accvgpr_read_b32 v10, a3
	v_cvt_f16_f32_e32 v9, v9
	v_pack_b32_f16 v8, v0, v8
	ds_bpermute_b32 v0, v7, v39
	v_cvt_f16_f32_e32 v10, v10
	s_waitcnt lgkmcnt(0)
	v_add_f32_e32 v0, v39, v0
	ds_bpermute_b32 v7, v37, v0
	v_pack_b32_f16 v9, v9, v10
	s_waitcnt lgkmcnt(0)
	v_add_f32_e32 v7, v0, v7
	s_and_saveexec_b64 s[46:47], s[44:45]
	s_xor_b64 s[44:45], exec, s[46:47]
	s_or_saveexec_b64 s[44:45], s[44:45]
	s_mov_b32 s88, s68
	v_mov_b32_e32 v84, v192
	v_mov_b32_e32 v44, v194
	s_xor_b64 exec, exec, s[44:45]
	s_cbranch_execz .LBB29_83
; %bb.82:                               ;   in Loop: Header=BB29_14 Depth=1
	global_load_dword v0, v[204:205], off
	v_max_f32_e32 v11, v6, v6
	s_waitcnt vmcnt(0)
	v_max_f32_e32 v10, v0, v0
	v_max_f32_e32 v10, v11, v10
	v_sub_f32_e32 v6, v6, v10
	v_mul_f32_e32 v11, 0x3fb8aa3b, v6
	v_fma_f32 v39, v6, s93, -v11
	v_rndne_f32_e32 v40, v11
	v_fmac_f32_e32 v39, 0x32a5705f, v6
	v_sub_f32_e32 v11, v11, v40
	v_add_f32_e32 v11, v11, v39
	v_exp_f32_e32 v11, v11
	v_cvt_i32_f32_e32 v39, v40
	v_cmp_ngt_f32_e32 vcc, s84, v6
	v_sub_f32_e32 v0, v0, v10
	v_ldexp_f32 v11, v11, v39
	v_cndmask_b32_e32 v11, 0, v11, vcc
	v_cmp_nlt_f32_e32 vcc, s97, v6
	s_nop 1
	v_cndmask_b32_e32 v11, v193, v11, vcc
	v_cmp_le_f32_e32 vcc, s85, v6
	s_nop 1
	v_cndmask_b32_e32 v6, 0, v11, vcc
	v_cvt_f16_f32_e32 v11, v6
	v_cmp_ngt_f32_e32 vcc, s84, v0
	v_pk_mul_f16 v4, v11, v4 op_sel_hi:[0,1]
	v_pk_mul_f16 v1, v11, v1 op_sel_hi:[0,1]
	;; [unrolled: 1-line block ×32, first 2 shown]
	v_mul_f32_e32 v11, 0x3fb8aa3b, v0
	v_fma_f32 v39, v0, s93, -v11
	v_rndne_f32_e32 v40, v11
	v_fmac_f32_e32 v39, 0x32a5705f, v0
	v_sub_f32_e32 v11, v11, v40
	v_add_f32_e32 v11, v11, v39
	v_exp_f32_e32 v11, v11
	v_cvt_i32_f32_e32 v39, v40
	v_ldexp_f32 v11, v11, v39
	v_cndmask_b32_e32 v11, 0, v11, vcc
	v_cmp_nlt_f32_e32 vcc, s97, v0
	s_nop 1
	v_cndmask_b32_e32 v11, v193, v11, vcc
	v_fmac_f32_e32 v11, v7, v6
	v_mov_b64_e32 v[6:7], v[10:11]
.LBB29_83:                              ;   in Loop: Header=BB29_14 Depth=1
	s_or_b64 exec, exec, s[44:45]
	s_mov_b64 s[44:45], exec
	v_readlane_b32 s46, v255, 1
	v_readlane_b32 s47, v255, 2
	s_and_b64 s[46:47], s[44:45], s[46:47]
	s_mov_b64 exec, s[46:47]
	s_cbranch_execz .LBB29_85
; %bb.84:                               ;   in Loop: Header=BB29_14 Depth=1
	v_accvgpr_read_b32 v0, a84
	v_add_u32_e32 v0, 0, v0
	ds_write2_b32 v0, v6, v7 offset0:128 offset1:129
.LBB29_85:                              ;   in Loop: Header=BB29_14 Depth=1
	s_or_b64 exec, exec, s[44:45]
	s_waitcnt lgkmcnt(0)
	s_barrier
	s_mov_b64 s[44:45], exec
	v_readlane_b32 s46, v254, 63
	v_readlane_b32 s47, v255, 0
	s_and_b64 s[46:47], s[44:45], s[46:47]
	s_xor_b64 s[44:45], s[46:47], s[44:45]
	s_mov_b64 exec, s[46:47]
	s_cbranch_execz .LBB29_87
; %bb.86:                               ;   in Loop: Header=BB29_14 Depth=1
	s_barrier
	s_waitcnt lgkmcnt(0)
                                        ; implicit-def: $vgpr37
.LBB29_87:                              ;   in Loop: Header=BB29_14 Depth=1
	s_andn2_saveexec_b64 s[44:45], s[44:45]
	s_cbranch_execz .LBB29_93
; %bb.88:                               ;   in Loop: Header=BB29_14 Depth=1
	v_accvgpr_read_b32 v0, a85
	v_add_u32_e32 v0, 0, v0
	ds_read_b64 v[40:41], v0 offset:512
	s_waitcnt lgkmcnt(0)
	s_barrier
	ds_bpermute_b32 v6, v37, v40
	v_max_f32_e32 v7, v40, v40
	s_waitcnt lgkmcnt(0)
	v_max_f32_e32 v6, v6, v6
	v_max_f32_e32 v6, v7, v6
	v_sub_f32_e32 v7, v40, v6
	v_mul_f32_e32 v10, 0x3fb8aa3b, v7
	v_fma_f32 v11, v7, s93, -v10
	v_rndne_f32_e32 v39, v10
	v_fmac_f32_e32 v11, 0x32a5705f, v7
	v_sub_f32_e32 v10, v10, v39
	v_add_f32_e32 v10, v10, v11
	v_cvt_i32_f32_e32 v39, v39
	v_exp_f32_e32 v10, v10
	v_cmp_ngt_f32_e32 vcc, s84, v7
	v_ldexp_f32 v10, v10, v39
	s_nop 0
	v_cndmask_b32_e32 v10, 0, v10, vcc
	v_cmp_nlt_f32_e32 vcc, s97, v7
	s_nop 1
	v_cndmask_b32_e32 v10, v193, v10, vcc
	v_mul_f32_e32 v7, v41, v10
	ds_bpermute_b32 v11, v37, v7
	s_waitcnt lgkmcnt(0)
	v_fmac_f32_e32 v11, v41, v10
	s_mov_b64 s[46:47], exec
	v_readlane_b32 s48, v255, 3
	v_readlane_b32 s49, v255, 4
	s_and_b64 s[48:49], s[46:47], s[48:49]
	s_mov_b64 exec, s[48:49]
	s_cbranch_execz .LBB29_90
; %bb.89:                               ;   in Loop: Header=BB29_14 Depth=1
	ds_write_b64 v0, v[10:11] offset:512
.LBB29_90:                              ;   in Loop: Header=BB29_14 Depth=1
	s_or_b64 exec, exec, s[46:47]
	s_mov_b64 s[46:47], exec
	v_readlane_b32 s48, v255, 1
	v_readlane_b32 s49, v255, 2
	s_and_b64 s[48:49], s[46:47], s[48:49]
	s_mov_b64 exec, s[48:49]
	s_cbranch_execz .LBB29_92
; %bb.91:                               ;   in Loop: Header=BB29_14 Depth=1
	v_mov_b32_e32 v7, v11
	v_accvgpr_read_b32 v10, a86
	v_accvgpr_read_b32 v11, a87
	global_store_dwordx2 v[10:11], v[6:7], off
.LBB29_92:                              ;   in Loop: Header=BB29_14 Depth=1
	s_or_b64 exec, exec, s[46:47]
.LBB29_93:                              ;   in Loop: Header=BB29_14 Depth=1
	s_or_b64 exec, exec, s[44:45]
	ds_write2_b32 v151, v4, v1 offset1:1
	ds_write2_b32 v151, v12, v3 offset0:8 offset1:9
	ds_write2_b32 v151, v14, v5 offset0:16 offset1:17
	ds_write2_b32 v151, v16, v13 offset0:24 offset1:25
	ds_write2_b32 v151, v18, v15 offset0:32 offset1:33
	ds_write2_b32 v151, v20, v17 offset0:40 offset1:41
	ds_write2_b32 v151, v22, v19 offset0:48 offset1:49
	ds_write2_b32 v151, v24, v21 offset0:56 offset1:57
	ds_write2_b32 v151, v26, v23 offset0:64 offset1:65
	ds_write2_b32 v151, v28, v25 offset0:72 offset1:73
	ds_write2_b32 v151, v30, v27 offset0:80 offset1:81
	ds_write2_b32 v151, v32, v29 offset0:88 offset1:89
	ds_write2_b32 v151, v34, v31 offset0:96 offset1:97
	ds_write2_b32 v151, v36, v33 offset0:104 offset1:105
	ds_write2_b32 v151, v38, v35 offset0:112 offset1:113
	ds_write2_b32 v151, v8, v9 offset0:120 offset1:121
	s_waitcnt lgkmcnt(0)
	s_barrier
	s_and_saveexec_b64 s[44:45], s[50:51]
	s_cbranch_execz .LBB29_171
; %bb.94:                               ;   in Loop: Header=BB29_14 Depth=1
	v_accvgpr_read_b32 v0, a28
	v_add_u32_e32 v0, v0, v84
	v_cmp_gt_i32_e32 vcc, s96, v0
	v_mov_b32_e32 v1, 0x47
	s_and_saveexec_b64 s[46:47], vcc
	s_cbranch_execz .LBB29_96
; %bb.95:                               ;   in Loop: Header=BB29_14 Depth=1
	v_accvgpr_read_b32 v1, a92
	v_add_u32_e32 v1, 0, v1
	ds_read2st64_b32 v[4:5], v1 offset0:2 offset1:35
	v_accvgpr_read_b32 v1, a91
	ds_read2st64_b32 v[6:7], v1 offset1:1
	ds_read_b32 v3, v1 offset:8448
	v_readlane_b32 s41, v254, 56
	v_accvgpr_read_b32 v8, a192
	v_accvgpr_read_b32 v9, a193
	v_mad_u64_u32 v[0:1], s[48:49], s41, v0, v[146:147]
	v_ashrrev_i32_e32 v1, 31, v0
	v_lshl_add_u64 v[0:1], v[0:1], 3, v[8:9]
	s_waitcnt lgkmcnt(1)
	v_cvt_f32_f16_sdwa v9, v6 dst_sel:DWORD dst_unused:UNUSED_PAD src0_sel:WORD_1
	v_cvt_f32_f16_e32 v8, v6
	s_waitcnt lgkmcnt(0)
	v_cvt_f32_f16_sdwa v11, v3 dst_sel:DWORD dst_unused:UNUSED_PAD src0_sel:WORD_1
	v_cvt_f32_f16_e32 v10, v3
	v_mov_b32_e32 v6, v5
	v_pk_fma_f32 v[8:9], v[4:5], v[8:9], 0 op_sel_hi:[0,1,0]
	v_accvgpr_read_b32 v3, a93
	v_pk_fma_f32 v[8:9], v[6:7], v[10:11], v[8:9] op_sel_hi:[0,1,1]
	ds_read_b32 v3, v3 offset:8448
	global_store_dwordx2 v[0:1], v[8:9], off
	v_cvt_f32_f16_sdwa v9, v7 dst_sel:DWORD dst_unused:UNUSED_PAD src0_sel:WORD_1
	v_cvt_f32_f16_e32 v8, v7
	v_pk_fma_f32 v[4:5], v[4:5], v[8:9], 0 op_sel_hi:[0,1,0]
	s_waitcnt lgkmcnt(0)
	v_cvt_f32_f16_sdwa v9, v3 dst_sel:DWORD dst_unused:UNUSED_PAD src0_sel:WORD_1
	v_cvt_f32_f16_e32 v8, v3
	v_pk_fma_f32 v[4:5], v[6:7], v[8:9], v[4:5] op_sel_hi:[0,1,1]
	global_store_dwordx2 v[0:1], v[4:5], off offset:512
	v_mov_b32_e32 v1, 0
.LBB29_96:                              ;   in Loop: Header=BB29_14 Depth=1
	s_or_b64 exec, exec, s[46:47]
	s_movk_i32 s41, 0x47
	v_cmp_gt_i32_e32 vcc, s41, v1
	s_mov_b64 s[46:47], -1
	s_and_saveexec_b64 s[48:49], vcc
; %bb.97:                               ;   in Loop: Header=BB29_14 Depth=1
	v_cmp_eq_u32_e32 vcc, 0, v1
	s_orn2_b64 s[46:47], vcc, exec
; %bb.98:                               ;   in Loop: Header=BB29_14 Depth=1
	s_or_b64 exec, exec, s[48:49]
	s_and_b64 exec, exec, s[46:47]
	s_cbranch_execz .LBB29_171
; %bb.99:                               ;   in Loop: Header=BB29_14 Depth=1
	v_accvgpr_read_b32 v0, a29
	v_add_u32_e32 v0, v0, v84
	v_cmp_gt_i32_e32 vcc, s96, v0
	v_mov_b32_e32 v1, 0x47
	s_and_saveexec_b64 s[46:47], vcc
	s_cbranch_execz .LBB29_101
; %bb.100:                              ;   in Loop: Header=BB29_14 Depth=1
	v_accvgpr_read_b32 v1, a95
	v_add_u32_e32 v1, 0, v1
	ds_read2st64_b32 v[4:5], v1 offset0:2 offset1:35
	v_accvgpr_read_b32 v1, a94
	ds_read2st64_b32 v[6:7], v1 offset1:1
	ds_read_b32 v3, v1 offset:8448
	v_readlane_b32 s41, v254, 56
	v_accvgpr_read_b32 v8, a192
	v_accvgpr_read_b32 v9, a193
	v_mad_u64_u32 v[0:1], s[48:49], s41, v0, v[146:147]
	v_ashrrev_i32_e32 v1, 31, v0
	v_lshl_add_u64 v[0:1], v[0:1], 3, v[8:9]
	s_waitcnt lgkmcnt(1)
	v_cvt_f32_f16_sdwa v9, v6 dst_sel:DWORD dst_unused:UNUSED_PAD src0_sel:WORD_1
	v_cvt_f32_f16_e32 v8, v6
	s_waitcnt lgkmcnt(0)
	v_cvt_f32_f16_sdwa v11, v3 dst_sel:DWORD dst_unused:UNUSED_PAD src0_sel:WORD_1
	v_cvt_f32_f16_e32 v10, v3
	v_mov_b32_e32 v6, v5
	v_pk_fma_f32 v[8:9], v[4:5], v[8:9], 0 op_sel_hi:[0,1,0]
	v_accvgpr_read_b32 v3, a96
	v_pk_fma_f32 v[8:9], v[6:7], v[10:11], v[8:9] op_sel_hi:[0,1,1]
	ds_read_b32 v3, v3 offset:8448
	global_store_dwordx2 v[0:1], v[8:9], off
	v_cvt_f32_f16_sdwa v9, v7 dst_sel:DWORD dst_unused:UNUSED_PAD src0_sel:WORD_1
	v_cvt_f32_f16_e32 v8, v7
	v_pk_fma_f32 v[4:5], v[4:5], v[8:9], 0 op_sel_hi:[0,1,0]
	s_waitcnt lgkmcnt(0)
	v_cvt_f32_f16_sdwa v9, v3 dst_sel:DWORD dst_unused:UNUSED_PAD src0_sel:WORD_1
	v_cvt_f32_f16_e32 v8, v3
	v_pk_fma_f32 v[4:5], v[6:7], v[8:9], v[4:5] op_sel_hi:[0,1,1]
	global_store_dwordx2 v[0:1], v[4:5], off offset:512
	v_mov_b32_e32 v1, 0
.LBB29_101:                             ;   in Loop: Header=BB29_14 Depth=1
	s_or_b64 exec, exec, s[46:47]
	s_movk_i32 s41, 0x47
	v_cmp_gt_i32_e32 vcc, s41, v1
	s_mov_b64 s[46:47], -1
	s_and_saveexec_b64 s[48:49], vcc
; %bb.102:                              ;   in Loop: Header=BB29_14 Depth=1
	v_cmp_eq_u32_e32 vcc, 0, v1
	s_orn2_b64 s[46:47], vcc, exec
; %bb.103:                              ;   in Loop: Header=BB29_14 Depth=1
	s_or_b64 exec, exec, s[48:49]
	s_and_b64 exec, exec, s[46:47]
	s_cbranch_execz .LBB29_171
; %bb.104:                              ;   in Loop: Header=BB29_14 Depth=1
	v_accvgpr_read_b32 v0, a30
	v_add_u32_e32 v0, v0, v84
	v_cmp_gt_i32_e32 vcc, s96, v0
	v_mov_b32_e32 v1, 0x47
	s_and_saveexec_b64 s[46:47], vcc
	s_cbranch_execz .LBB29_106
; %bb.105:                              ;   in Loop: Header=BB29_14 Depth=1
	v_accvgpr_read_b32 v1, a98
	v_add_u32_e32 v1, 0, v1
	ds_read2st64_b32 v[4:5], v1 offset0:2 offset1:35
	v_accvgpr_read_b32 v1, a97
	ds_read2st64_b32 v[6:7], v1 offset1:1
	ds_read_b32 v3, v1 offset:8448
	v_readlane_b32 s41, v254, 56
	v_accvgpr_read_b32 v8, a192
	v_accvgpr_read_b32 v9, a193
	v_mad_u64_u32 v[0:1], s[48:49], s41, v0, v[146:147]
	v_ashrrev_i32_e32 v1, 31, v0
	v_lshl_add_u64 v[0:1], v[0:1], 3, v[8:9]
	s_waitcnt lgkmcnt(1)
	v_cvt_f32_f16_sdwa v9, v6 dst_sel:DWORD dst_unused:UNUSED_PAD src0_sel:WORD_1
	v_cvt_f32_f16_e32 v8, v6
	s_waitcnt lgkmcnt(0)
	v_cvt_f32_f16_sdwa v11, v3 dst_sel:DWORD dst_unused:UNUSED_PAD src0_sel:WORD_1
	v_cvt_f32_f16_e32 v10, v3
	v_mov_b32_e32 v6, v5
	v_pk_fma_f32 v[8:9], v[4:5], v[8:9], 0 op_sel_hi:[0,1,0]
	v_accvgpr_read_b32 v3, a99
	v_pk_fma_f32 v[8:9], v[6:7], v[10:11], v[8:9] op_sel_hi:[0,1,1]
	ds_read_b32 v3, v3 offset:8448
	global_store_dwordx2 v[0:1], v[8:9], off
	v_cvt_f32_f16_sdwa v9, v7 dst_sel:DWORD dst_unused:UNUSED_PAD src0_sel:WORD_1
	v_cvt_f32_f16_e32 v8, v7
	v_pk_fma_f32 v[4:5], v[4:5], v[8:9], 0 op_sel_hi:[0,1,0]
	s_waitcnt lgkmcnt(0)
	v_cvt_f32_f16_sdwa v9, v3 dst_sel:DWORD dst_unused:UNUSED_PAD src0_sel:WORD_1
	v_cvt_f32_f16_e32 v8, v3
	v_pk_fma_f32 v[4:5], v[6:7], v[8:9], v[4:5] op_sel_hi:[0,1,1]
	global_store_dwordx2 v[0:1], v[4:5], off offset:512
	v_mov_b32_e32 v1, 0
.LBB29_106:                             ;   in Loop: Header=BB29_14 Depth=1
	s_or_b64 exec, exec, s[46:47]
	s_movk_i32 s41, 0x47
	v_cmp_gt_i32_e32 vcc, s41, v1
	s_mov_b64 s[46:47], -1
	s_and_saveexec_b64 s[48:49], vcc
; %bb.107:                              ;   in Loop: Header=BB29_14 Depth=1
	v_cmp_eq_u32_e32 vcc, 0, v1
	s_orn2_b64 s[46:47], vcc, exec
; %bb.108:                              ;   in Loop: Header=BB29_14 Depth=1
	s_or_b64 exec, exec, s[48:49]
	s_and_b64 exec, exec, s[46:47]
	s_cbranch_execz .LBB29_171
; %bb.109:                              ;   in Loop: Header=BB29_14 Depth=1
	;; [unrolled: 54-line block ×14, first 2 shown]
	v_accvgpr_read_b32 v0, a42
	v_add_u32_e32 v0, v0, v84
	v_cmp_gt_i32_e32 vcc, s96, v0
	s_and_b64 exec, exec, vcc
	s_cbranch_execz .LBB29_171
; %bb.170:                              ;   in Loop: Header=BB29_14 Depth=1
	v_accvgpr_read_b32 v1, a136
	v_add_u32_e32 v1, 0, v1
	ds_read2st64_b32 v[4:5], v1 offset0:2 offset1:35
	v_accvgpr_read_b32 v1, a137
	ds_read2st64_b32 v[6:7], v1 offset1:1
	ds_read_b32 v3, v1 offset:8448
	v_readlane_b32 s41, v254, 56
	v_accvgpr_read_b32 v8, a192
	v_accvgpr_read_b32 v9, a193
	v_mad_u64_u32 v[0:1], s[46:47], s41, v0, v[146:147]
	v_ashrrev_i32_e32 v1, 31, v0
	v_lshl_add_u64 v[0:1], v[0:1], 3, v[8:9]
	s_waitcnt lgkmcnt(1)
	v_cvt_f32_f16_sdwa v9, v6 dst_sel:DWORD dst_unused:UNUSED_PAD src0_sel:WORD_1
	v_cvt_f32_f16_e32 v8, v6
	s_waitcnt lgkmcnt(0)
	v_cvt_f32_f16_sdwa v11, v3 dst_sel:DWORD dst_unused:UNUSED_PAD src0_sel:WORD_1
	v_cvt_f32_f16_e32 v10, v3
	v_mov_b32_e32 v6, v5
	v_pk_fma_f32 v[8:9], v[4:5], v[8:9], 0 op_sel_hi:[0,1,0]
	v_accvgpr_read_b32 v3, a138
	v_pk_fma_f32 v[8:9], v[6:7], v[10:11], v[8:9] op_sel_hi:[0,1,1]
	ds_read_b32 v3, v3 offset:8448
	global_store_dwordx2 v[0:1], v[8:9], off
	v_cvt_f32_f16_sdwa v9, v7 dst_sel:DWORD dst_unused:UNUSED_PAD src0_sel:WORD_1
	v_cvt_f32_f16_e32 v8, v7
	v_pk_fma_f32 v[4:5], v[4:5], v[8:9], 0 op_sel_hi:[0,1,0]
	s_waitcnt lgkmcnt(0)
	v_cvt_f32_f16_sdwa v9, v3 dst_sel:DWORD dst_unused:UNUSED_PAD src0_sel:WORD_1
	v_cvt_f32_f16_e32 v8, v3
	v_pk_fma_f32 v[4:5], v[6:7], v[8:9], v[4:5] op_sel_hi:[0,1,1]
	global_store_dwordx2 v[0:1], v[4:5], off offset:512
.LBB29_171:                             ;   in Loop: Header=BB29_14 Depth=1
	s_or_b64 exec, exec, s[44:45]
	s_barrier
	s_branch .LBB29_13
.LBB29_172:                             ;   in Loop: Header=BB29_14 Depth=1
	v_cmp_le_i32_e32 vcc, s96, v44
	s_and_saveexec_b64 s[44:45], vcc
	s_xor_b64 s[44:45], exec, s[44:45]
	s_cbranch_execz .LBB29_174
; %bb.173:                              ;   in Loop: Header=BB29_14 Depth=1
	ds_write2st64_b32 v152, v2, v2 offset1:1
.LBB29_174:                             ;   in Loop: Header=BB29_14 Depth=1
	s_andn2_saveexec_b64 s[44:45], s[44:45]
	s_cbranch_execz .LBB29_176
; %bb.175:                              ;   in Loop: Header=BB29_14 Depth=1
	v_mad_u64_u32 v[0:1], s[46:47], v44, s91, v[146:147]
	v_ashrrev_i32_e32 v1, 31, v0
	v_lshl_add_u64 v[0:1], v[0:1], 3, v[142:143]
	global_load_dwordx2 v[4:5], v[0:1], off
	s_waitcnt vmcnt(0)
	v_cvt_f16_f32_e32 v3, v4
	global_load_dwordx2 v[0:1], v[0:1], off offset:512
	v_cvt_f16_f32_e32 v4, v5
	v_pack_b32_f16 v3, v3, v4
	v_pk_mul_f16 v3, v181, v3
	s_waitcnt vmcnt(0)
	v_cvt_f16_f32_e32 v0, v0
	v_cvt_f16_f32_e32 v1, v1
	v_pack_b32_f16 v0, v0, v1
	v_pk_mul_f16 v0, v181, v0
	ds_write2st64_b32 v152, v3, v0 offset1:1
.LBB29_176:                             ;   in Loop: Header=BB29_14 Depth=1
	s_or_b64 exec, exec, s[44:45]
	v_add_u32_e32 v1, v99, v84
	v_cmp_le_i32_e32 vcc, s96, v1
	s_and_saveexec_b64 s[44:45], vcc
	s_xor_b64 s[44:45], exec, s[44:45]
	s_cbranch_execz .LBB29_178
; %bb.177:                              ;   in Loop: Header=BB29_14 Depth=1
	ds_write2st64_b32 v174, v2, v2 offset1:1
.LBB29_178:                             ;   in Loop: Header=BB29_14 Depth=1
	s_andn2_saveexec_b64 s[44:45], s[44:45]
	s_cbranch_execz .LBB29_180
; %bb.179:                              ;   in Loop: Header=BB29_14 Depth=1
	v_mad_u64_u32 v[4:5], s[46:47], v1, s91, v[146:147]
	v_ashrrev_i32_e32 v5, 31, v4
	v_lshl_add_u64 v[4:5], v[4:5], 3, v[142:143]
	global_load_dwordx2 v[6:7], v[4:5], off
	s_waitcnt vmcnt(0)
	v_cvt_f16_f32_e32 v0, v6
	global_load_dwordx2 v[4:5], v[4:5], off offset:512
	v_cvt_f16_f32_e32 v3, v7
	v_pack_b32_f16 v0, v0, v3
	v_pk_mul_f16 v0, v181, v0
	s_waitcnt vmcnt(0)
	v_cvt_f16_f32_e32 v3, v4
	v_cvt_f16_f32_e32 v4, v5
	v_pack_b32_f16 v3, v3, v4
	v_pk_mul_f16 v3, v181, v3
	ds_write2st64_b32 v174, v0, v3 offset1:1
.LBB29_180:                             ;   in Loop: Header=BB29_14 Depth=1
	s_or_b64 exec, exec, s[44:45]
	v_add_u32_e32 v46, v98, v84
	v_cmp_le_i32_e32 vcc, s96, v46
	s_and_saveexec_b64 s[44:45], vcc
	s_xor_b64 s[44:45], exec, s[44:45]
	s_cbranch_execz .LBB29_182
; %bb.181:                              ;   in Loop: Header=BB29_14 Depth=1
	v_add_u32_e32 v0, 64, v174
	ds_write2st64_b32 v0, v2, v2 offset0:8 offset1:9
.LBB29_182:                             ;   in Loop: Header=BB29_14 Depth=1
	s_andn2_saveexec_b64 s[44:45], s[44:45]
	s_cbranch_execz .LBB29_184
; %bb.183:                              ;   in Loop: Header=BB29_14 Depth=1
	v_mad_u64_u32 v[4:5], s[46:47], v46, s91, v[146:147]
	v_ashrrev_i32_e32 v5, 31, v4
	v_lshl_add_u64 v[4:5], v[4:5], 3, v[142:143]
	global_load_dwordx2 v[6:7], v[4:5], off
	s_waitcnt vmcnt(0)
	v_cvt_f16_f32_e32 v0, v6
	global_load_dwordx2 v[4:5], v[4:5], off offset:512
	v_cvt_f16_f32_e32 v3, v7
	v_pack_b32_f16 v0, v0, v3
	v_pk_mul_f16 v0, v181, v0
	s_waitcnt vmcnt(0)
	v_cvt_f16_f32_e32 v3, v4
	v_cvt_f16_f32_e32 v4, v5
	v_pack_b32_f16 v3, v3, v4
	v_pk_mul_f16 v3, v181, v3
	v_add_u32_e32 v4, 64, v174
	ds_write2st64_b32 v4, v0, v3 offset0:8 offset1:9
.LBB29_184:                             ;   in Loop: Header=BB29_14 Depth=1
	s_or_b64 exec, exec, s[44:45]
	v_add_u32_e32 v192, v187, v84
	v_cmp_le_i32_e32 vcc, s96, v192
	s_and_saveexec_b64 s[44:45], vcc
	s_xor_b64 s[44:45], exec, s[44:45]
	s_cbranch_execz .LBB29_186
; %bb.185:                              ;   in Loop: Header=BB29_14 Depth=1
	v_add_u32_e32 v0, 0x80, v174
	ds_write2st64_b32 v0, v2, v2 offset0:16 offset1:17
.LBB29_186:                             ;   in Loop: Header=BB29_14 Depth=1
	s_andn2_saveexec_b64 s[44:45], s[44:45]
	s_cbranch_execz .LBB29_188
; %bb.187:                              ;   in Loop: Header=BB29_14 Depth=1
	v_mad_u64_u32 v[4:5], s[46:47], v192, s91, v[146:147]
	v_ashrrev_i32_e32 v5, 31, v4
	v_lshl_add_u64 v[4:5], v[4:5], 3, v[142:143]
	global_load_dwordx2 v[6:7], v[4:5], off
	s_waitcnt vmcnt(0)
	v_cvt_f16_f32_e32 v0, v6
	global_load_dwordx2 v[4:5], v[4:5], off offset:512
	v_cvt_f16_f32_e32 v3, v7
	v_pack_b32_f16 v0, v0, v3
	v_pk_mul_f16 v0, v181, v0
	s_waitcnt vmcnt(0)
	v_cvt_f16_f32_e32 v3, v4
	v_cvt_f16_f32_e32 v4, v5
	v_pack_b32_f16 v3, v3, v4
	v_pk_mul_f16 v3, v181, v3
	v_add_u32_e32 v4, 0x80, v174
	ds_write2st64_b32 v4, v0, v3 offset0:16 offset1:17
.LBB29_188:                             ;   in Loop: Header=BB29_14 Depth=1
	;; [unrolled: 31-line block ×3, first 2 shown]
	s_or_b64 exec, exec, s[44:45]
	v_add_u32_e32 v93, v184, v84
	v_cmp_le_i32_e32 vcc, s96, v93
	s_and_saveexec_b64 s[44:45], vcc
	s_xor_b64 s[44:45], exec, s[44:45]
	s_cbranch_execz .LBB29_194
; %bb.193:                              ;   in Loop: Header=BB29_14 Depth=1
	ds_write2st64_b32 v174, v2, v2 offset0:33 offset1:34
.LBB29_194:                             ;   in Loop: Header=BB29_14 Depth=1
	s_andn2_saveexec_b64 s[44:45], s[44:45]
	s_cbranch_execz .LBB29_196
; %bb.195:                              ;   in Loop: Header=BB29_14 Depth=1
	v_mad_u64_u32 v[4:5], s[46:47], v93, s91, v[146:147]
	v_ashrrev_i32_e32 v5, 31, v4
	v_lshl_add_u64 v[4:5], v[4:5], 3, v[142:143]
	global_load_dwordx2 v[6:7], v[4:5], off
	s_waitcnt vmcnt(0)
	v_cvt_f16_f32_e32 v0, v6
	global_load_dwordx2 v[4:5], v[4:5], off offset:512
	v_cvt_f16_f32_e32 v3, v7
	v_pack_b32_f16 v0, v0, v3
	v_pk_mul_f16 v0, v181, v0
	s_waitcnt vmcnt(0)
	v_cvt_f16_f32_e32 v3, v4
	v_cvt_f16_f32_e32 v4, v5
	v_pack_b32_f16 v3, v3, v4
	v_pk_mul_f16 v3, v181, v3
	ds_write2st64_b32 v174, v0, v3 offset0:33 offset1:34
.LBB29_196:                             ;   in Loop: Header=BB29_14 Depth=1
	s_or_b64 exec, exec, s[44:45]
	v_add_u32_e32 v247, v183, v84
	v_cmp_le_i32_e32 vcc, s96, v247
	s_and_saveexec_b64 s[44:45], vcc
	s_xor_b64 s[44:45], exec, s[44:45]
	s_cbranch_execz .LBB29_198
; %bb.197:                              ;   in Loop: Header=BB29_14 Depth=1
	v_add_u32_e32 v0, 64, v174
	ds_write2st64_b32 v0, v2, v2 offset0:41 offset1:42
.LBB29_198:                             ;   in Loop: Header=BB29_14 Depth=1
	s_andn2_saveexec_b64 s[44:45], s[44:45]
	s_cbranch_execz .LBB29_200
; %bb.199:                              ;   in Loop: Header=BB29_14 Depth=1
	v_mad_u64_u32 v[4:5], s[46:47], v247, s91, v[146:147]
	v_ashrrev_i32_e32 v5, 31, v4
	v_lshl_add_u64 v[4:5], v[4:5], 3, v[142:143]
	global_load_dwordx2 v[6:7], v[4:5], off
	s_waitcnt vmcnt(0)
	v_cvt_f16_f32_e32 v0, v6
	global_load_dwordx2 v[4:5], v[4:5], off offset:512
	v_cvt_f16_f32_e32 v3, v7
	v_pack_b32_f16 v0, v0, v3
	v_pk_mul_f16 v0, v181, v0
	s_waitcnt vmcnt(0)
	v_cvt_f16_f32_e32 v3, v4
	v_cvt_f16_f32_e32 v4, v5
	v_pack_b32_f16 v3, v3, v4
	v_pk_mul_f16 v3, v181, v3
	v_add_u32_e32 v4, 64, v174
	ds_write2st64_b32 v4, v0, v3 offset0:41 offset1:42
.LBB29_200:                             ;   in Loop: Header=BB29_14 Depth=1
	s_or_b64 exec, exec, s[44:45]
	v_add_u32_e32 v50, v182, v84
	v_cmp_le_i32_e32 vcc, s96, v50
	s_and_saveexec_b64 s[44:45], vcc
	s_xor_b64 s[44:45], exec, s[44:45]
	s_cbranch_execz .LBB29_202
; %bb.201:                              ;   in Loop: Header=BB29_14 Depth=1
	v_add_u32_e32 v0, 0x80, v174
	ds_write2st64_b32 v0, v2, v2 offset0:49 offset1:50
                                        ; implicit-def: $vgpr142_vgpr143
.LBB29_202:                             ;   in Loop: Header=BB29_14 Depth=1
	s_andn2_saveexec_b64 s[44:45], s[44:45]
	s_cbranch_execz .LBB29_204
; %bb.203:                              ;   in Loop: Header=BB29_14 Depth=1
	v_mad_u64_u32 v[4:5], s[46:47], v50, s91, v[146:147]
	v_ashrrev_i32_e32 v5, 31, v4
	v_lshl_add_u64 v[4:5], v[4:5], 3, v[142:143]
	global_load_dwordx2 v[6:7], v[4:5], off
	s_nop 0
	global_load_dwordx2 v[4:5], v[4:5], off offset:512
	s_waitcnt vmcnt(1)
	v_cvt_f16_f32_e32 v0, v6
	v_cvt_f16_f32_e32 v3, v7
	s_waitcnt vmcnt(0)
	v_cvt_f16_f32_e32 v4, v4
	v_cvt_f16_f32_e32 v5, v5
	v_pack_b32_f16 v0, v0, v3
	v_pk_mul_f16 v0, v181, v0
	v_pack_b32_f16 v3, v4, v5
	v_pk_mul_f16 v3, v181, v3
	v_add_u32_e32 v4, 0x80, v174
	ds_write2st64_b32 v4, v0, v3 offset0:49 offset1:50
.LBB29_204:                             ;   in Loop: Header=BB29_14 Depth=1
	s_or_b64 exec, exec, s[44:45]
	s_waitcnt lgkmcnt(0)
	s_barrier
	ds_read2_b64 v[34:37], v148 offset1:4
	ds_read2_b64 v[30:33], v148 offset0:8 offset1:12
	ds_read2_b64 v[26:29], v148 offset0:16 offset1:20
	;; [unrolled: 1-line block ×7, first 2 shown]
	v_cmp_gt_i32_e32 vcc, 2, v123
	v_accvgpr_write_b32 a18, v187
	v_accvgpr_write_b32 a17, v185
	;; [unrolled: 1-line block ×3, first 2 shown]
	s_and_b64 vcc, exec, vcc
	v_mov_b32_e32 v184, 0
	v_cmp_ne_u64_e64 s[44:45], 0, v[130:131]
	s_waitcnt lgkmcnt(0)
	s_barrier
	s_cbranch_vccnz .LBB29_215
; %bb.205:                              ;   in Loop: Header=BB29_14 Depth=1
	v_mul_hi_u32 v4, s2, v46
	v_add_u32_e32 v4, v46, v4
	v_lshrrev_b32_e32 v4, s3, v4
	v_mul_lo_u32 v4, v4, s96
	v_sub_u32_e32 v38, v46, v4
	v_mul_hi_u32 v4, s2, v192
	v_add_u32_e32 v4, v192, v4
	v_lshrrev_b32_e32 v4, s3, v4
	v_mul_lo_u32 v4, v4, s96
	v_sub_u32_e32 v39, v192, v4
	;; [unrolled: 5-line block ×6, first 2 shown]
	v_and_b32_e32 v4, 64, v162
	v_add_u32_e32 v4, 64, v4
	v_xor_b32_e32 v5, 32, v162
	v_mul_hi_u32 v0, s2, v44
	v_cmp_lt_i32_e32 vcc, v5, v4
	v_add_u32_e32 v0, v44, v0
	v_lshrrev_b32_e32 v0, s3, v0
	v_cndmask_b32_e32 v5, v162, v5, vcc
	v_lshlrev_b32_e32 v69, 2, v5
	v_xor_b32_e32 v5, 16, v162
	v_mul_lo_u32 v0, v0, s96
	v_cmp_lt_i32_e32 vcc, v5, v4
	v_accvgpr_write_b32 a195, v44
	v_sub_u32_e32 v0, v44, v0
	v_cndmask_b32_e32 v4, v162, v5, vcc
	v_accvgpr_read_b32 v44, a160
	v_accvgpr_write_b32 a194, v84
	v_lshlrev_b32_e32 v84, 2, v4
	v_lshl_add_u64 v[4:5], v[134:135], 0, v[136:137]
	v_accvgpr_read_b32 v45, a161
	v_lshl_add_u64 v[134:135], v[44:45], 0, v[4:5]
	v_accvgpr_read_b32 v44, a162
	v_accvgpr_read_b32 v45, a163
	v_lshl_add_u64 v[136:137], v[44:45], 0, v[4:5]
	v_accvgpr_read_b32 v44, a164
	;; [unrolled: 3-line block ×8, first 2 shown]
	v_lshl_add_u64 v[4:5], v[138:139], 0, v[140:141]
	v_accvgpr_read_b32 v45, a177
	v_lshl_add_u64 v[138:139], v[44:45], 0, v[4:5]
	v_accvgpr_read_b32 v44, a178
	v_accvgpr_read_b32 v45, a179
	v_lshl_add_u64 v[140:141], v[44:45], 0, v[4:5]
	v_accvgpr_read_b32 v44, a180
	;; [unrolled: 3-line block ×5, first 2 shown]
	v_mul_hi_u32 v3, s2, v1
	v_accvgpr_read_b32 v45, a187
	v_add_u32_e32 v3, v1, v3
	v_lshl_add_u64 v[162:163], v[44:45], 0, v[4:5]
	v_accvgpr_read_b32 v44, a188
	v_lshrrev_b32_e32 v3, s3, v3
	v_accvgpr_read_b32 v45, a189
	v_mul_lo_u32 v3, v3, s96
	v_lshl_add_u64 v[164:165], v[44:45], 0, v[4:5]
	v_accvgpr_read_b32 v44, a190
	v_readlane_b32 s46, v255, 5
	v_accvgpr_write_b32 a196, v204
	v_add_u32_e32 v68, -1, v123
	v_sub_u32_e32 v3, v1, v3
	v_accvgpr_read_b32 v45, a191
	v_readlane_b32 s47, v255, 6
	s_mov_b32 s48, s46
	v_accvgpr_write_b32 a197, v205
	v_accvgpr_write_b32 a15, v183
	;; [unrolled: 1-line block ×4, first 2 shown]
	v_mov_b32_e32 v70, 0
	v_mov_b32_e32 v142, v128
	;; [unrolled: 1-line block ×3, first 2 shown]
	v_lshl_add_u64 v[166:167], v[44:45], 0, v[4:5]
	v_mad_i64_i32 v[168:169], s[46:47], s48, v39, v[130:131]
	v_mad_i64_i32 v[170:171], s[46:47], s48, v38, v[130:131]
	;; [unrolled: 1-line block ×8, first 2 shown]
	v_mov_b32_e32 v0, 0
	v_mov_b32_e32 v71, 0xfeffffff
	;; [unrolled: 1-line block ×34, first 2 shown]
	v_cndmask_b32_e64 v3, 0, 1, s[44:45]
	v_cmp_ne_u32_e64 s[46:47], 1, v3
	s_andn2_b64 vcc, exec, s[44:45]
	s_cbranch_vccnz .LBB29_211
.LBB29_206:                             ;   in Loop: Header=BB29_14 Depth=1
                                        ; implicit-def: $sgpr41
	s_and_saveexec_b64 s[48:49], s[0:1]
	s_xor_b64 s[48:49], exec, s[48:49]
	s_cbranch_execz .LBB29_208
; %bb.207:                              ;   in Loop: Header=BB29_14 Depth=1
	v_accvgpr_read_b32 v3, a46
	ds_write_b16 v3, v2 offset:33792
	v_accvgpr_read_b32 v3, a140
	ds_write_b16 v3, v2 offset:33792
	;; [unrolled: 2-line block ×4, first 2 shown]
	s_mov_b32 s41, 0
.LBB29_208:                             ;   in Loop: Header=BB29_14 Depth=1
	s_or_saveexec_b64 s[48:49], s[48:49]
	v_mov_b32_e32 v3, s41
	v_mov_b32_e32 v4, s41
	;; [unrolled: 1-line block ×4, first 2 shown]
	s_xor_b64 exec, exec, s[48:49]
	s_cbranch_execz .LBB29_210
; %bb.209:                              ;   in Loop: Header=BB29_14 Depth=1
	v_lshl_add_u64 v[4:5], v[174:175], 0, v[52:53]
	flat_load_ushort v3, v[4:5]
	v_lshl_add_u64 v[4:5], v[172:173], 0, v[52:53]
	flat_load_ushort v38, v[4:5]
	;; [unrolled: 2-line block ×4, first 2 shown]
	v_accvgpr_read_b32 v5, a46
	s_waitcnt vmcnt(0) lgkmcnt(0)
	ds_write_b16 v5, v3 offset:33792
	v_accvgpr_read_b32 v3, a140
	ds_write_b16 v3, v38 offset:33792
	v_accvgpr_read_b32 v3, a141
	ds_write_b16 v3, v39 offset:33792
	v_accvgpr_read_b32 v3, a142
	ds_write_b16 v3, v4 offset:33792
	v_lshl_add_u64 v[4:5], v[182:183], 0, v[52:53]
	flat_load_ushort v3, v[4:5]
	v_lshl_add_u64 v[4:5], v[180:181], 0, v[52:53]
	v_lshl_add_u64 v[38:39], v[178:179], 0, v[52:53]
	flat_load_ushort v4, v[4:5]
	s_nop 0
	flat_load_ushort v5, v[38:39]
	v_lshl_add_u64 v[38:39], v[176:177], 0, v[52:53]
	flat_load_ushort v38, v[38:39]
.LBB29_210:                             ;   in Loop: Header=BB29_14 Depth=1
	s_or_b64 exec, exec, s[48:49]
	v_accvgpr_read_b32 v39, a143
	s_waitcnt vmcnt(0) lgkmcnt(0)
	ds_write_b16 v39, v3 offset:33792
	v_accvgpr_read_b32 v3, a144
	ds_write_b16 v3, v4 offset:33792
	v_accvgpr_read_b32 v3, a145
	;; [unrolled: 2-line block ×3, first 2 shown]
	ds_write_b16 v3, v38 offset:33792
.LBB29_211:                             ;   Parent Loop BB29_14 Depth=1
                                        ; =>  This Inner Loop Header: Depth=2
	v_mov_b32_e32 v3, v2
	v_mov_b32_e32 v4, v2
	;; [unrolled: 1-line block ×3, first 2 shown]
	v_lshl_add_u64 v[38:39], v[138:139], 0, v[88:89]
	v_mov_b32_e32 v44, s39
	v_mov_b32_e32 v45, s38
	scratch_store_dwordx4 off, v[2:5], off
	v_cndmask_b32_e64 v39, v44, v39, s[94:95]
	v_cndmask_b32_e64 v38, v45, v38, s[94:95]
	flat_load_dwordx4 v[38:41], v[38:39]
	v_lshl_add_u64 v[42:43], v[140:141], 0, v[88:89]
	v_cndmask_b32_e64 v43, v44, v43, s[4:5]
	v_cndmask_b32_e64 v42, v45, v42, s[4:5]
	v_add_u32_e32 v94, 0x4000, v246
	v_accvgpr_write_b32 a23, v188
	s_and_b64 vcc, exec, s[46:47]
	s_waitcnt vmcnt(0) lgkmcnt(0)
	ds_write_b128 v196, v[38:41]
	flat_load_dwordx4 v[38:41], v[42:43]
	v_lshl_add_u64 v[42:43], v[156:157], 0, v[88:89]
	v_cndmask_b32_e64 v43, v44, v43, s[6:7]
	v_cndmask_b32_e64 v42, v45, v42, s[6:7]
	s_waitcnt vmcnt(0) lgkmcnt(0)
	ds_write_b128 v102, v[38:41]
	flat_load_dwordx4 v[38:41], v[42:43]
	v_lshl_add_u64 v[42:43], v[158:159], 0, v[88:89]
	v_cndmask_b32_e64 v43, v44, v43, s[8:9]
	v_cndmask_b32_e64 v42, v45, v42, s[8:9]
	;; [unrolled: 6-line block ×6, first 2 shown]
	s_waitcnt vmcnt(0) lgkmcnt(0)
	ds_write_b128 v112, v[38:41]
	flat_load_dwordx4 v[38:41], v[42:43]
	s_waitcnt vmcnt(0) lgkmcnt(0)
	ds_write_b128 v114, v[38:41]
	s_waitcnt lgkmcnt(0)
	s_barrier
	ds_read2_b64 v[38:41], v246 offset1:4
	ds_read2_b64 v[42:45], v94 offset0:64 offset1:68
	s_waitcnt lgkmcnt(1)
	v_mfma_f32_16x16x16_f16 a[0:3], v[38:39], v[34:35], 0
	s_waitcnt lgkmcnt(0)
	v_mfma_f32_16x16x16_f16 a[4:7], v[42:43], v[34:35], 0
	v_mfma_f32_16x16x16_f16 a[0:3], v[40:41], v[36:37], a[0:3]
	ds_read2_b64 v[38:41], v246 offset0:8 offset1:12
	v_mfma_f32_16x16x16_f16 a[4:7], v[44:45], v[36:37], a[4:7]
	ds_read2_b64 v[42:45], v94 offset0:72 offset1:76
	s_waitcnt lgkmcnt(1)
	v_mfma_f32_16x16x16_f16 a[0:3], v[38:39], v[30:31], a[0:3]
	s_waitcnt lgkmcnt(0)
	v_mfma_f32_16x16x16_f16 a[4:7], v[42:43], v[30:31], a[4:7]
	v_mfma_f32_16x16x16_f16 a[0:3], v[40:41], v[32:33], a[0:3]
	ds_read2_b64 v[38:41], v246 offset0:16 offset1:20
	v_mfma_f32_16x16x16_f16 a[4:7], v[44:45], v[32:33], a[4:7]
	;; [unrolled: 8-line block ×7, first 2 shown]
	ds_read2_b64 v[42:45], v94 offset0:120 offset1:124
	s_waitcnt lgkmcnt(0)
	s_barrier
	v_mfma_f32_16x16x16_f16 a[0:3], v[38:39], v[6:7], a[0:3]
	v_mfma_f32_16x16x16_f16 a[4:7], v[42:43], v[6:7], a[4:7]
	;; [unrolled: 1-line block ×4, first 2 shown]
	s_cbranch_vccnz .LBB29_213
; %bb.212:                              ;   in Loop: Header=BB29_211 Depth=2
	v_accvgpr_read_b32 v94, a47
	v_add_u32_e32 v94, 0x8400, v94
	ds_read2_b32 v[94:95], v94 offset1:1
	s_nop 1
	v_accvgpr_read_b32 v45, a3
	v_accvgpr_read_b32 v44, a2
	;; [unrolled: 1-line block ×4, first 2 shown]
	s_waitcnt lgkmcnt(0)
	v_cvt_f32_f16_e32 v96, v94
	v_cvt_f32_f16_sdwa v97, v94 dst_sel:DWORD dst_unused:UNUSED_PAD src0_sel:WORD_1
	v_cvt_f32_f16_e32 v94, v95
	v_cvt_f32_f16_sdwa v95, v95 dst_sel:DWORD dst_unused:UNUSED_PAD src0_sel:WORD_1
	v_mov_b32_e32 v129, v128
	v_pk_fma_f32 v[42:43], v[142:143], v[96:97], v[42:43]
	v_accvgpr_read_b32 v41, a7
	v_pk_fma_f32 v[44:45], v[128:129], v[94:95], v[44:45]
	v_accvgpr_write_b32 a0, v42
	v_accvgpr_write_b32 a2, v44
	v_accvgpr_read_b32 v42, a65
	v_accvgpr_read_b32 v44, a67
	ds_read_b32 v42, v42 offset:33792
	ds_read_b32 v44, v44 offset:33792
	v_accvgpr_write_b32 a1, v43
	v_accvgpr_write_b32 a3, v45
	v_accvgpr_read_b32 v40, a6
	s_waitcnt lgkmcnt(1)
	v_cvt_f32_f16_sdwa v43, v42 dst_sel:DWORD dst_unused:UNUSED_PAD src0_sel:WORD_1
	v_cvt_f32_f16_e32 v42, v42
	s_waitcnt lgkmcnt(0)
	v_cvt_f32_f16_sdwa v45, v44 dst_sel:DWORD dst_unused:UNUSED_PAD src0_sel:WORD_1
	v_cvt_f32_f16_e32 v44, v44
	v_accvgpr_read_b32 v39, a5
	v_accvgpr_read_b32 v38, a4
	v_pk_fma_f32 v[38:39], v[142:143], v[42:43], v[38:39]
	v_pk_fma_f32 v[40:41], v[128:129], v[44:45], v[40:41]
	v_accvgpr_write_b32 a4, v38
	v_accvgpr_write_b32 a5, v39
	;; [unrolled: 1-line block ×4, first 2 shown]
.LBB29_213:                             ;   in Loop: Header=BB29_211 Depth=2
	s_nop 4
	v_accvgpr_read_b32 v41, a3
	v_accvgpr_read_b32 v38, a0
	v_add_f32_e32 v94, 0x40051340, v38
	v_max_f32_e32 v95, v71, v71
	v_max_f32_e32 v94, v95, v94
	v_accvgpr_read_b32 v39, a1
	v_cndmask_b32_e64 v94, v71, v94, s[18:19]
	v_add_f32_e32 v95, 0x40051340, v39
	v_max_f32_e32 v96, v94, v94
	v_max_f32_e32 v95, v96, v95
	v_accvgpr_read_b32 v40, a2
	v_cndmask_b32_e64 v94, v94, v95, s[20:21]
	v_add_f32_e32 v95, 0x40051340, v40
	v_max_f32_e32 v96, v94, v94
	v_max_f32_e32 v95, v96, v95
	v_cndmask_b32_e64 v94, v94, v95, s[22:23]
	v_add_f32_e32 v95, 0x40051340, v41
	v_max_f32_e32 v96, v94, v94
	v_accvgpr_read_b32 v45, a7
	v_max_f32_e32 v95, v96, v95
	v_accvgpr_read_b32 v42, a4
	v_cndmask_b32_e64 v94, v94, v95, s[24:25]
	v_add_f32_e32 v95, 0x40051340, v42
	v_max_f32_e32 v96, v94, v94
	v_max_f32_e32 v95, v96, v95
	v_accvgpr_read_b32 v43, a5
	v_cndmask_b32_e64 v94, v94, v95, s[26:27]
	v_add_f32_e32 v95, 0x40051340, v43
	v_max_f32_e32 v96, v94, v94
	;; [unrolled: 5-line block ×3, first 2 shown]
	v_max_f32_e32 v95, v96, v95
	v_cndmask_b32_e64 v94, v94, v95, s[30:31]
	v_add_f32_e32 v95, 0x40051340, v45
	v_max_f32_e32 v96, v94, v94
	v_max_f32_e32 v95, v96, v95
	v_cndmask_b32_e64 v94, v94, v95, s[34:35]
	ds_bpermute_b32 v95, v69, v94
	v_max_f32_e32 v94, v94, v94
	v_cndmask_b32_e64 v40, v40, v40, s[20:21]
	v_cndmask_b32_e64 v41, v41, v41, s[20:21]
	;; [unrolled: 1-line block ×3, first 2 shown]
	s_waitcnt lgkmcnt(0)
	v_max_f32_e32 v95, v95, v95
	v_max_f32_e32 v94, v94, v95
	ds_bpermute_b32 v95, v84, v94
	v_cndmask_b32_e64 v44, v44, v44, s[26:27]
	v_cndmask_b32_e64 v45, v45, v45, s[26:27]
	scratch_store_dwordx4 off, v[2:5], off
	v_add_u32_e32 v85, -1, v85
	s_waitcnt lgkmcnt(0)
	v_max_f32_e32 v95, v95, v95
	v_max_f32_e32 v123, v94, v95
	v_sub_f32_e32 v38, v38, v123
	v_mul_f32_e32 v94, 0x3fb8aa3b, v38
	v_fma_f32 v95, v38, s93, -v94
	v_rndne_f32_e32 v96, v94
	v_fmac_f32_e32 v95, 0x32a5705f, v38
	v_sub_f32_e32 v94, v94, v96
	v_add_f32_e32 v94, v94, v95
	v_exp_f32_e32 v94, v94
	v_cvt_i32_f32_e32 v95, v96
	v_cmp_ngt_f32_e32 vcc, s84, v38
	v_sub_f32_e32 v39, v39, v123
	v_sub_f32_e32 v40, v40, v123
	v_ldexp_f32 v94, v94, v95
	v_cndmask_b32_e32 v94, 0, v94, vcc
	v_cmp_nlt_f32_e32 vcc, s97, v38
	v_lshl_add_u64 v[138:139], v[138:139], 0, s[82:83]
	v_lshl_add_u64 v[140:141], v[140:141], 0, s[82:83]
	v_cndmask_b32_e32 v38, v193, v94, vcc
	v_mul_f32_e32 v94, 0x3fb8aa3b, v39
	v_fma_f32 v95, v39, s93, -v94
	v_rndne_f32_e32 v96, v94
	v_fmac_f32_e32 v95, 0x32a5705f, v39
	v_sub_f32_e32 v94, v94, v96
	v_add_f32_e32 v94, v94, v95
	v_exp_f32_e32 v94, v94
	v_cvt_i32_f32_e32 v95, v96
	v_cmp_ngt_f32_e32 vcc, s84, v39
	v_cndmask_b32_e64 v38, 0, v38, s[18:19]
	v_lshl_add_u64 v[156:157], v[156:157], 0, s[82:83]
	v_ldexp_f32 v94, v94, v95
	v_cndmask_b32_e32 v94, 0, v94, vcc
	v_cmp_nlt_f32_e32 vcc, s97, v39
	v_mov_b32_e32 v39, s37
	v_lshl_add_u64 v[158:159], v[158:159], 0, s[82:83]
	v_cndmask_b32_e32 v94, v193, v94, vcc
	v_add_f32_e32 v95, v94, v38
	v_cndmask_b32_e64 v94, v39, v94, s[20:21]
	v_cndmask_b32_e64 v39, v38, v95, s[20:21]
	v_mul_f32_e32 v95, 0x3fb8aa3b, v40
	v_fma_f32 v96, v40, s93, -v95
	v_rndne_f32_e32 v97, v95
	v_fmac_f32_e32 v96, 0x32a5705f, v40
	v_sub_f32_e32 v95, v95, v97
	v_add_f32_e32 v95, v95, v96
	v_exp_f32_e32 v95, v95
	v_cvt_i32_f32_e32 v96, v97
	v_cmp_ngt_f32_e32 vcc, s84, v40
	v_cvt_f16_f32_e32 v38, v38
	v_lshl_add_u64 v[160:161], v[160:161], 0, s[82:83]
	v_ldexp_f32 v95, v95, v96
	v_cndmask_b32_e32 v95, 0, v95, vcc
	v_cmp_nlt_f32_e32 vcc, s97, v40
	v_mov_b32_e32 v40, s37
	v_lshl_add_u64 v[162:163], v[162:163], 0, s[82:83]
	v_cndmask_b32_e32 v95, v193, v95, vcc
	v_add_f32_e32 v96, v39, v95
	v_cndmask_b32_e64 v95, v40, v95, s[22:23]
	v_cndmask_b32_e64 v40, v39, v96, s[22:23]
	v_sub_f32_e32 v39, v41, v123
	v_mul_f32_e32 v41, 0x3fb8aa3b, v39
	v_fma_f32 v96, v39, s93, -v41
	v_rndne_f32_e32 v97, v41
	v_fmac_f32_e32 v96, 0x32a5705f, v39
	v_sub_f32_e32 v41, v41, v97
	v_add_f32_e32 v41, v41, v96
	v_exp_f32_e32 v41, v41
	v_cvt_i32_f32_e32 v96, v97
	v_cmp_ngt_f32_e32 vcc, s84, v39
	v_lshl_add_u64 v[164:165], v[164:165], 0, s[82:83]
	v_lshl_add_u64 v[166:167], v[166:167], 0, s[82:83]
	v_ldexp_f32 v41, v41, v96
	v_cndmask_b32_e32 v41, 0, v41, vcc
	v_cmp_nlt_f32_e32 vcc, s97, v39
	v_mov_b32_e32 v39, s37
	v_lshl_add_u64 v[168:169], v[168:169], 0, s[86:87]
	v_cndmask_b32_e32 v41, v193, v41, vcc
	v_add_f32_e32 v96, v40, v41
	v_cndmask_b32_e64 v41, v39, v41, s[24:25]
	v_cndmask_b32_e64 v39, v40, v96, s[24:25]
	v_sub_f32_e32 v40, v42, v123
	v_mul_f32_e32 v42, 0x3fb8aa3b, v40
	v_fma_f32 v96, v40, s93, -v42
	v_rndne_f32_e32 v97, v42
	v_fmac_f32_e32 v96, 0x32a5705f, v40
	v_sub_f32_e32 v42, v42, v97
	v_add_f32_e32 v42, v42, v96
	v_exp_f32_e32 v42, v42
	v_cvt_i32_f32_e32 v96, v97
	v_cmp_ngt_f32_e32 vcc, s84, v40
	v_cvt_f16_f32_e32 v41, v41
	v_lshl_add_u64 v[170:171], v[170:171], 0, s[86:87]
	v_ldexp_f32 v42, v42, v96
	v_cndmask_b32_e32 v42, 0, v42, vcc
	v_cmp_nlt_f32_e32 vcc, s97, v40
	v_mov_b32_e32 v40, s37
	v_lshl_add_u64 v[172:173], v[172:173], 0, s[86:87]
	v_cndmask_b32_e32 v42, v193, v42, vcc
	v_add_f32_e32 v96, v42, v39
	v_cndmask_b32_e64 v42, v40, v42, s[26:27]
	v_cndmask_b32_e64 v40, v39, v96, s[26:27]
	v_sub_f32_e32 v39, v43, v123
	v_mul_f32_e32 v43, 0x3fb8aa3b, v39
	v_fma_f32 v96, v39, s93, -v43
	v_rndne_f32_e32 v97, v43
	v_fmac_f32_e32 v96, 0x32a5705f, v39
	v_sub_f32_e32 v43, v43, v97
	v_add_f32_e32 v43, v43, v96
	v_exp_f32_e32 v43, v43
	v_cvt_i32_f32_e32 v96, v97
	v_cmp_ngt_f32_e32 vcc, s84, v39
	v_lshl_add_u64 v[174:175], v[174:175], 0, s[86:87]
	v_lshl_add_u64 v[176:177], v[176:177], 0, s[86:87]
	v_ldexp_f32 v43, v43, v96
	v_cndmask_b32_e32 v43, 0, v43, vcc
	v_cmp_nlt_f32_e32 vcc, s97, v39
	v_mov_b32_e32 v39, s37
	v_lshl_add_u64 v[178:179], v[178:179], 0, s[86:87]
	v_cndmask_b32_e32 v43, v193, v43, vcc
	v_add_f32_e32 v96, v43, v40
	v_cndmask_b32_e64 v43, v39, v43, s[28:29]
	v_cndmask_b32_e64 v39, v40, v96, s[28:29]
	v_sub_f32_e32 v40, v44, v123
	v_mul_f32_e32 v44, 0x3fb8aa3b, v40
	v_fma_f32 v96, v40, s93, -v44
	v_rndne_f32_e32 v97, v44
	v_fmac_f32_e32 v96, 0x32a5705f, v40
	v_sub_f32_e32 v44, v44, v97
	v_add_f32_e32 v44, v44, v96
	v_exp_f32_e32 v44, v44
	v_cvt_i32_f32_e32 v96, v97
	v_cmp_ngt_f32_e32 vcc, s84, v40
	v_lshl_add_u64 v[180:181], v[180:181], 0, s[86:87]
	v_lshl_add_u64 v[182:183], v[182:183], 0, s[86:87]
	v_ldexp_f32 v44, v44, v96
	v_cndmask_b32_e32 v44, 0, v44, vcc
	v_cmp_nlt_f32_e32 vcc, s97, v40
	v_mov_b32_e32 v40, s37
	s_nop 0
	v_cndmask_b32_e32 v44, v193, v44, vcc
	v_add_f32_e32 v96, v44, v39
	v_cndmask_b32_e64 v44, v40, v44, s[30:31]
	v_cndmask_b32_e64 v40, v39, v96, s[30:31]
	v_sub_f32_e32 v39, v45, v123
	v_mul_f32_e32 v45, 0x3fb8aa3b, v39
	v_fma_f32 v96, v39, s93, -v45
	v_rndne_f32_e32 v97, v45
	v_fmac_f32_e32 v96, 0x32a5705f, v39
	v_sub_f32_e32 v45, v45, v97
	v_add_f32_e32 v45, v45, v96
	v_exp_f32_e32 v45, v45
	v_cvt_i32_f32_e32 v96, v97
	v_cmp_ngt_f32_e32 vcc, s84, v39
	v_mov_b32_e32 v97, s38
	v_ldexp_f32 v45, v45, v96
	v_cndmask_b32_e32 v45, 0, v45, vcc
	v_cmp_nlt_f32_e32 vcc, s97, v39
	v_mov_b32_e32 v39, s37
	s_nop 0
	v_cndmask_b32_e32 v45, v193, v45, vcc
	v_add_f32_e32 v96, v45, v40
	v_cndmask_b32_e64 v129, v40, v96, s[34:35]
	v_sub_f32_e32 v40, v71, v123
	v_cndmask_b32_e64 v39, v39, v45, s[34:35]
	v_mul_f32_e32 v45, 0x3fb8aa3b, v40
	v_fma_f32 v71, v40, s93, -v45
	v_rndne_f32_e32 v96, v45
	v_fmac_f32_e32 v71, 0x32a5705f, v40
	v_sub_f32_e32 v45, v45, v96
	v_add_f32_e32 v45, v45, v71
	v_exp_f32_e32 v45, v45
	v_cvt_i32_f32_e32 v71, v96
	v_cmp_ngt_f32_e32 vcc, s84, v40
	v_cvt_f16_f32_e32 v39, v39
	v_mov_b32_e32 v96, s39
	v_ldexp_f32 v45, v45, v71
	v_cndmask_b32_e32 v45, 0, v45, vcc
	v_cmp_nlt_f32_e32 vcc, s97, v40
	s_nop 1
	v_cndmask_b32_e32 v45, v193, v45, vcc
	v_cmp_le_f32_e32 vcc, s85, v40
	s_nop 1
	v_cndmask_b32_e32 v40, 0, v45, vcc
	v_fmac_f32_e32 v129, v0, v40
	v_cvt_f16_f32_e32 v40, v40
	v_cmp_ne_u32_e32 vcc, 0, v85
	s_and_b64 vcc, exec, vcc
	v_pk_mul_f16 v0, v40, v185 op_sel_hi:[0,1]
	v_pk_mul_f16 v188, v40, v184 op_sel_hi:[0,1]
	;; [unrolled: 1-line block ×32, first 2 shown]
	v_cvt_f16_f32_e32 v40, v94
	v_pack_b32_f16 v40, v38, v40
	v_cvt_f16_f32_e32 v38, v95
	v_pack_b32_f16 v41, v38, v41
	v_cvt_f16_f32_e32 v38, v42
	v_cvt_f16_f32_e32 v42, v43
	v_pack_b32_f16 v38, v38, v42
	v_cvt_f16_f32_e32 v42, v44
	v_pack_b32_f16 v39, v42, v39
	v_lshl_add_u64 v[42:43], v[134:135], 0, v[88:89]
	v_cndmask_b32_e64 v95, v96, v43, s[94:95]
	v_cndmask_b32_e64 v94, v97, v42, s[94:95]
	v_lshl_add_u64 v[42:43], v[136:137], 0, v[88:89]
	v_cndmask_b32_e64 v99, v96, v43, s[4:5]
	v_cndmask_b32_e64 v98, v97, v42, s[4:5]
	;; [unrolled: 3-line block ×8, first 2 shown]
	flat_load_dwordx4 v[94:97], v[94:95]
	v_lshl_add_u64 v[134:135], v[134:135], 0, s[80:81]
	v_lshl_add_u64 v[136:137], v[136:137], 0, s[80:81]
	;; [unrolled: 1-line block ×8, first 2 shown]
	s_waitcnt vmcnt(0) lgkmcnt(0)
	ds_write_b128 v196, v[94:97]
	flat_load_dwordx4 v[94:97], v[98:99]
	s_waitcnt vmcnt(0) lgkmcnt(0)
	ds_write_b128 v102, v[94:97]
	flat_load_dwordx4 v[94:97], v[204:205]
	s_waitcnt vmcnt(0) lgkmcnt(0)
	ds_write_b128 v104, v[94:97]
	flat_load_dwordx4 v[94:97], v[210:211]
	s_waitcnt vmcnt(0) lgkmcnt(0)
	ds_write_b128 v106, v[94:97]
	flat_load_dwordx4 v[94:97], v[216:217]
	s_waitcnt vmcnt(0) lgkmcnt(0)
	ds_write_b128 v108, v[94:97]
	flat_load_dwordx4 v[94:97], v[184:185]
	s_waitcnt vmcnt(0) lgkmcnt(0)
	ds_write_b128 v110, v[94:97]
	flat_load_dwordx4 v[94:97], v[44:45]
	s_waitcnt vmcnt(0) lgkmcnt(0)
	ds_write_b128 v112, v[94:97]
	flat_load_dwordx4 v[42:45], v[42:43]
	s_waitcnt vmcnt(0) lgkmcnt(0)
	ds_write_b128 v114, v[42:45]
	s_waitcnt lgkmcnt(0)
	s_barrier
	ds_read_u16 v3, v198 offset:528
	ds_read_u16 v4, v198 offset:1056
	v_cvt_f32_f16_e32 v42, v0
	v_cvt_f32_f16_sdwa v43, v0 dst_sel:DWORD dst_unused:UNUSED_PAD src0_sel:WORD_1
	ds_read_u16 v0, v199
	ds_read_u16 v94, v199 offset:32
	v_cvt_f32_f16_e32 v44, v188
	v_cvt_f32_f16_sdwa v45, v188 dst_sel:DWORD dst_unused:UNUSED_PAD src0_sel:WORD_1
	v_accvgpr_write_b32 a0, v42
	s_waitcnt lgkmcnt(1)
	v_perm_b32 v5, v0, v4, s43
	ds_read_u16 v0, v197
	ds_read_u16 v95, v197 offset:32
	v_accvgpr_write_b32 a1, v43
	v_accvgpr_write_b32 a2, v44
	;; [unrolled: 1-line block ×3, first 2 shown]
	s_waitcnt lgkmcnt(1)
	v_perm_b32 v4, v3, v0, s43
	ds_read_u16 v96, v197 offset:16896
	ds_read_u16 v97, v115 offset:528
	;; [unrolled: 1-line block ×4, first 2 shown]
	v_mfma_f32_16x16x16_f16 a[0:3], v[4:5], v[40:41], a[0:3]
	v_accvgpr_read_b32 v188, a23
	s_nop 5
	v_accvgpr_read_b32 v0, a0
	v_cvt_f16_f32_e32 v0, v0
	v_accvgpr_read_b32 v3, a1
	v_accvgpr_read_b32 v4, a2
	;; [unrolled: 1-line block ×3, first 2 shown]
	v_cvt_f16_f32_e32 v3, v3
	v_cvt_f16_f32_e32 v4, v4
	;; [unrolled: 1-line block ×3, first 2 shown]
	v_cvt_f32_f16_e32 v42, v0
	v_cvt_f32_f16_e32 v43, v3
	;; [unrolled: 1-line block ×4, first 2 shown]
	s_waitcnt lgkmcnt(0)
	v_perm_b32 v5, v99, v98, s43
	v_perm_b32 v4, v97, v96, s43
	v_accvgpr_write_b32 a0, v42
	v_accvgpr_write_b32 a1, v43
	;; [unrolled: 1-line block ×4, first 2 shown]
	v_cvt_f32_f16_e32 v42, v55
	v_cvt_f32_f16_sdwa v43, v55 dst_sel:DWORD dst_unused:UNUSED_PAD src0_sel:WORD_1
	v_mfma_f32_16x16x16_f16 a[0:3], v[4:5], v[38:39], a[0:3]
	v_cvt_f32_f16_e32 v44, v54
	v_cvt_f32_f16_sdwa v45, v54 dst_sel:DWORD dst_unused:UNUSED_PAD src0_sel:WORD_1
	s_nop 4
	v_accvgpr_read_b32 v0, a0
	v_accvgpr_read_b32 v3, a1
	v_cvt_f16_f32_e32 v0, v0
	v_cvt_f16_f32_e32 v3, v3
	v_accvgpr_read_b32 v4, a2
	v_accvgpr_read_b32 v5, a3
	v_cvt_f16_f32_e32 v4, v4
	v_pack_b32_f16 v185, v0, v3
	ds_read_u16 v0, v116 offset:528
	ds_read_u16 v3, v116 offset:1056
	v_cvt_f16_f32_e32 v5, v5
	v_accvgpr_write_b32 a0, v42
	v_accvgpr_write_b32 a1, v43
	;; [unrolled: 1-line block ×3, first 2 shown]
	v_pack_b32_f16 v184, v4, v5
	s_waitcnt lgkmcnt(0)
	v_perm_b32 v5, v94, v3, s43
	v_perm_b32 v4, v0, v95, s43
	v_accvgpr_write_b32 a3, v45
	ds_read_u16 v54, v200 offset:16896
	ds_read_u16 v55, v188 offset:528
	;; [unrolled: 1-line block ×4, first 2 shown]
	v_mfma_f32_16x16x16_f16 a[0:3], v[4:5], v[40:41], a[0:3]
	s_nop 6
	v_accvgpr_read_b32 v0, a0
	v_cvt_f16_f32_e32 v0, v0
	v_accvgpr_read_b32 v3, a1
	v_accvgpr_read_b32 v4, a2
	v_accvgpr_read_b32 v5, a3
	v_cvt_f16_f32_e32 v3, v3
	v_cvt_f16_f32_e32 v4, v4
	v_cvt_f16_f32_e32 v5, v5
	v_cvt_f32_f16_e32 v42, v0
	v_cvt_f32_f16_e32 v43, v3
	v_cvt_f32_f16_e32 v44, v4
	v_cvt_f32_f16_e32 v45, v5
	s_waitcnt lgkmcnt(0)
	v_perm_b32 v5, v95, v94, s43
	v_perm_b32 v4, v55, v54, s43
	v_accvgpr_write_b32 a0, v42
	v_accvgpr_write_b32 a1, v43
	v_accvgpr_write_b32 a2, v44
	v_accvgpr_write_b32 a3, v45
	v_cvt_f32_f16_e32 v42, v57
	v_cvt_f32_f16_sdwa v43, v57 dst_sel:DWORD dst_unused:UNUSED_PAD src0_sel:WORD_1
	v_mfma_f32_16x16x16_f16 a[0:3], v[4:5], v[38:39], a[0:3]
	v_cvt_f32_f16_e32 v44, v56
	v_cvt_f32_f16_sdwa v45, v56 dst_sel:DWORD dst_unused:UNUSED_PAD src0_sel:WORD_1
	s_nop 4
	v_accvgpr_read_b32 v0, a0
	v_accvgpr_read_b32 v3, a1
	v_accvgpr_read_b32 v4, a2
	v_accvgpr_read_b32 v5, a3
	v_cvt_f16_f32_e32 v0, v0
	v_cvt_f16_f32_e32 v3, v3
	v_cvt_f16_f32_e32 v4, v4
	v_cvt_f16_f32_e32 v5, v5
	v_accvgpr_write_b32 a0, v42
	v_pack_b32_f16 v55, v0, v3
	v_accvgpr_write_b32 a1, v43
	v_pack_b32_f16 v54, v4, v5
	ds_read_u16 v0, v197 offset:64
	ds_read_u16 v3, v118 offset:528
	ds_read_u16 v4, v118 offset:1056
	ds_read_u16 v5, v199 offset:64
	v_accvgpr_write_b32 a2, v44
	v_accvgpr_write_b32 a3, v45
	ds_read_u16 v56, v203 offset:16896
	ds_read_u16 v57, v100 offset:528
	ds_read_u16 v94, v119 offset:1056
	ds_read_u16 v95, v251 offset:16896
	s_waitcnt lgkmcnt(4)
	v_perm_b32 v5, v5, v4, s43
	v_perm_b32 v4, v3, v0, s43
	s_nop 1
	v_mfma_f32_16x16x16_f16 a[0:3], v[4:5], v[40:41], a[0:3]
	s_nop 6
	v_accvgpr_read_b32 v0, a0
	v_cvt_f16_f32_e32 v0, v0
	v_accvgpr_read_b32 v3, a1
	v_accvgpr_read_b32 v4, a2
	v_accvgpr_read_b32 v5, a3
	v_cvt_f16_f32_e32 v3, v3
	v_cvt_f16_f32_e32 v4, v4
	v_cvt_f16_f32_e32 v5, v5
	v_cvt_f32_f16_e32 v42, v0
	v_cvt_f32_f16_e32 v43, v3
	v_cvt_f32_f16_e32 v44, v4
	v_cvt_f32_f16_e32 v45, v5
	s_waitcnt lgkmcnt(0)
	v_perm_b32 v5, v95, v94, s43
	v_perm_b32 v4, v57, v56, s43
	v_accvgpr_write_b32 a0, v42
	v_accvgpr_write_b32 a1, v43
	v_accvgpr_write_b32 a2, v44
	v_accvgpr_write_b32 a3, v45
	v_cvt_f32_f16_e32 v42, v59
	v_cvt_f32_f16_sdwa v43, v59 dst_sel:DWORD dst_unused:UNUSED_PAD src0_sel:WORD_1
	v_mfma_f32_16x16x16_f16 a[0:3], v[4:5], v[38:39], a[0:3]
	v_cvt_f32_f16_e32 v44, v58
	v_cvt_f32_f16_sdwa v45, v58 dst_sel:DWORD dst_unused:UNUSED_PAD src0_sel:WORD_1
	s_nop 4
	v_accvgpr_read_b32 v0, a0
	v_accvgpr_read_b32 v3, a1
	v_accvgpr_read_b32 v4, a2
	v_accvgpr_read_b32 v5, a3
	v_cvt_f16_f32_e32 v0, v0
	v_cvt_f16_f32_e32 v3, v3
	v_cvt_f16_f32_e32 v4, v4
	v_cvt_f16_f32_e32 v5, v5
	v_accvgpr_write_b32 a0, v42
	v_pack_b32_f16 v57, v0, v3
	v_accvgpr_write_b32 a1, v43
	v_pack_b32_f16 v56, v4, v5
	ds_read_u16 v0, v197 offset:96
	ds_read_u16 v3, v120 offset:528
	ds_read_u16 v4, v120 offset:1056
	ds_read_u16 v5, v199 offset:96
	v_accvgpr_write_b32 a2, v44
	v_accvgpr_write_b32 a3, v45
	ds_read_u16 v58, v206 offset:16896
	ds_read_u16 v59, v207 offset:528
	ds_read_u16 v94, v121 offset:1056
	ds_read_u16 v95, v208 offset:16896
	s_waitcnt lgkmcnt(4)
	v_perm_b32 v5, v5, v4, s43
	v_perm_b32 v4, v3, v0, s43
	s_nop 1
	;; [unrolled: 53-line block ×13, first 2 shown]
	v_mfma_f32_16x16x16_f16 a[0:3], v[4:5], v[40:41], a[0:3]
	s_nop 6
	v_accvgpr_read_b32 v0, a0
	v_cvt_f16_f32_e32 v0, v0
	v_accvgpr_read_b32 v3, a1
	v_accvgpr_read_b32 v4, a2
	v_accvgpr_read_b32 v5, a3
	v_cvt_f16_f32_e32 v3, v3
	v_cvt_f16_f32_e32 v4, v4
	;; [unrolled: 1-line block ×3, first 2 shown]
	v_cvt_f32_f16_e32 v42, v0
	v_cvt_f32_f16_e32 v43, v3
	;; [unrolled: 1-line block ×4, first 2 shown]
	s_waitcnt lgkmcnt(0)
	v_perm_b32 v5, v95, v94, s43
	v_perm_b32 v4, v75, v74, s43
	v_accvgpr_write_b32 a0, v42
	v_accvgpr_write_b32 a1, v43
	;; [unrolled: 1-line block ×4, first 2 shown]
	v_cvt_f32_f16_e32 v42, v71
	v_cvt_f32_f16_sdwa v43, v71 dst_sel:DWORD dst_unused:UNUSED_PAD src0_sel:WORD_1
	v_mfma_f32_16x16x16_f16 a[0:3], v[4:5], v[38:39], a[0:3]
	v_cvt_f32_f16_e32 v44, v70
	v_cvt_f32_f16_sdwa v45, v70 dst_sel:DWORD dst_unused:UNUSED_PAD src0_sel:WORD_1
	s_nop 4
	v_accvgpr_read_b32 v0, a0
	v_accvgpr_read_b32 v3, a1
	;; [unrolled: 1-line block ×4, first 2 shown]
	v_cvt_f16_f32_e32 v0, v0
	v_cvt_f16_f32_e32 v3, v3
	;; [unrolled: 1-line block ×4, first 2 shown]
	v_accvgpr_write_b32 a0, v42
	v_pack_b32_f16 v75, v0, v3
	v_accvgpr_write_b32 a1, v43
	v_pack_b32_f16 v74, v4, v5
	ds_read_u16 v0, v197 offset:480
	ds_read_u16 v3, v190 offset:528
	;; [unrolled: 1-line block ×4, first 2 shown]
	v_accvgpr_write_b32 a2, v44
	v_accvgpr_write_b32 a3, v45
	ds_read_u16 v44, v242 offset:16896
	ds_read_u16 v45, v244 offset:528
	;; [unrolled: 1-line block ×4, first 2 shown]
	s_waitcnt lgkmcnt(0)
	v_perm_b32 v5, v5, v4, s43
	v_perm_b32 v4, v3, v0, s43
	s_barrier
	s_nop 0
	v_mfma_f32_16x16x16_f16 a[0:3], v[4:5], v[40:41], a[0:3]
	s_nop 6
	v_accvgpr_read_b32 v0, a0
	v_cvt_f16_f32_e32 v0, v0
	v_accvgpr_read_b32 v3, a1
	v_accvgpr_read_b32 v4, a2
	;; [unrolled: 1-line block ×3, first 2 shown]
	v_cvt_f16_f32_e32 v3, v3
	v_cvt_f16_f32_e32 v4, v4
	v_cvt_f16_f32_e32 v5, v5
	v_cvt_f32_f16_e32 v40, v0
	v_cvt_f32_f16_e32 v41, v3
	;; [unrolled: 1-line block ×4, first 2 shown]
	v_perm_b32 v5, v71, v70, s43
	v_perm_b32 v4, v45, v44, s43
	v_accvgpr_write_b32 a0, v40
	v_accvgpr_write_b32 a1, v41
	;; [unrolled: 1-line block ×4, first 2 shown]
	s_nop 1
	v_mfma_f32_16x16x16_f16 a[0:3], v[4:5], v[38:39], a[0:3]
	s_nop 6
	v_accvgpr_read_b32 v0, a0
	v_accvgpr_read_b32 v3, a1
	;; [unrolled: 1-line block ×4, first 2 shown]
	v_cvt_f16_f32_e32 v0, v0
	v_cvt_f16_f32_e32 v3, v3
	;; [unrolled: 1-line block ×4, first 2 shown]
	v_pack_b32_f16 v70, v0, v3
	v_pack_b32_f16 v187, v4, v5
	s_cbranch_vccz .LBB29_216
; %bb.214:                              ;   in Loop: Header=BB29_211 Depth=2
	v_mov_b32_e32 v0, v129
	v_mov_b32_e32 v71, v123
	v_cndmask_b32_e64 v3, 0, 1, s[44:45]
	v_cmp_ne_u32_e64 s[46:47], 1, v3
	s_andn2_b64 vcc, exec, s[44:45]
	s_cbranch_vccz .LBB29_206
	s_branch .LBB29_211
.LBB29_215:                             ;   in Loop: Header=BB29_14 Depth=1
	v_mov_b32_e32 v129, 0
	v_mov_b32_e32 v123, 0xfeffffff
	;; [unrolled: 1-line block ×34, first 2 shown]
	s_branch .LBB29_217
.LBB29_216:                             ;   in Loop: Header=BB29_14 Depth=1
	v_accvgpr_read_b32 v205, a197
	v_accvgpr_read_b32 v180, a8
	;; [unrolled: 1-line block ×33, first 2 shown]
.LBB29_217:                             ;   in Loop: Header=BB29_14 Depth=1
	v_lshlrev_b32_e32 v42, 6, v68
	v_readlane_b32 s44, v254, 4
	v_cmp_eq_u64_e32 vcc, 0, v[130:131]
	v_cmp_ne_u64_e64 s[60:61], 0, v[130:131]
	v_sub_u32_e32 v0, s44, v42
	v_readlane_b32 s45, v254, 5
	s_cbranch_vccnz .LBB29_227
; %bb.218:                              ;   in Loop: Header=BB29_14 Depth=1
	v_mov_b32_e32 v43, v2
	v_cmp_ge_i32_e32 vcc, v146, v0
                                        ; implicit-def: $sgpr41
	s_and_saveexec_b64 s[44:45], vcc
	s_xor_b64 s[44:45], exec, s[44:45]
	s_cbranch_execz .LBB29_220
; %bb.219:                              ;   in Loop: Header=BB29_14 Depth=1
	v_accvgpr_read_b32 v1, a46
	ds_write_b16 v1, v2 offset:33792
	v_accvgpr_read_b32 v1, a140
	ds_write_b16 v1, v2 offset:33792
	s_mov_b32 s41, 0
                                        ; implicit-def: $vgpr44
                                        ; implicit-def: $vgpr1
                                        ; implicit-def: $vgpr46
                                        ; implicit-def: $vgpr192
.LBB29_220:                             ;   in Loop: Header=BB29_14 Depth=1
	s_or_saveexec_b64 s[44:45], s[44:45]
	v_lshlrev_b64 v[4:5], 1, v[42:43]
	v_lshl_add_u64 v[4:5], v[130:131], 0, v[4:5]
	v_lshlrev_b32_e32 v38, 1, v146
	v_mov_b32_e32 v39, v2
	v_lshl_add_u64 v[4:5], v[4:5], 0, v[38:39]
	v_mov_b32_e32 v3, s41
	v_mov_b32_e32 v38, s41
	s_xor_b64 exec, exec, s[44:45]
	s_cbranch_execz .LBB29_222
; %bb.221:                              ;   in Loop: Header=BB29_14 Depth=1
	v_mul_hi_u32 v3, s2, v44
	v_add_u32_e32 v3, v44, v3
	v_lshrrev_b32_e32 v3, s3, v3
	v_mul_lo_u32 v3, v3, s96
	v_sub_u32_e32 v3, v44, v3
	v_mad_i64_i32 v[38:39], s[46:47], v3, s40, 0
	v_lshl_add_u64 v[38:39], v[38:39], 1, v[4:5]
	flat_load_ushort v3, v[38:39]
	v_mul_hi_u32 v38, s2, v1
	v_add_u32_e32 v38, v1, v38
	v_lshrrev_b32_e32 v38, s3, v38
	v_mul_lo_u32 v38, v38, s96
	v_sub_u32_e32 v1, v1, v38
	v_mad_i64_i32 v[38:39], s[46:47], v1, s40, 0
	v_lshl_add_u64 v[38:39], v[38:39], 1, v[4:5]
	flat_load_ushort v1, v[38:39]
	v_accvgpr_read_b32 v38, a46
	s_waitcnt vmcnt(0) lgkmcnt(0)
	ds_write_b16 v38, v3 offset:33792
	v_accvgpr_read_b32 v3, a140
	ds_write_b16 v3, v1 offset:33792
	v_mul_hi_u32 v1, s2, v46
	v_add_u32_e32 v1, v46, v1
	v_lshrrev_b32_e32 v1, s3, v1
	v_mul_lo_u32 v1, v1, s96
	v_sub_u32_e32 v1, v46, v1
	v_mad_i64_i32 v[38:39], s[46:47], v1, s40, 0
	v_mul_hi_u32 v1, s2, v192
	v_add_u32_e32 v1, v192, v1
	v_lshrrev_b32_e32 v1, s3, v1
	v_mul_lo_u32 v1, v1, s96
	v_lshl_add_u64 v[38:39], v[38:39], 1, v[4:5]
	v_sub_u32_e32 v1, v192, v1
	flat_load_ushort v3, v[38:39]
	v_mad_i64_i32 v[38:39], s[46:47], v1, s40, 0
	v_lshl_add_u64 v[38:39], v[38:39], 1, v[4:5]
	flat_load_ushort v38, v[38:39]
.LBB29_222:                             ;   in Loop: Header=BB29_14 Depth=1
	s_or_b64 exec, exec, s[44:45]
	v_accvgpr_read_b32 v1, a141
	s_waitcnt vmcnt(0) lgkmcnt(0)
	ds_write_b16 v1, v3 offset:33792
	v_accvgpr_read_b32 v1, a142
	ds_write_b16 v1, v38 offset:33792
                                        ; implicit-def: $sgpr41
	s_and_saveexec_b64 s[44:45], vcc
	s_xor_b64 s[44:45], exec, s[44:45]
	s_cbranch_execz .LBB29_224
; %bb.223:                              ;   in Loop: Header=BB29_14 Depth=1
	v_accvgpr_read_b32 v1, a143
	ds_write_b16 v1, v2 offset:33792
	v_accvgpr_read_b32 v1, a144
	ds_write_b16 v1, v2 offset:33792
	s_mov_b32 s41, 0
                                        ; implicit-def: $vgpr48
                                        ; implicit-def: $vgpr4_vgpr5
                                        ; implicit-def: $vgpr93
                                        ; implicit-def: $vgpr247
                                        ; implicit-def: $vgpr50
.LBB29_224:                             ;   in Loop: Header=BB29_14 Depth=1
	s_or_saveexec_b64 s[44:45], s[44:45]
	v_mov_b32_e32 v1, s41
	v_mov_b32_e32 v3, s41
	s_xor_b64 exec, exec, s[44:45]
	s_cbranch_execz .LBB29_226
; %bb.225:                              ;   in Loop: Header=BB29_14 Depth=1
	v_mul_hi_u32 v1, s2, v48
	v_add_u32_e32 v1, v48, v1
	v_lshrrev_b32_e32 v1, s3, v1
	v_mul_hi_u32 v3, s2, v93
	v_mul_lo_u32 v1, v1, s96
	v_add_u32_e32 v3, v93, v3
	v_sub_u32_e32 v1, v48, v1
	v_lshrrev_b32_e32 v3, s3, v3
	v_mad_i64_i32 v[38:39], s[46:47], v1, s40, 0
	v_mul_lo_u32 v3, v3, s96
	v_lshl_add_u64 v[38:39], v[38:39], 1, v[4:5]
	v_sub_u32_e32 v3, v93, v3
	flat_load_ushort v1, v[38:39]
	v_mad_i64_i32 v[38:39], s[46:47], v3, s40, 0
	v_lshl_add_u64 v[38:39], v[38:39], 1, v[4:5]
	flat_load_ushort v3, v[38:39]
	v_accvgpr_read_b32 v38, a143
	s_waitcnt vmcnt(0) lgkmcnt(0)
	ds_write_b16 v38, v1 offset:33792
	v_accvgpr_read_b32 v1, a144
	ds_write_b16 v1, v3 offset:33792
	v_mul_hi_u32 v1, s2, v247
	v_add_u32_e32 v1, v247, v1
	v_lshrrev_b32_e32 v1, s3, v1
	v_mul_hi_u32 v3, s2, v50
	v_mul_lo_u32 v1, v1, s96
	v_add_u32_e32 v3, v50, v3
	v_sub_u32_e32 v1, v247, v1
	v_lshrrev_b32_e32 v3, s3, v3
	v_mad_i64_i32 v[38:39], s[46:47], v1, s40, 0
	v_mul_lo_u32 v3, v3, s96
	v_lshl_add_u64 v[38:39], v[38:39], 1, v[4:5]
	v_sub_u32_e32 v3, v50, v3
	flat_load_ushort v1, v[38:39]
	v_mad_i64_i32 v[38:39], s[46:47], v3, s40, 0
	v_lshl_add_u64 v[4:5], v[38:39], 1, v[4:5]
	flat_load_ushort v3, v[4:5]
.LBB29_226:                             ;   in Loop: Header=BB29_14 Depth=1
	s_or_b64 exec, exec, s[44:45]
	v_accvgpr_read_b32 v4, a145
	s_waitcnt vmcnt(0) lgkmcnt(0)
	ds_write_b16 v4, v1 offset:33792
	v_accvgpr_read_b32 v1, a146
	ds_write_b16 v1, v3 offset:33792
.LBB29_227:                             ;   in Loop: Header=BB29_14 Depth=1
	v_mul_lo_u32 v1, v42, s79
	v_mul_hi_u32 v3, v42, s78
	v_add_u32_e32 v5, v3, v1
	v_mul_lo_u32 v4, v42, s78
	v_lshlrev_b64 v[4:5], 2, v[4:5]
	v_accvgpr_read_b32 v38, a48
	v_lshl_add_u64 v[68:69], v[132:133], 0, v[4:5]
	v_accvgpr_read_b32 v39, a49
	v_accvgpr_read_b32 v40, a26
	v_lshl_add_u64 v[38:39], v[38:39], 2, v[68:69]
	v_lshlrev_b32_e32 v44, 2, v40
	v_mov_b32_e32 v45, v2
	v_mov_b32_e32 v3, v2
	;; [unrolled: 1-line block ×4, first 2 shown]
	v_cmp_lt_i32_e64 s[44:45], v145, v0
	v_lshl_add_u64 v[38:39], v[38:39], 0, v[44:45]
	v_mov_b32_e32 v1, s39
	v_mov_b32_e32 v43, s38
	scratch_store_dwordx4 off, v[2:5], off
	v_cndmask_b32_e64 v39, v1, v39, s[44:45]
	v_cndmask_b32_e64 v38, v43, v38, s[44:45]
	flat_load_dwordx4 v[38:41], v[38:39]
	v_cmp_lt_i32_e64 s[46:47], v153, v0
	v_cmp_lt_i32_e64 s[48:49], v154, v0
	;; [unrolled: 1-line block ×7, first 2 shown]
	s_andn2_b64 vcc, exec, s[60:61]
	s_waitcnt vmcnt(0) lgkmcnt(0)
	ds_write_b128 v196, v[38:41]
	v_accvgpr_read_b32 v38, a50
	v_accvgpr_read_b32 v39, a51
	v_lshl_add_u64 v[38:39], v[38:39], 2, v[68:69]
	v_lshl_add_u64 v[38:39], v[38:39], 0, v[44:45]
	v_cndmask_b32_e64 v39, v1, v39, s[46:47]
	v_cndmask_b32_e64 v38, v43, v38, s[46:47]
	flat_load_dwordx4 v[38:41], v[38:39]
	s_waitcnt vmcnt(0) lgkmcnt(0)
	ds_write_b128 v102, v[38:41]
	v_accvgpr_read_b32 v38, a52
	v_accvgpr_read_b32 v39, a53
	v_lshl_add_u64 v[38:39], v[38:39], 2, v[68:69]
	v_lshl_add_u64 v[38:39], v[38:39], 0, v[44:45]
	v_cndmask_b32_e64 v39, v1, v39, s[48:49]
	v_cndmask_b32_e64 v38, v43, v38, s[48:49]
	flat_load_dwordx4 v[38:41], v[38:39]
	;; [unrolled: 9-line block ×7, first 2 shown]
	v_add_u32_e32 v1, 0x4000, v246
	s_waitcnt vmcnt(0) lgkmcnt(0)
	ds_write_b128 v114, v[38:41]
	s_waitcnt lgkmcnt(0)
	s_barrier
	ds_read2_b64 v[38:41], v246 offset1:4
	ds_read2_b64 v[94:97], v1 offset0:64 offset1:68
	s_waitcnt lgkmcnt(1)
	v_mfma_f32_16x16x16_f16 a[0:3], v[38:39], v[34:35], 0
	s_waitcnt lgkmcnt(0)
	v_mfma_f32_16x16x16_f16 a[4:7], v[94:95], v[34:35], 0
	v_mfma_f32_16x16x16_f16 a[0:3], v[40:41], v[36:37], a[0:3]
	ds_read2_b64 v[38:41], v246 offset0:8 offset1:12
	v_mfma_f32_16x16x16_f16 a[4:7], v[96:97], v[36:37], a[4:7]
	ds_read2_b64 v[34:37], v1 offset0:72 offset1:76
	s_waitcnt lgkmcnt(1)
	v_mfma_f32_16x16x16_f16 a[0:3], v[38:39], v[30:31], a[0:3]
	s_waitcnt lgkmcnt(0)
	v_mfma_f32_16x16x16_f16 a[4:7], v[34:35], v[30:31], a[4:7]
	v_mfma_f32_16x16x16_f16 a[0:3], v[40:41], v[32:33], a[0:3]
	ds_read2_b64 v[38:41], v246 offset0:16 offset1:20
	v_mfma_f32_16x16x16_f16 a[4:7], v[36:37], v[32:33], a[4:7]
	;; [unrolled: 8-line block ×7, first 2 shown]
	ds_read2_b64 v[10:13], v1 offset0:120 offset1:124
	s_waitcnt lgkmcnt(0)
	s_barrier
	v_mfma_f32_16x16x16_f16 a[0:3], v[38:39], v[6:7], a[0:3]
	v_mfma_f32_16x16x16_f16 a[4:7], v[10:11], v[6:7], a[4:7]
	;; [unrolled: 1-line block ×4, first 2 shown]
	s_cbranch_vccnz .LBB29_229
; %bb.228:                              ;   in Loop: Header=BB29_14 Depth=1
	v_accvgpr_read_b32 v1, a47
	v_add_u32_e32 v1, 0x8400, v1
	ds_read2_b32 v[10:11], v1 offset1:1
	v_accvgpr_read_b32 v1, a65
	ds_read_b32 v1, v1 offset:33792
	v_accvgpr_read_b32 v41, a3
	v_accvgpr_read_b32 v40, a2
	s_waitcnt lgkmcnt(1)
	v_cvt_f32_f16_e32 v12, v10
	v_cvt_f32_f16_sdwa v13, v10 dst_sel:DWORD dst_unused:UNUSED_PAD src0_sel:WORD_1
	v_cvt_f32_f16_e32 v10, v11
	v_cvt_f32_f16_sdwa v11, v11 dst_sel:DWORD dst_unused:UNUSED_PAD src0_sel:WORD_1
	v_accvgpr_read_b32 v39, a1
	v_accvgpr_read_b32 v38, a0
	v_pk_fma_f32 v[12:13], v[128:129], v[12:13], v[38:39] op_sel_hi:[0,1,1]
	v_pk_fma_f32 v[10:11], v[128:129], v[10:11], v[40:41] op_sel_hi:[0,1,1]
	v_accvgpr_write_b32 a2, v10
	v_accvgpr_write_b32 a3, v11
	s_waitcnt lgkmcnt(0)
	v_cvt_f32_f16_sdwa v11, v1 dst_sel:DWORD dst_unused:UNUSED_PAD src0_sel:WORD_1
	v_cvt_f32_f16_e32 v10, v1
	v_accvgpr_read_b32 v1, a67
	ds_read_b32 v1, v1 offset:33792
	v_accvgpr_write_b32 a0, v12
	v_accvgpr_write_b32 a1, v13
	v_accvgpr_read_b32 v9, a7
	v_accvgpr_read_b32 v8, a6
	s_waitcnt lgkmcnt(0)
	v_cvt_f32_f16_sdwa v13, v1 dst_sel:DWORD dst_unused:UNUSED_PAD src0_sel:WORD_1
	v_cvt_f32_f16_e32 v12, v1
	v_accvgpr_read_b32 v7, a5
	v_accvgpr_read_b32 v6, a4
	v_pk_fma_f32 v[6:7], v[128:129], v[10:11], v[6:7] op_sel_hi:[0,1,1]
	v_pk_fma_f32 v[8:9], v[128:129], v[12:13], v[8:9] op_sel_hi:[0,1,1]
	v_accvgpr_write_b32 a4, v6
	v_accvgpr_write_b32 a5, v7
	;; [unrolled: 1-line block ×4, first 2 shown]
.LBB29_229:                             ;   in Loop: Header=BB29_14 Depth=1
	s_nop 4
	v_accvgpr_read_b32 v11, a3
	v_accvgpr_read_b32 v8, a0
	v_add_f32_e32 v1, 0x40051340, v8
	v_max_f32_e32 v6, v123, v123
	v_cmp_lt_u32_e64 s[70:71], v147, v0
	v_max_f32_e32 v1, v6, v1
	v_accvgpr_read_b32 v9, a1
	v_cndmask_b32_e64 v1, v123, v1, s[70:71]
	v_add_f32_e32 v6, 0x40051340, v9
	v_max_f32_e32 v7, v1, v1
	v_cmp_lt_u32_e64 s[72:73], v160, v0
	v_max_f32_e32 v6, v7, v6
	v_accvgpr_read_b32 v10, a2
	v_cndmask_b32_e64 v1, v1, v6, s[72:73]
	;; [unrolled: 6-line block ×6, first 2 shown]
	v_add_f32_e32 v6, 0x40051340, v14
	v_max_f32_e32 v7, v1, v1
	v_cmp_lt_u32_e64 s[60:61], v150, v0
	v_max_f32_e32 v6, v7, v6
	v_cmp_lt_u32_e32 vcc, v165, v0
	v_cndmask_b32_e64 v1, v1, v6, s[60:61]
	v_add_f32_e32 v0, 0x40051340, v15
	v_max_f32_e32 v6, v1, v1
	v_max_f32_e32 v0, v6, v0
	v_cndmask_b32_e32 v0, v1, v0, vcc
	v_and_b32_e32 v1, 64, v162
	v_add_u32_e32 v1, 64, v1
	v_xor_b32_e32 v6, 32, v162
	v_cmp_lt_i32_e64 s[76:77], v6, v1
	v_cndmask_b32_e64 v10, v10, v10, s[72:73]
	v_cndmask_b32_e64 v11, v11, v11, s[72:73]
	;; [unrolled: 1-line block ×3, first 2 shown]
	v_lshlrev_b32_e32 v7, 2, v6
	ds_bpermute_b32 v6, v7, v0
	v_max_f32_e32 v0, v0, v0
	v_cndmask_b32_e64 v13, v13, v13, s[64:65]
	v_cndmask_b32_e64 v14, v14, v14, s[64:65]
	scratch_store_dwordx4 off, v[2:5], off
	s_waitcnt lgkmcnt(0)
	v_max_f32_e32 v6, v6, v6
	v_max_f32_e32 v0, v0, v6
	v_xor_b32_e32 v6, 16, v162
	v_cmp_lt_i32_e64 s[76:77], v6, v1
	s_nop 1
	v_cndmask_b32_e64 v1, v162, v6, s[76:77]
	v_lshlrev_b32_e32 v37, 2, v1
	ds_bpermute_b32 v1, v37, v0
	s_waitcnt lgkmcnt(0)
	v_max_f32_e32 v1, v1, v1
	v_max_f32_e32 v6, v0, v1
	v_sub_f32_e32 v0, v8, v6
	v_mul_f32_e32 v1, 0x3fb8aa3b, v0
	v_fma_f32 v8, v0, s93, -v1
	v_rndne_f32_e32 v16, v1
	v_fmac_f32_e32 v8, 0x32a5705f, v0
	v_sub_f32_e32 v1, v1, v16
	v_add_f32_e32 v1, v1, v8
	v_exp_f32_e32 v1, v1
	v_cvt_i32_f32_e32 v8, v16
	v_cmp_ngt_f32_e64 s[76:77], s84, v0
	v_ldexp_f32 v1, v1, v8
	s_nop 0
	v_cndmask_b32_e64 v1, 0, v1, s[76:77]
	v_cmp_nlt_f32_e64 s[76:77], s97, v0
	s_nop 1
	v_cndmask_b32_e64 v0, v193, v1, s[76:77]
	v_sub_f32_e32 v1, v9, v6
	v_mul_f32_e32 v8, 0x3fb8aa3b, v1
	v_fma_f32 v9, v1, s93, -v8
	v_rndne_f32_e32 v16, v8
	v_fmac_f32_e32 v9, 0x32a5705f, v1
	v_sub_f32_e32 v8, v8, v16
	v_add_f32_e32 v8, v8, v9
	v_exp_f32_e32 v8, v8
	v_cvt_i32_f32_e32 v9, v16
	v_cndmask_b32_e64 v0, 0, v0, s[70:71]
	v_cmp_ngt_f32_e64 s[70:71], s84, v1
	v_ldexp_f32 v8, v8, v9
	s_nop 0
	v_cndmask_b32_e64 v8, 0, v8, s[70:71]
	v_cmp_nlt_f32_e64 s[70:71], s97, v1
	v_mov_b32_e32 v1, s37
	s_nop 0
	v_cndmask_b32_e64 v8, v193, v8, s[70:71]
	v_add_f32_e32 v9, v8, v0
	v_cndmask_b32_e64 v16, v1, v8, s[72:73]
	v_sub_f32_e32 v8, v10, v6
	v_cndmask_b32_e64 v1, v0, v9, s[72:73]
	v_mul_f32_e32 v9, 0x3fb8aa3b, v8
	v_fma_f32 v10, v8, s93, -v9
	v_rndne_f32_e32 v17, v9
	v_fmac_f32_e32 v10, 0x32a5705f, v8
	v_sub_f32_e32 v9, v9, v17
	v_add_f32_e32 v9, v9, v10
	v_exp_f32_e32 v9, v9
	v_cvt_i32_f32_e32 v10, v17
	v_cmp_ngt_f32_e64 s[70:71], s84, v8
	v_cvt_f16_f32_e32 v0, v0
	v_ldexp_f32 v9, v9, v10
	v_cndmask_b32_e64 v9, 0, v9, s[70:71]
	v_cmp_nlt_f32_e64 s[70:71], s97, v8
	v_mov_b32_e32 v8, s37
	s_nop 0
	v_cndmask_b32_e64 v9, v193, v9, s[70:71]
	v_cndmask_b32_e64 v17, v8, v9, s[74:75]
	v_sub_f32_e32 v8, v11, v6
	v_add_f32_e32 v10, v1, v9
	v_mul_f32_e32 v9, 0x3fb8aa3b, v8
	v_cndmask_b32_e64 v1, v1, v10, s[74:75]
	v_fma_f32 v10, v8, s93, -v9
	v_rndne_f32_e32 v11, v9
	v_fmac_f32_e32 v10, 0x32a5705f, v8
	v_sub_f32_e32 v9, v9, v11
	v_add_f32_e32 v9, v9, v10
	v_exp_f32_e32 v9, v9
	v_cvt_i32_f32_e32 v10, v11
	v_cmp_ngt_f32_e64 s[70:71], s84, v8
	v_ldexp_f32 v9, v9, v10
	s_nop 0
	v_cndmask_b32_e64 v9, 0, v9, s[70:71]
	v_cmp_nlt_f32_e64 s[70:71], s97, v8
	s_nop 1
	v_cndmask_b32_e64 v8, v193, v9, s[70:71]
	v_mov_b32_e32 v9, s37
	v_add_f32_e32 v10, v1, v8
	v_cndmask_b32_e64 v11, v9, v8, s[66:67]
	v_sub_f32_e32 v8, v12, v6
	v_mul_f32_e32 v9, 0x3fb8aa3b, v8
	v_cndmask_b32_e64 v1, v1, v10, s[66:67]
	v_fma_f32 v10, v8, s93, -v9
	v_rndne_f32_e32 v12, v9
	v_fmac_f32_e32 v10, 0x32a5705f, v8
	v_sub_f32_e32 v9, v9, v12
	v_add_f32_e32 v9, v9, v10
	v_exp_f32_e32 v9, v9
	v_cvt_i32_f32_e32 v10, v12
	v_cmp_ngt_f32_e64 s[66:67], s84, v8
	v_cndmask_b32_e64 v12, v15, v15, s[64:65]
	v_ldexp_f32 v9, v9, v10
	v_cndmask_b32_e64 v9, 0, v9, s[66:67]
	v_cmp_nlt_f32_e64 s[66:67], s97, v8
	v_mov_b32_e32 v8, s37
	s_nop 0
	v_cndmask_b32_e64 v9, v193, v9, s[66:67]
	v_add_f32_e32 v10, v9, v1
	v_cndmask_b32_e64 v15, v8, v9, s[64:65]
	v_cndmask_b32_e64 v8, v1, v10, s[64:65]
	v_sub_f32_e32 v1, v13, v6
	v_mul_f32_e32 v9, 0x3fb8aa3b, v1
	v_fma_f32 v10, v1, s93, -v9
	v_rndne_f32_e32 v13, v9
	v_fmac_f32_e32 v10, 0x32a5705f, v1
	v_sub_f32_e32 v9, v9, v13
	v_add_f32_e32 v9, v9, v10
	v_exp_f32_e32 v9, v9
	v_cvt_i32_f32_e32 v10, v13
	v_cmp_ngt_f32_e64 s[64:65], s84, v1
	v_ldexp_f32 v9, v9, v10
	s_nop 0
	v_cndmask_b32_e64 v9, 0, v9, s[64:65]
	v_cmp_nlt_f32_e64 s[64:65], s97, v1
	v_mov_b32_e32 v1, s37
	s_nop 0
	v_cndmask_b32_e64 v9, v193, v9, s[64:65]
	v_add_f32_e32 v10, v9, v8
	v_cndmask_b32_e64 v13, v1, v9, s[62:63]
	v_cndmask_b32_e64 v1, v8, v10, s[62:63]
	v_sub_f32_e32 v8, v14, v6
	v_mul_f32_e32 v9, 0x3fb8aa3b, v8
	v_fma_f32 v10, v8, s93, -v9
	v_rndne_f32_e32 v14, v9
	v_fmac_f32_e32 v10, 0x32a5705f, v8
	v_sub_f32_e32 v9, v9, v14
	v_add_f32_e32 v9, v9, v10
	v_exp_f32_e32 v9, v9
	v_cvt_i32_f32_e32 v10, v14
	v_cmp_ngt_f32_e64 s[62:63], s84, v8
	v_ldexp_f32 v9, v9, v10
	s_nop 0
	v_cndmask_b32_e64 v9, 0, v9, s[62:63]
	v_cmp_nlt_f32_e64 s[62:63], s97, v8
	v_mov_b32_e32 v8, s37
	s_nop 0
	v_cndmask_b32_e64 v9, v193, v9, s[62:63]
	v_cndmask_b32_e64 v14, v8, v9, s[60:61]
	v_sub_f32_e32 v8, v12, v6
	v_add_f32_e32 v10, v9, v1
	v_mul_f32_e32 v9, 0x3fb8aa3b, v8
	v_cndmask_b32_e64 v1, v1, v10, s[60:61]
	v_fma_f32 v10, v8, s93, -v9
	v_rndne_f32_e32 v12, v9
	v_fmac_f32_e32 v10, 0x32a5705f, v8
	v_sub_f32_e32 v9, v9, v12
	v_add_f32_e32 v9, v9, v10
	v_exp_f32_e32 v9, v9
	v_cvt_i32_f32_e32 v10, v12
	v_cmp_ngt_f32_e64 s[60:61], s84, v8
	v_ldexp_f32 v9, v9, v10
	s_nop 0
	v_cndmask_b32_e64 v9, 0, v9, s[60:61]
	v_cmp_nlt_f32_e64 s[60:61], s97, v8
	s_nop 1
	v_cndmask_b32_e64 v8, v193, v9, s[60:61]
	v_add_f32_e32 v10, v8, v1
	v_mov_b32_e32 v9, s37
	v_cndmask_b32_e32 v39, v1, v10, vcc
	v_sub_f32_e32 v1, v123, v6
	v_cndmask_b32_e32 v9, v9, v8, vcc
	v_mul_f32_e32 v8, 0x3fb8aa3b, v1
	v_fma_f32 v10, v1, s93, -v8
	v_rndne_f32_e32 v12, v8
	v_fmac_f32_e32 v10, 0x32a5705f, v1
	v_sub_f32_e32 v8, v8, v12
	v_add_f32_e32 v8, v8, v10
	v_exp_f32_e32 v8, v8
	v_cvt_i32_f32_e32 v10, v12
	v_cmp_ngt_f32_e32 vcc, s84, v1
	v_cvt_f16_f32_e32 v9, v9
	v_mul_hi_u32 v12, v42, s98
	v_ldexp_f32 v8, v8, v10
	v_cndmask_b32_e32 v8, 0, v8, vcc
	v_cmp_nlt_f32_e32 vcc, s97, v1
	s_nop 1
	v_cndmask_b32_e32 v8, v193, v8, vcc
	v_cmp_le_f32_e32 vcc, s85, v1
	s_nop 1
	v_cndmask_b32_e32 v1, 0, v8, vcc
	v_cvt_f16_f32_e32 v8, v1
	v_fmac_f32_e32 v39, v129, v1
	v_cmp_eq_u64_e32 vcc, 0, v[204:205]
	v_pk_mul_f16 v71, v8, v185 op_sel_hi:[0,1]
	v_pk_mul_f16 v1, v8, v184 op_sel_hi:[0,1]
	;; [unrolled: 1-line block ×32, first 2 shown]
	v_cvt_f16_f32_e32 v8, v16
	v_accvgpr_read_b32 v58, a82
	v_accvgpr_read_b32 v59, a83
	v_pack_b32_f16 v10, v0, v8
	v_cvt_f16_f32_e32 v0, v17
	v_cvt_f16_f32_e32 v8, v11
	v_pack_b32_f16 v11, v0, v8
	v_cvt_f16_f32_e32 v0, v15
	v_cvt_f16_f32_e32 v8, v13
	v_pack_b32_f16 v8, v0, v8
	v_cvt_f16_f32_e32 v0, v14
	v_accvgpr_read_b32 v14, a68
	v_accvgpr_read_b32 v15, a69
	v_pack_b32_f16 v9, v0, v9
	v_mul_lo_u32 v0, v42, s99
	v_add_u32_e32 v13, v12, v0
	v_mul_lo_u32 v12, v42, s98
	v_lshlrev_b64 v[12:13], 2, v[12:13]
	v_lshl_add_u64 v[12:13], v[126:127], 0, v[12:13]
	v_lshl_add_u64 v[14:15], v[14:15], 2, v[12:13]
	;; [unrolled: 1-line block ×3, first 2 shown]
	v_mov_b32_e32 v0, s39
	v_mov_b32_e32 v42, s38
	v_cndmask_b32_e64 v57, v0, v15, s[44:45]
	v_cndmask_b32_e64 v56, v42, v14, s[44:45]
	v_accvgpr_read_b32 v14, a70
	v_accvgpr_read_b32 v15, a71
	v_lshl_add_u64 v[14:15], v[14:15], 2, v[12:13]
	v_lshl_add_u64 v[14:15], v[14:15], 0, v[44:45]
	v_cndmask_b32_e64 v61, v0, v15, s[46:47]
	v_cndmask_b32_e64 v60, v42, v14, s[46:47]
	v_accvgpr_read_b32 v14, a72
	v_accvgpr_read_b32 v15, a73
	v_lshl_add_u64 v[14:15], v[14:15], 2, v[12:13]
	v_lshl_add_u64 v[14:15], v[14:15], 0, v[44:45]
	;; [unrolled: 6-line block ×6, first 2 shown]
	flat_load_dwordx4 v[56:59], v[56:57]
	v_lshl_add_u64 v[14:15], v[14:15], 0, v[44:45]
	v_cndmask_b32_e64 v15, v0, v15, s[56:57]
	v_cndmask_b32_e64 v14, v42, v14, s[56:57]
	v_lshl_add_u64 v[12:13], v[12:13], 0, v[44:45]
	v_cndmask_b32_e64 v13, v0, v13, s[58:59]
	v_cndmask_b32_e64 v12, v42, v12, s[58:59]
	v_readlane_b32 s50, v254, 61
	v_readlane_b32 s51, v254, 62
	s_xor_b64 s[44:45], s[50:51], -1
	s_or_b64 s[44:45], s[44:45], vcc
	s_waitcnt vmcnt(0) lgkmcnt(0)
	ds_write_b128 v196, v[56:59]
	flat_load_dwordx4 v[56:59], v[60:61]
	s_waitcnt vmcnt(0) lgkmcnt(0)
	ds_write_b128 v102, v[56:59]
	flat_load_dwordx4 v[56:59], v[62:63]
	;; [unrolled: 3-line block ×6, first 2 shown]
	v_cvt_f32_f16_e32 v56, v48
	v_cvt_f32_f16_sdwa v57, v48 dst_sel:DWORD dst_unused:UNUSED_PAD src0_sel:WORD_1
	s_waitcnt vmcnt(0) lgkmcnt(0)
	ds_write_b128 v112, v[14:17]
	flat_load_dwordx4 v[12:15], v[12:13]
	s_waitcnt vmcnt(0) lgkmcnt(0)
	ds_write_b128 v114, v[12:15]
	s_waitcnt lgkmcnt(0)
	s_barrier
	ds_read_u16 v0, v198 offset:528
	ds_read_u16 v3, v198 offset:1056
	v_cvt_f32_f16_e32 v14, v1
	v_cvt_f32_f16_sdwa v15, v1 dst_sel:DWORD dst_unused:UNUSED_PAD src0_sel:WORD_1
	ds_read_u16 v1, v199
	ds_read_u16 v5, v199 offset:32
	v_cvt_f32_f16_e32 v12, v71
	v_cvt_f32_f16_sdwa v13, v71 dst_sel:DWORD dst_unused:UNUSED_PAD src0_sel:WORD_1
	s_waitcnt lgkmcnt(1)
	v_perm_b32 v1, v1, v3, s43
	ds_read_u16 v3, v197
	ds_read_u16 v16, v197 offset:32
	v_accvgpr_write_b32 a0, v12
	v_accvgpr_write_b32 a1, v13
	;; [unrolled: 1-line block ×3, first 2 shown]
	s_waitcnt lgkmcnt(1)
	v_perm_b32 v0, v0, v3, s43
	v_accvgpr_write_b32 a3, v15
	ds_read_u16 v17, v197 offset:16896
	ds_read_u16 v42, v115 offset:528
	;; [unrolled: 1-line block ×4, first 2 shown]
	v_mfma_f32_16x16x16_f16 a[0:3], v[0:1], v[10:11], a[0:3]
	s_nop 6
	v_accvgpr_read_b32 v0, a0
	v_cvt_f16_f32_e32 v0, v0
	v_accvgpr_read_b32 v1, a1
	v_accvgpr_read_b32 v3, a2
	;; [unrolled: 1-line block ×3, first 2 shown]
	v_cvt_f16_f32_e32 v1, v1
	v_cvt_f16_f32_e32 v3, v3
	;; [unrolled: 1-line block ×3, first 2 shown]
	v_cvt_f32_f16_e32 v12, v0
	v_cvt_f32_f16_e32 v13, v1
	;; [unrolled: 1-line block ×4, first 2 shown]
	s_waitcnt lgkmcnt(0)
	v_perm_b32 v1, v45, v44, s43
	v_perm_b32 v0, v42, v17, s43
	v_accvgpr_write_b32 a0, v12
	v_accvgpr_write_b32 a1, v13
	;; [unrolled: 1-line block ×4, first 2 shown]
	v_cvt_f32_f16_sdwa v13, v69 dst_sel:DWORD dst_unused:UNUSED_PAD src0_sel:WORD_1
	v_cvt_f32_f16_e32 v14, v68
	v_mfma_f32_16x16x16_f16 a[0:3], v[0:1], v[8:9], a[0:3]
	v_cvt_f32_f16_sdwa v15, v68 dst_sel:DWORD dst_unused:UNUSED_PAD src0_sel:WORD_1
	s_nop 5
	v_accvgpr_read_b32 v0, a0
	v_accvgpr_read_b32 v1, a1
	v_accvgpr_read_b32 v3, a2
	v_accvgpr_read_b32 v4, a3
	v_cvt_f16_f32_e32 v0, v0
	v_cvt_f16_f32_e32 v1, v1
	;; [unrolled: 1-line block ×4, first 2 shown]
	v_pack_b32_f16 v4, v0, v1
	v_pack_b32_f16 v1, v3, v12
	ds_read_u16 v0, v116 offset:528
	ds_read_u16 v3, v116 offset:1056
	v_cvt_f32_f16_e32 v12, v69
	s_waitcnt lgkmcnt(1)
	v_perm_b32 v16, v0, v16, s43
	s_waitcnt lgkmcnt(0)
	v_perm_b32 v17, v5, v3, s43
	v_accvgpr_write_b32 a0, v12
	v_accvgpr_write_b32 a1, v13
	;; [unrolled: 1-line block ×4, first 2 shown]
	s_nop 1
	v_mfma_f32_16x16x16_f16 a[0:3], v[16:17], v[10:11], a[0:3]
	ds_read_u16 v16, v200 offset:16896
	ds_read_u16 v42, v188 offset:528
	;; [unrolled: 1-line block ×4, first 2 shown]
	s_waitcnt lgkmcnt(2)
	v_perm_b32 v16, v42, v16, s43
	s_nop 0
	v_accvgpr_read_b32 v0, a0
	v_cvt_f16_f32_e32 v0, v0
	v_accvgpr_read_b32 v3, a1
	v_accvgpr_read_b32 v5, a2
	;; [unrolled: 1-line block ×3, first 2 shown]
	v_cvt_f16_f32_e32 v3, v3
	v_cvt_f16_f32_e32 v5, v5
	;; [unrolled: 1-line block ×3, first 2 shown]
	v_cvt_f32_f16_e32 v12, v0
	v_cvt_f32_f16_e32 v13, v3
	;; [unrolled: 1-line block ×4, first 2 shown]
	s_waitcnt lgkmcnt(0)
	v_perm_b32 v17, v44, v17, s43
	v_accvgpr_write_b32 a0, v12
	v_accvgpr_write_b32 a1, v13
	;; [unrolled: 1-line block ×4, first 2 shown]
	v_cvt_f32_f16_e32 v14, v55
	v_cvt_f32_f16_sdwa v15, v55 dst_sel:DWORD dst_unused:UNUSED_PAD src0_sel:WORD_1
	v_mfma_f32_16x16x16_f16 a[0:3], v[16:17], v[8:9], a[0:3]
	v_cvt_f32_f16_e32 v16, v54
	v_cvt_f32_f16_sdwa v17, v54 dst_sel:DWORD dst_unused:UNUSED_PAD src0_sel:WORD_1
	v_cvt_f32_f16_sdwa v55, v50 dst_sel:DWORD dst_unused:UNUSED_PAD src0_sel:WORD_1
	s_nop 3
	v_accvgpr_read_b32 v0, a0
	v_accvgpr_read_b32 v3, a1
	;; [unrolled: 1-line block ×4, first 2 shown]
	v_cvt_f16_f32_e32 v0, v0
	v_cvt_f16_f32_e32 v3, v3
	;; [unrolled: 1-line block ×4, first 2 shown]
	v_accvgpr_write_b32 a0, v14
	v_pack_b32_f16 v12, v0, v3
	v_accvgpr_write_b32 a1, v15
	v_pack_b32_f16 v3, v5, v13
	ds_read_u16 v0, v197 offset:64
	ds_read_u16 v5, v118 offset:528
	;; [unrolled: 1-line block ×4, first 2 shown]
	v_accvgpr_write_b32 a2, v16
	v_accvgpr_write_b32 a3, v17
	s_waitcnt lgkmcnt(2)
	v_perm_b32 v44, v5, v0, s43
	s_waitcnt lgkmcnt(0)
	v_perm_b32 v45, v42, v13, s43
	s_nop 1
	v_mfma_f32_16x16x16_f16 a[0:3], v[44:45], v[10:11], a[0:3]
	ds_read_u16 v42, v203 offset:16896
	ds_read_u16 v44, v100 offset:528
	;; [unrolled: 1-line block ×4, first 2 shown]
	s_nop 2
	v_accvgpr_read_b32 v0, a0
	v_cvt_f16_f32_e32 v0, v0
	v_accvgpr_read_b32 v5, a1
	v_accvgpr_read_b32 v13, a2
	;; [unrolled: 1-line block ×3, first 2 shown]
	v_cvt_f16_f32_e32 v5, v5
	v_cvt_f16_f32_e32 v13, v13
	;; [unrolled: 1-line block ×3, first 2 shown]
	v_cvt_f32_f16_e32 v14, v0
	v_cvt_f32_f16_e32 v15, v5
	;; [unrolled: 1-line block ×4, first 2 shown]
	s_waitcnt lgkmcnt(0)
	v_perm_b32 v45, v54, v45, s43
	v_perm_b32 v44, v44, v42, s43
	v_accvgpr_write_b32 a0, v14
	v_accvgpr_write_b32 a1, v15
	;; [unrolled: 1-line block ×4, first 2 shown]
	v_cvt_f32_f16_e32 v54, v50
	s_nop 0
	v_mfma_f32_16x16x16_f16 a[0:3], v[44:45], v[8:9], a[0:3]
	s_nop 6
	v_accvgpr_read_b32 v0, a0
	v_accvgpr_read_b32 v5, a1
	v_accvgpr_read_b32 v13, a2
	v_accvgpr_read_b32 v14, a3
	v_cvt_f16_f32_e32 v0, v0
	v_cvt_f16_f32_e32 v5, v5
	;; [unrolled: 1-line block ×4, first 2 shown]
	v_accvgpr_write_b32 a0, v54
	v_pack_b32_f16 v14, v0, v5
	v_accvgpr_write_b32 a1, v55
	v_pack_b32_f16 v5, v13, v15
	ds_read_u16 v0, v197 offset:96
	ds_read_u16 v13, v120 offset:528
	;; [unrolled: 1-line block ×4, first 2 shown]
	v_accvgpr_write_b32 a2, v56
	v_accvgpr_write_b32 a3, v57
	s_waitcnt lgkmcnt(0)
	v_perm_b32 v17, v16, v15, s43
	v_perm_b32 v16, v13, v0, s43
	s_nop 1
	v_mfma_f32_16x16x16_f16 a[0:3], v[16:17], v[10:11], a[0:3]
	ds_read_u16 v42, v206 offset:16896
	ds_read_u16 v44, v207 offset:528
	;; [unrolled: 1-line block ×4, first 2 shown]
	s_waitcnt lgkmcnt(0)
	v_perm_b32 v17, v45, v17, s43
	s_nop 0
	v_accvgpr_read_b32 v0, a0
	v_cvt_f16_f32_e32 v0, v0
	v_accvgpr_read_b32 v13, a1
	v_accvgpr_read_b32 v15, a2
	;; [unrolled: 1-line block ×3, first 2 shown]
	v_cvt_f16_f32_e32 v13, v13
	v_cvt_f16_f32_e32 v15, v15
	;; [unrolled: 1-line block ×3, first 2 shown]
	v_cvt_f32_f16_e32 v54, v0
	v_cvt_f32_f16_e32 v55, v13
	;; [unrolled: 1-line block ×4, first 2 shown]
	v_perm_b32 v16, v44, v42, s43
	v_accvgpr_write_b32 a0, v54
	v_accvgpr_write_b32 a1, v55
	;; [unrolled: 1-line block ×4, first 2 shown]
	v_cvt_f32_f16_e32 v54, v46
	v_cvt_f32_f16_sdwa v55, v46 dst_sel:DWORD dst_unused:UNUSED_PAD src0_sel:WORD_1
	v_mfma_f32_16x16x16_f16 a[0:3], v[16:17], v[8:9], a[0:3]
	v_cvt_f32_f16_e32 v56, v18
	v_cvt_f32_f16_sdwa v57, v18 dst_sel:DWORD dst_unused:UNUSED_PAD src0_sel:WORD_1
	s_nop 4
	v_accvgpr_read_b32 v0, a0
	v_accvgpr_read_b32 v13, a1
	;; [unrolled: 1-line block ×4, first 2 shown]
	v_cvt_f16_f32_e32 v0, v0
	v_cvt_f16_f32_e32 v13, v13
	;; [unrolled: 1-line block ×4, first 2 shown]
	v_accvgpr_write_b32 a0, v54
	v_pack_b32_f16 v16, v0, v13
	v_accvgpr_write_b32 a1, v55
	v_pack_b32_f16 v13, v15, v17
	ds_read_u16 v0, v197 offset:128
	ds_read_u16 v15, v86 offset:528
	;; [unrolled: 1-line block ×4, first 2 shown]
	v_accvgpr_write_b32 a2, v56
	v_accvgpr_write_b32 a3, v57
	s_waitcnt lgkmcnt(2)
	v_perm_b32 v44, v15, v0, s43
	s_waitcnt lgkmcnt(0)
	v_perm_b32 v45, v42, v17, s43
	s_nop 1
	v_mfma_f32_16x16x16_f16 a[0:3], v[44:45], v[10:11], a[0:3]
	ds_read_u16 v42, v209 offset:16896
	ds_read_u16 v44, v122 offset:528
	;; [unrolled: 1-line block ×4, first 2 shown]
	s_nop 2
	v_accvgpr_read_b32 v0, a0
	v_cvt_f16_f32_e32 v0, v0
	v_accvgpr_read_b32 v15, a1
	v_accvgpr_read_b32 v17, a2
	v_accvgpr_read_b32 v18, a3
	v_cvt_f16_f32_e32 v15, v15
	v_cvt_f16_f32_e32 v17, v17
	;; [unrolled: 1-line block ×3, first 2 shown]
	v_cvt_f32_f16_e32 v54, v0
	v_cvt_f32_f16_e32 v55, v15
	;; [unrolled: 1-line block ×4, first 2 shown]
	s_waitcnt lgkmcnt(0)
	v_perm_b32 v45, v46, v45, s43
	v_perm_b32 v44, v44, v42, s43
	v_accvgpr_write_b32 a0, v54
	v_accvgpr_write_b32 a1, v55
	;; [unrolled: 1-line block ×4, first 2 shown]
	s_nop 1
	v_mfma_f32_16x16x16_f16 a[0:3], v[44:45], v[8:9], a[0:3]
	v_cvt_f32_f16_e32 v44, v20
	v_cvt_f32_f16_sdwa v45, v20 dst_sel:DWORD dst_unused:UNUSED_PAD src0_sel:WORD_1
	s_nop 4
	v_accvgpr_read_b32 v0, a0
	v_accvgpr_read_b32 v15, a1
	;; [unrolled: 1-line block ×4, first 2 shown]
	v_cvt_f16_f32_e32 v0, v0
	v_cvt_f16_f32_e32 v15, v15
	;; [unrolled: 1-line block ×4, first 2 shown]
	v_pack_b32_f16 v18, v0, v15
	v_pack_b32_f16 v15, v17, v42
	ds_read_u16 v0, v197 offset:160
	ds_read_u16 v17, v92 offset:528
	ds_read_u16 v46, v92 offset:1056
	ds_read_u16 v48, v199 offset:160
	v_cvt_f32_f16_e32 v42, v43
	v_cvt_f32_f16_sdwa v43, v43 dst_sel:DWORD dst_unused:UNUSED_PAD src0_sel:WORD_1
	s_waitcnt lgkmcnt(2)
	v_perm_b32 v54, v17, v0, s43
	s_waitcnt lgkmcnt(0)
	v_perm_b32 v55, v48, v46, s43
	v_accvgpr_write_b32 a0, v42
	v_accvgpr_write_b32 a1, v43
	v_accvgpr_write_b32 a2, v44
	v_accvgpr_write_b32 a3, v45
	s_nop 1
	v_mfma_f32_16x16x16_f16 a[0:3], v[54:55], v[10:11], a[0:3]
	ds_read_u16 v46, v212 offset:16896
	ds_read_u16 v48, v213 offset:528
	ds_read_u16 v50, v189 offset:1056
	ds_read_u16 v54, v214 offset:16896
	s_waitcnt lgkmcnt(0)
	v_perm_b32 v55, v54, v50, s43
	s_nop 0
	v_accvgpr_read_b32 v0, a0
	v_cvt_f16_f32_e32 v0, v0
	v_accvgpr_read_b32 v17, a1
	v_accvgpr_read_b32 v20, a2
	v_accvgpr_read_b32 v42, a3
	v_cvt_f16_f32_e32 v17, v17
	v_cvt_f16_f32_e32 v20, v20
	v_cvt_f16_f32_e32 v45, v42
	v_cvt_f32_f16_e32 v42, v0
	v_cvt_f32_f16_e32 v43, v17
	v_cvt_f32_f16_e32 v44, v20
	v_cvt_f32_f16_e32 v45, v45
	v_perm_b32 v54, v48, v46, s43
	v_accvgpr_write_b32 a0, v42
	v_accvgpr_write_b32 a1, v43
	v_accvgpr_write_b32 a2, v44
	v_accvgpr_write_b32 a3, v45
	v_cvt_f32_f16_e32 v44, v19
	v_cvt_f32_f16_sdwa v45, v19 dst_sel:DWORD dst_unused:UNUSED_PAD src0_sel:WORD_1
	v_mfma_f32_16x16x16_f16 a[0:3], v[54:55], v[8:9], a[0:3]
	s_nop 6
	v_accvgpr_read_b32 v0, a0
	v_accvgpr_read_b32 v17, a1
	v_cvt_f16_f32_e32 v0, v0
	v_cvt_f16_f32_e32 v17, v17
	v_accvgpr_read_b32 v20, a2
	v_cvt_f16_f32_e32 v42, v20
	v_accvgpr_read_b32 v20, a3
	v_cvt_f16_f32_e32 v43, v20
	v_pack_b32_f16 v20, v0, v17
	ds_read_u16 v0, v197 offset:192
	ds_read_u16 v46, v253 offset:528
	ds_read_u16 v48, v253 offset:1056
	ds_read_u16 v50, v199 offset:192
	v_pack_b32_f16 v17, v42, v43
	v_cvt_f32_f16_e32 v42, v22
	v_cvt_f32_f16_sdwa v43, v22 dst_sel:DWORD dst_unused:UNUSED_PAD src0_sel:WORD_1
	s_waitcnt lgkmcnt(0)
	v_perm_b32 v55, v50, v48, s43
	v_perm_b32 v54, v46, v0, s43
	v_accvgpr_write_b32 a0, v42
	v_accvgpr_write_b32 a1, v43
	v_accvgpr_write_b32 a2, v44
	v_accvgpr_write_b32 a3, v45
	s_nop 1
	v_mfma_f32_16x16x16_f16 a[0:3], v[54:55], v[10:11], a[0:3]
	ds_read_u16 v46, v215 offset:16896
	ds_read_u16 v48, v90 offset:528
	ds_read_u16 v50, v252 offset:1056
	ds_read_u16 v54, v201 offset:16896
	s_waitcnt lgkmcnt(0)
	v_perm_b32 v55, v54, v50, s43
	s_nop 0
	v_accvgpr_read_b32 v0, a0
	v_cvt_f16_f32_e32 v0, v0
	v_accvgpr_read_b32 v19, a1
	v_accvgpr_read_b32 v22, a2
	v_accvgpr_read_b32 v42, a3
	v_cvt_f16_f32_e32 v19, v19
	v_cvt_f16_f32_e32 v22, v22
	v_cvt_f16_f32_e32 v45, v42
	v_cvt_f32_f16_e32 v42, v0
	v_cvt_f32_f16_e32 v43, v19
	v_cvt_f32_f16_e32 v44, v22
	v_cvt_f32_f16_e32 v45, v45
	v_perm_b32 v54, v48, v46, s43
	v_accvgpr_write_b32 a0, v42
	v_accvgpr_write_b32 a1, v43
	v_accvgpr_write_b32 a2, v44
	v_accvgpr_write_b32 a3, v45
	v_cvt_f32_f16_e32 v44, v21
	v_cvt_f32_f16_sdwa v45, v21 dst_sel:DWORD dst_unused:UNUSED_PAD src0_sel:WORD_1
	v_mfma_f32_16x16x16_f16 a[0:3], v[54:55], v[8:9], a[0:3]
	s_nop 6
	v_accvgpr_read_b32 v0, a0
	v_accvgpr_read_b32 v19, a1
	v_cvt_f16_f32_e32 v0, v0
	v_cvt_f16_f32_e32 v19, v19
	v_accvgpr_read_b32 v22, a2
	v_cvt_f16_f32_e32 v42, v22
	v_accvgpr_read_b32 v22, a3
	v_cvt_f16_f32_e32 v43, v22
	v_pack_b32_f16 v22, v0, v19
	ds_read_u16 v0, v197 offset:224
	ds_read_u16 v46, v248 offset:528
	ds_read_u16 v48, v248 offset:1056
	ds_read_u16 v50, v199 offset:224
	v_pack_b32_f16 v19, v42, v43
	v_cvt_f32_f16_e32 v42, v24
	v_cvt_f32_f16_sdwa v43, v24 dst_sel:DWORD dst_unused:UNUSED_PAD src0_sel:WORD_1
	s_waitcnt lgkmcnt(0)
	v_perm_b32 v55, v50, v48, s43
	;; [unrolled: 53-line block ×10, first 2 shown]
	v_perm_b32 v40, v46, v0, s43
	v_accvgpr_write_b32 a0, v42
	v_accvgpr_write_b32 a1, v43
	;; [unrolled: 1-line block ×4, first 2 shown]
	s_nop 1
	v_mfma_f32_16x16x16_f16 a[0:3], v[40:41], v[10:11], a[0:3]
	ds_read_u16 v41, v242 offset:16896
	ds_read_u16 v46, v244 offset:528
	;; [unrolled: 1-line block ×4, first 2 shown]
	s_waitcnt lgkmcnt(0)
	s_barrier
	s_nop 0
	v_accvgpr_read_b32 v0, a0
	v_cvt_f16_f32_e32 v0, v0
	v_accvgpr_read_b32 v10, a1
	v_accvgpr_read_b32 v11, a2
	;; [unrolled: 1-line block ×3, first 2 shown]
	v_cvt_f16_f32_e32 v10, v10
	v_cvt_f16_f32_e32 v11, v11
	v_cvt_f16_f32_e32 v40, v40
	v_cvt_f32_f16_e32 v42, v0
	v_cvt_f32_f16_e32 v43, v10
	;; [unrolled: 1-line block ×4, first 2 shown]
	v_perm_b32 v11, v50, v48, s43
	v_perm_b32 v10, v46, v41, s43
	v_accvgpr_write_b32 a0, v42
	v_accvgpr_write_b32 a1, v43
	;; [unrolled: 1-line block ×4, first 2 shown]
	s_nop 1
	v_mfma_f32_16x16x16_f16 a[0:3], v[10:11], v[8:9], a[0:3]
	s_nop 6
	v_accvgpr_read_b32 v0, a0
	v_accvgpr_read_b32 v8, a1
	v_cvt_f16_f32_e32 v0, v0
	v_cvt_f16_f32_e32 v8, v8
	v_accvgpr_read_b32 v9, a2
	v_accvgpr_read_b32 v10, a3
	v_cvt_f16_f32_e32 v9, v9
	v_pack_b32_f16 v8, v0, v8
	ds_bpermute_b32 v0, v7, v39
	v_cvt_f16_f32_e32 v10, v10
	s_waitcnt lgkmcnt(0)
	v_add_f32_e32 v0, v39, v0
	ds_bpermute_b32 v7, v37, v0
	v_pack_b32_f16 v9, v9, v10
	s_waitcnt lgkmcnt(0)
	v_add_f32_e32 v7, v0, v7
	s_and_saveexec_b64 s[46:47], s[44:45]
	s_xor_b64 s[44:45], exec, s[46:47]
; %bb.230:                              ;   in Loop: Header=BB29_14 Depth=1
                                        ; implicit-def: $vgpr204_vgpr205
; %bb.231:                              ;   in Loop: Header=BB29_14 Depth=1
	s_or_saveexec_b64 s[44:45], s[44:45]
	v_accvgpr_read_b32 v184, a16
	v_accvgpr_read_b32 v185, a17
	;; [unrolled: 1-line block ×3, first 2 shown]
	s_xor_b64 exec, exec, s[44:45]
	s_cbranch_execz .LBB29_233
; %bb.232:                              ;   in Loop: Header=BB29_14 Depth=1
	global_load_dword v0, v[204:205], off
	v_max_f32_e32 v11, v6, v6
	s_waitcnt vmcnt(0)
	v_max_f32_e32 v10, v0, v0
	v_max_f32_e32 v10, v11, v10
	v_sub_f32_e32 v6, v6, v10
	v_mul_f32_e32 v11, 0x3fb8aa3b, v6
	v_fma_f32 v39, v6, s93, -v11
	v_rndne_f32_e32 v40, v11
	v_fmac_f32_e32 v39, 0x32a5705f, v6
	v_sub_f32_e32 v11, v11, v40
	v_add_f32_e32 v11, v11, v39
	v_exp_f32_e32 v11, v11
	v_cvt_i32_f32_e32 v39, v40
	v_cmp_ngt_f32_e32 vcc, s84, v6
	v_sub_f32_e32 v0, v0, v10
	v_ldexp_f32 v11, v11, v39
	v_cndmask_b32_e32 v11, 0, v11, vcc
	v_cmp_nlt_f32_e32 vcc, s97, v6
	s_nop 1
	v_cndmask_b32_e32 v11, v193, v11, vcc
	v_cmp_le_f32_e32 vcc, s85, v6
	s_nop 1
	v_cndmask_b32_e32 v6, 0, v11, vcc
	v_cvt_f16_f32_e32 v11, v6
	v_cmp_ngt_f32_e32 vcc, s84, v0
	v_pk_mul_f16 v4, v11, v4 op_sel_hi:[0,1]
	v_pk_mul_f16 v1, v11, v1 op_sel_hi:[0,1]
	;; [unrolled: 1-line block ×32, first 2 shown]
	v_mul_f32_e32 v11, 0x3fb8aa3b, v0
	v_fma_f32 v39, v0, s93, -v11
	v_rndne_f32_e32 v40, v11
	v_fmac_f32_e32 v39, 0x32a5705f, v0
	v_sub_f32_e32 v11, v11, v40
	v_add_f32_e32 v11, v11, v39
	v_exp_f32_e32 v11, v11
	v_cvt_i32_f32_e32 v39, v40
	v_ldexp_f32 v11, v11, v39
	v_cndmask_b32_e32 v11, 0, v11, vcc
	v_cmp_nlt_f32_e32 vcc, s97, v0
	s_nop 1
	v_cndmask_b32_e32 v11, v193, v11, vcc
	v_fmac_f32_e32 v11, v7, v6
	v_mov_b64_e32 v[6:7], v[10:11]
.LBB29_233:                             ;   in Loop: Header=BB29_14 Depth=1
	s_or_b64 exec, exec, s[44:45]
	s_mov_b64 s[44:45], exec
	v_readlane_b32 s46, v255, 1
	v_readlane_b32 s47, v255, 2
	s_and_b64 s[46:47], s[44:45], s[46:47]
	s_mov_b64 exec, s[46:47]
	s_cbranch_execz .LBB29_235
; %bb.234:                              ;   in Loop: Header=BB29_14 Depth=1
	v_accvgpr_read_b32 v0, a84
	v_add_u32_e32 v0, 0, v0
	ds_write2_b32 v0, v6, v7 offset0:128 offset1:129
.LBB29_235:                             ;   in Loop: Header=BB29_14 Depth=1
	s_or_b64 exec, exec, s[44:45]
	s_waitcnt lgkmcnt(0)
	s_barrier
	s_mov_b64 s[44:45], exec
	v_readlane_b32 s46, v254, 63
	v_readlane_b32 s47, v255, 0
	s_and_b64 s[46:47], s[44:45], s[46:47]
	s_xor_b64 s[44:45], s[46:47], s[44:45]
	s_mov_b64 exec, s[46:47]
	s_cbranch_execz .LBB29_237
; %bb.236:                              ;   in Loop: Header=BB29_14 Depth=1
	s_barrier
	s_waitcnt lgkmcnt(0)
                                        ; implicit-def: $vgpr37
.LBB29_237:                             ;   in Loop: Header=BB29_14 Depth=1
	s_andn2_saveexec_b64 s[44:45], s[44:45]
	s_cbranch_execz .LBB29_241
; %bb.238:                              ;   in Loop: Header=BB29_14 Depth=1
	v_accvgpr_read_b32 v0, a85
	v_add_u32_e32 v0, 0, v0
	ds_read_b64 v[6:7], v0 offset:512
	s_waitcnt lgkmcnt(0)
	s_barrier
	ds_bpermute_b32 v10, v37, v6
	v_max_f32_e32 v11, v6, v6
	s_waitcnt lgkmcnt(0)
	v_max_f32_e32 v10, v10, v10
	v_max_f32_e32 v10, v11, v10
	v_sub_f32_e32 v6, v6, v10
	v_mul_f32_e32 v10, 0x3fb8aa3b, v6
	v_fma_f32 v11, v6, s93, -v10
	v_rndne_f32_e32 v39, v10
	v_fmac_f32_e32 v11, 0x32a5705f, v6
	v_sub_f32_e32 v10, v10, v39
	v_add_f32_e32 v10, v10, v11
	v_cvt_i32_f32_e32 v39, v39
	v_exp_f32_e32 v10, v10
	v_cmp_ngt_f32_e32 vcc, s84, v6
	v_ldexp_f32 v10, v10, v39
	s_nop 0
	v_cndmask_b32_e32 v10, 0, v10, vcc
	v_cmp_nlt_f32_e32 vcc, s97, v6
	s_nop 1
	v_cndmask_b32_e32 v6, v193, v10, vcc
	v_mul_f32_e32 v7, v7, v6
	ds_bpermute_b32 v10, v37, v7
	s_mov_b64 s[46:47], exec
	v_readlane_b32 s48, v255, 3
	v_readlane_b32 s49, v255, 4
	s_and_b64 s[48:49], s[46:47], s[48:49]
	s_mov_b64 exec, s[48:49]
	s_cbranch_execz .LBB29_240
; %bb.239:                              ;   in Loop: Header=BB29_14 Depth=1
	s_waitcnt lgkmcnt(0)
	v_add_f32_e32 v7, v7, v10
	ds_write_b64 v0, v[6:7] offset:512
.LBB29_240:                             ;   in Loop: Header=BB29_14 Depth=1
	s_or_b64 exec, exec, s[46:47]
.LBB29_241:                             ;   in Loop: Header=BB29_14 Depth=1
	s_or_b64 exec, exec, s[44:45]
	ds_write2_b32 v151, v4, v1 offset1:1
	ds_write2_b32 v151, v12, v3 offset0:8 offset1:9
	ds_write2_b32 v151, v14, v5 offset0:16 offset1:17
	;; [unrolled: 1-line block ×15, first 2 shown]
	s_waitcnt lgkmcnt(0)
	s_barrier
	s_and_saveexec_b64 s[44:45], s[50:51]
	s_cbranch_execz .LBB29_12
; %bb.242:                              ;   in Loop: Header=BB29_14 Depth=1
	v_accvgpr_read_b32 v0, a28
	v_add_u32_e32 v0, v0, v84
	v_cmp_gt_i32_e32 vcc, s96, v0
	v_mov_b32_e32 v1, 0x47
	s_and_saveexec_b64 s[46:47], vcc
	s_cbranch_execz .LBB29_244
; %bb.243:                              ;   in Loop: Header=BB29_14 Depth=1
	v_accvgpr_read_b32 v1, a92
	v_add_u32_e32 v1, 0, v1
	ds_read2_b32 v[4:5], v1 offset0:128 offset1:129
	ds_read_b32 v8, v1 offset:8960
	v_accvgpr_read_b32 v1, a91
	ds_read2st64_b32 v[10:11], v1 offset1:1
	ds_read_b32 v3, v1 offset:8448
	v_readlane_b32 s41, v254, 56
	v_accvgpr_read_b32 v6, a192
	v_accvgpr_read_b32 v7, a193
	v_mad_u64_u32 v[0:1], s[48:49], s41, v0, v[146:147]
	v_ashrrev_i32_e32 v1, 31, v0
	v_lshl_add_u64 v[6:7], v[0:1], 3, v[6:7]
	s_waitcnt lgkmcnt(1)
	v_cvt_f32_f16_sdwa v1, v10 dst_sel:DWORD dst_unused:UNUSED_PAD src0_sel:WORD_1
	v_cvt_f32_f16_e32 v0, v10
	s_waitcnt lgkmcnt(0)
	v_cvt_f32_f16_sdwa v13, v3 dst_sel:DWORD dst_unused:UNUSED_PAD src0_sel:WORD_1
	v_cvt_f32_f16_e32 v12, v3
	v_pk_fma_f32 v[0:1], v[4:5], v[0:1], 0 op_sel_hi:[0,1,0]
	v_pk_fma_f32 v[0:1], v[8:9], v[12:13], v[0:1] op_sel_hi:[0,1,1]
	v_div_scale_f32 v3, s[48:49], v5, v5, v1
	v_rcp_f32_e32 v9, v3
	s_nop 0
	v_fma_f32 v10, -v3, v9, 1.0
	v_fmac_f32_e32 v9, v10, v9
	v_div_scale_f32 v10, vcc, v1, v5, v1
	v_mul_f32_e32 v12, v10, v9
	v_fma_f32 v13, -v3, v12, v10
	v_fmac_f32_e32 v12, v13, v9
	v_fma_f32 v3, -v3, v12, v10
	v_div_fmas_f32 v3, v3, v9, v12
	v_div_fixup_f32 v1, v3, v5, v1
	v_div_scale_f32 v3, s[48:49], v5, v5, v0
	v_rcp_f32_e32 v9, v3
	s_nop 0
	v_fma_f32 v10, -v3, v9, 1.0
	v_fmac_f32_e32 v9, v10, v9
	v_div_scale_f32 v10, vcc, v0, v5, v0
	v_mul_f32_e32 v12, v10, v9
	v_fma_f32 v13, -v3, v12, v10
	v_fmac_f32_e32 v12, v13, v9
	v_fma_f32 v3, -v3, v12, v10
	v_div_fmas_f32 v3, v3, v9, v12
	v_div_fixup_f32 v0, v3, v5, v0
	global_store_dwordx2 v[6:7], v[0:1], off
	v_accvgpr_read_b32 v0, a93
	ds_read_b32 v3, v0 offset:8448
	v_cvt_f32_f16_sdwa v1, v11 dst_sel:DWORD dst_unused:UNUSED_PAD src0_sel:WORD_1
	v_cvt_f32_f16_e32 v0, v11
	s_waitcnt lgkmcnt(0)
	v_cvt_f32_f16_sdwa v11, v3 dst_sel:DWORD dst_unused:UNUSED_PAD src0_sel:WORD_1
	v_cvt_f32_f16_e32 v10, v3
	v_pk_fma_f32 v[0:1], v[4:5], v[0:1], 0 op_sel_hi:[0,1,0]
	v_pk_fma_f32 v[0:1], v[8:9], v[10:11], v[0:1] op_sel_hi:[0,1,1]
	v_div_scale_f32 v3, s[48:49], v5, v5, v1
	v_rcp_f32_e32 v4, v3
	s_nop 0
	v_fma_f32 v8, -v3, v4, 1.0
	v_fmac_f32_e32 v4, v8, v4
	v_div_scale_f32 v8, vcc, v1, v5, v1
	v_mul_f32_e32 v9, v8, v4
	v_fma_f32 v10, -v3, v9, v8
	v_fmac_f32_e32 v9, v10, v4
	v_fma_f32 v3, -v3, v9, v8
	v_div_fmas_f32 v3, v3, v4, v9
	v_div_fixup_f32 v1, v3, v5, v1
	v_div_scale_f32 v3, s[48:49], v5, v5, v0
	v_rcp_f32_e32 v4, v3
	s_nop 0
	v_fma_f32 v8, -v3, v4, 1.0
	v_fmac_f32_e32 v4, v8, v4
	v_div_scale_f32 v8, vcc, v0, v5, v0
	v_mul_f32_e32 v9, v8, v4
	v_fma_f32 v10, -v3, v9, v8
	v_fmac_f32_e32 v9, v10, v4
	v_fma_f32 v3, -v3, v9, v8
	v_div_fmas_f32 v3, v3, v4, v9
	v_div_fixup_f32 v0, v3, v5, v0
	global_store_dwordx2 v[6:7], v[0:1], off offset:512
	v_mov_b32_e32 v1, 0
.LBB29_244:                             ;   in Loop: Header=BB29_14 Depth=1
	s_or_b64 exec, exec, s[46:47]
	s_movk_i32 s41, 0x47
	v_cmp_gt_i32_e32 vcc, s41, v1
	s_mov_b64 s[46:47], -1
	s_and_saveexec_b64 s[48:49], vcc
; %bb.245:                              ;   in Loop: Header=BB29_14 Depth=1
	v_cmp_eq_u32_e32 vcc, 0, v1
	s_orn2_b64 s[46:47], vcc, exec
; %bb.246:                              ;   in Loop: Header=BB29_14 Depth=1
	s_or_b64 exec, exec, s[48:49]
	s_and_b64 exec, exec, s[46:47]
	s_cbranch_execz .LBB29_12
; %bb.247:                              ;   in Loop: Header=BB29_14 Depth=1
	v_accvgpr_read_b32 v0, a29
	v_add_u32_e32 v0, v0, v84
	v_cmp_gt_i32_e32 vcc, s96, v0
	v_mov_b32_e32 v1, 0x47
	s_and_saveexec_b64 s[46:47], vcc
	s_cbranch_execz .LBB29_249
; %bb.248:                              ;   in Loop: Header=BB29_14 Depth=1
	v_accvgpr_read_b32 v1, a95
	v_add_u32_e32 v1, 0, v1
	ds_read2_b32 v[4:5], v1 offset0:128 offset1:129
	ds_read_b32 v8, v1 offset:8960
	v_accvgpr_read_b32 v1, a94
	ds_read2st64_b32 v[10:11], v1 offset1:1
	ds_read_b32 v3, v1 offset:8448
	v_readlane_b32 s41, v254, 56
	v_accvgpr_read_b32 v6, a192
	v_accvgpr_read_b32 v7, a193
	v_mad_u64_u32 v[0:1], s[48:49], s41, v0, v[146:147]
	v_ashrrev_i32_e32 v1, 31, v0
	v_lshl_add_u64 v[6:7], v[0:1], 3, v[6:7]
	s_waitcnt lgkmcnt(1)
	v_cvt_f32_f16_sdwa v1, v10 dst_sel:DWORD dst_unused:UNUSED_PAD src0_sel:WORD_1
	v_cvt_f32_f16_e32 v0, v10
	s_waitcnt lgkmcnt(0)
	v_cvt_f32_f16_sdwa v13, v3 dst_sel:DWORD dst_unused:UNUSED_PAD src0_sel:WORD_1
	v_cvt_f32_f16_e32 v12, v3
	v_pk_fma_f32 v[0:1], v[4:5], v[0:1], 0 op_sel_hi:[0,1,0]
	v_pk_fma_f32 v[0:1], v[8:9], v[12:13], v[0:1] op_sel_hi:[0,1,1]
	v_div_scale_f32 v3, s[48:49], v5, v5, v1
	v_rcp_f32_e32 v9, v3
	s_nop 0
	v_fma_f32 v10, -v3, v9, 1.0
	v_fmac_f32_e32 v9, v10, v9
	v_div_scale_f32 v10, vcc, v1, v5, v1
	v_mul_f32_e32 v12, v10, v9
	v_fma_f32 v13, -v3, v12, v10
	v_fmac_f32_e32 v12, v13, v9
	v_fma_f32 v3, -v3, v12, v10
	v_div_fmas_f32 v3, v3, v9, v12
	v_div_fixup_f32 v1, v3, v5, v1
	v_div_scale_f32 v3, s[48:49], v5, v5, v0
	v_rcp_f32_e32 v9, v3
	s_nop 0
	v_fma_f32 v10, -v3, v9, 1.0
	v_fmac_f32_e32 v9, v10, v9
	v_div_scale_f32 v10, vcc, v0, v5, v0
	v_mul_f32_e32 v12, v10, v9
	v_fma_f32 v13, -v3, v12, v10
	v_fmac_f32_e32 v12, v13, v9
	v_fma_f32 v3, -v3, v12, v10
	v_div_fmas_f32 v3, v3, v9, v12
	v_div_fixup_f32 v0, v3, v5, v0
	global_store_dwordx2 v[6:7], v[0:1], off
	v_accvgpr_read_b32 v0, a96
	ds_read_b32 v3, v0 offset:8448
	v_cvt_f32_f16_sdwa v1, v11 dst_sel:DWORD dst_unused:UNUSED_PAD src0_sel:WORD_1
	v_cvt_f32_f16_e32 v0, v11
	s_waitcnt lgkmcnt(0)
	v_cvt_f32_f16_sdwa v11, v3 dst_sel:DWORD dst_unused:UNUSED_PAD src0_sel:WORD_1
	v_cvt_f32_f16_e32 v10, v3
	v_pk_fma_f32 v[0:1], v[4:5], v[0:1], 0 op_sel_hi:[0,1,0]
	v_pk_fma_f32 v[0:1], v[8:9], v[10:11], v[0:1] op_sel_hi:[0,1,1]
	v_div_scale_f32 v3, s[48:49], v5, v5, v1
	v_rcp_f32_e32 v4, v3
	s_nop 0
	v_fma_f32 v8, -v3, v4, 1.0
	v_fmac_f32_e32 v4, v8, v4
	v_div_scale_f32 v8, vcc, v1, v5, v1
	v_mul_f32_e32 v9, v8, v4
	v_fma_f32 v10, -v3, v9, v8
	v_fmac_f32_e32 v9, v10, v4
	v_fma_f32 v3, -v3, v9, v8
	v_div_fmas_f32 v3, v3, v4, v9
	v_div_fixup_f32 v1, v3, v5, v1
	v_div_scale_f32 v3, s[48:49], v5, v5, v0
	v_rcp_f32_e32 v4, v3
	s_nop 0
	v_fma_f32 v8, -v3, v4, 1.0
	v_fmac_f32_e32 v4, v8, v4
	v_div_scale_f32 v8, vcc, v0, v5, v0
	v_mul_f32_e32 v9, v8, v4
	v_fma_f32 v10, -v3, v9, v8
	v_fmac_f32_e32 v9, v10, v4
	v_fma_f32 v3, -v3, v9, v8
	v_div_fmas_f32 v3, v3, v4, v9
	v_div_fixup_f32 v0, v3, v5, v0
	global_store_dwordx2 v[6:7], v[0:1], off offset:512
	v_mov_b32_e32 v1, 0
.LBB29_249:                             ;   in Loop: Header=BB29_14 Depth=1
	s_or_b64 exec, exec, s[46:47]
	s_movk_i32 s41, 0x47
	v_cmp_gt_i32_e32 vcc, s41, v1
	s_mov_b64 s[46:47], -1
	s_and_saveexec_b64 s[48:49], vcc
; %bb.250:                              ;   in Loop: Header=BB29_14 Depth=1
	v_cmp_eq_u32_e32 vcc, 0, v1
	s_orn2_b64 s[46:47], vcc, exec
; %bb.251:                              ;   in Loop: Header=BB29_14 Depth=1
	s_or_b64 exec, exec, s[48:49]
	s_and_b64 exec, exec, s[46:47]
	s_cbranch_execz .LBB29_12
; %bb.252:                              ;   in Loop: Header=BB29_14 Depth=1
	v_accvgpr_read_b32 v0, a30
	v_add_u32_e32 v0, v0, v84
	v_cmp_gt_i32_e32 vcc, s96, v0
	v_mov_b32_e32 v1, 0x47
	s_and_saveexec_b64 s[46:47], vcc
	s_cbranch_execz .LBB29_254
; %bb.253:                              ;   in Loop: Header=BB29_14 Depth=1
	v_accvgpr_read_b32 v1, a98
	v_add_u32_e32 v1, 0, v1
	ds_read2_b32 v[4:5], v1 offset0:128 offset1:129
	ds_read_b32 v8, v1 offset:8960
	v_accvgpr_read_b32 v1, a97
	ds_read2st64_b32 v[10:11], v1 offset1:1
	ds_read_b32 v3, v1 offset:8448
	v_readlane_b32 s41, v254, 56
	v_accvgpr_read_b32 v6, a192
	v_accvgpr_read_b32 v7, a193
	v_mad_u64_u32 v[0:1], s[48:49], s41, v0, v[146:147]
	v_ashrrev_i32_e32 v1, 31, v0
	v_lshl_add_u64 v[6:7], v[0:1], 3, v[6:7]
	s_waitcnt lgkmcnt(1)
	v_cvt_f32_f16_sdwa v1, v10 dst_sel:DWORD dst_unused:UNUSED_PAD src0_sel:WORD_1
	v_cvt_f32_f16_e32 v0, v10
	s_waitcnt lgkmcnt(0)
	v_cvt_f32_f16_sdwa v13, v3 dst_sel:DWORD dst_unused:UNUSED_PAD src0_sel:WORD_1
	v_cvt_f32_f16_e32 v12, v3
	v_pk_fma_f32 v[0:1], v[4:5], v[0:1], 0 op_sel_hi:[0,1,0]
	v_pk_fma_f32 v[0:1], v[8:9], v[12:13], v[0:1] op_sel_hi:[0,1,1]
	v_div_scale_f32 v3, s[48:49], v5, v5, v1
	v_rcp_f32_e32 v9, v3
	s_nop 0
	v_fma_f32 v10, -v3, v9, 1.0
	v_fmac_f32_e32 v9, v10, v9
	v_div_scale_f32 v10, vcc, v1, v5, v1
	v_mul_f32_e32 v12, v10, v9
	v_fma_f32 v13, -v3, v12, v10
	v_fmac_f32_e32 v12, v13, v9
	v_fma_f32 v3, -v3, v12, v10
	v_div_fmas_f32 v3, v3, v9, v12
	v_div_fixup_f32 v1, v3, v5, v1
	v_div_scale_f32 v3, s[48:49], v5, v5, v0
	v_rcp_f32_e32 v9, v3
	s_nop 0
	v_fma_f32 v10, -v3, v9, 1.0
	v_fmac_f32_e32 v9, v10, v9
	v_div_scale_f32 v10, vcc, v0, v5, v0
	v_mul_f32_e32 v12, v10, v9
	v_fma_f32 v13, -v3, v12, v10
	v_fmac_f32_e32 v12, v13, v9
	v_fma_f32 v3, -v3, v12, v10
	v_div_fmas_f32 v3, v3, v9, v12
	v_div_fixup_f32 v0, v3, v5, v0
	global_store_dwordx2 v[6:7], v[0:1], off
	v_accvgpr_read_b32 v0, a99
	ds_read_b32 v3, v0 offset:8448
	v_cvt_f32_f16_sdwa v1, v11 dst_sel:DWORD dst_unused:UNUSED_PAD src0_sel:WORD_1
	v_cvt_f32_f16_e32 v0, v11
	s_waitcnt lgkmcnt(0)
	v_cvt_f32_f16_sdwa v11, v3 dst_sel:DWORD dst_unused:UNUSED_PAD src0_sel:WORD_1
	v_cvt_f32_f16_e32 v10, v3
	v_pk_fma_f32 v[0:1], v[4:5], v[0:1], 0 op_sel_hi:[0,1,0]
	v_pk_fma_f32 v[0:1], v[8:9], v[10:11], v[0:1] op_sel_hi:[0,1,1]
	v_div_scale_f32 v3, s[48:49], v5, v5, v1
	v_rcp_f32_e32 v4, v3
	s_nop 0
	v_fma_f32 v8, -v3, v4, 1.0
	v_fmac_f32_e32 v4, v8, v4
	v_div_scale_f32 v8, vcc, v1, v5, v1
	v_mul_f32_e32 v9, v8, v4
	v_fma_f32 v10, -v3, v9, v8
	v_fmac_f32_e32 v9, v10, v4
	v_fma_f32 v3, -v3, v9, v8
	v_div_fmas_f32 v3, v3, v4, v9
	v_div_fixup_f32 v1, v3, v5, v1
	v_div_scale_f32 v3, s[48:49], v5, v5, v0
	v_rcp_f32_e32 v4, v3
	s_nop 0
	v_fma_f32 v8, -v3, v4, 1.0
	v_fmac_f32_e32 v4, v8, v4
	v_div_scale_f32 v8, vcc, v0, v5, v0
	v_mul_f32_e32 v9, v8, v4
	v_fma_f32 v10, -v3, v9, v8
	v_fmac_f32_e32 v9, v10, v4
	v_fma_f32 v3, -v3, v9, v8
	v_div_fmas_f32 v3, v3, v4, v9
	v_div_fixup_f32 v0, v3, v5, v0
	global_store_dwordx2 v[6:7], v[0:1], off offset:512
	v_mov_b32_e32 v1, 0
.LBB29_254:                             ;   in Loop: Header=BB29_14 Depth=1
	s_or_b64 exec, exec, s[46:47]
	s_movk_i32 s41, 0x47
	v_cmp_gt_i32_e32 vcc, s41, v1
	s_mov_b64 s[46:47], -1
	s_and_saveexec_b64 s[48:49], vcc
; %bb.255:                              ;   in Loop: Header=BB29_14 Depth=1
	v_cmp_eq_u32_e32 vcc, 0, v1
	s_orn2_b64 s[46:47], vcc, exec
; %bb.256:                              ;   in Loop: Header=BB29_14 Depth=1
	s_or_b64 exec, exec, s[48:49]
	s_and_b64 exec, exec, s[46:47]
	s_cbranch_execz .LBB29_12
; %bb.257:                              ;   in Loop: Header=BB29_14 Depth=1
	v_accvgpr_read_b32 v0, a31
	v_add_u32_e32 v0, v0, v84
	v_cmp_gt_i32_e32 vcc, s96, v0
	v_mov_b32_e32 v1, 0x47
	s_and_saveexec_b64 s[46:47], vcc
	s_cbranch_execz .LBB29_259
; %bb.258:                              ;   in Loop: Header=BB29_14 Depth=1
	v_accvgpr_read_b32 v1, a101
	v_add_u32_e32 v1, 0, v1
	ds_read2_b32 v[4:5], v1 offset0:128 offset1:129
	ds_read_b32 v8, v1 offset:8960
	v_accvgpr_read_b32 v1, a100
	ds_read2st64_b32 v[10:11], v1 offset1:1
	ds_read_b32 v3, v1 offset:8448
	v_readlane_b32 s41, v254, 56
	v_accvgpr_read_b32 v6, a192
	v_accvgpr_read_b32 v7, a193
	v_mad_u64_u32 v[0:1], s[48:49], s41, v0, v[146:147]
	v_ashrrev_i32_e32 v1, 31, v0
	v_lshl_add_u64 v[6:7], v[0:1], 3, v[6:7]
	s_waitcnt lgkmcnt(1)
	v_cvt_f32_f16_sdwa v1, v10 dst_sel:DWORD dst_unused:UNUSED_PAD src0_sel:WORD_1
	v_cvt_f32_f16_e32 v0, v10
	s_waitcnt lgkmcnt(0)
	v_cvt_f32_f16_sdwa v13, v3 dst_sel:DWORD dst_unused:UNUSED_PAD src0_sel:WORD_1
	v_cvt_f32_f16_e32 v12, v3
	v_pk_fma_f32 v[0:1], v[4:5], v[0:1], 0 op_sel_hi:[0,1,0]
	v_pk_fma_f32 v[0:1], v[8:9], v[12:13], v[0:1] op_sel_hi:[0,1,1]
	v_div_scale_f32 v3, s[48:49], v5, v5, v1
	v_rcp_f32_e32 v9, v3
	s_nop 0
	v_fma_f32 v10, -v3, v9, 1.0
	v_fmac_f32_e32 v9, v10, v9
	v_div_scale_f32 v10, vcc, v1, v5, v1
	v_mul_f32_e32 v12, v10, v9
	v_fma_f32 v13, -v3, v12, v10
	v_fmac_f32_e32 v12, v13, v9
	v_fma_f32 v3, -v3, v12, v10
	v_div_fmas_f32 v3, v3, v9, v12
	v_div_fixup_f32 v1, v3, v5, v1
	v_div_scale_f32 v3, s[48:49], v5, v5, v0
	v_rcp_f32_e32 v9, v3
	s_nop 0
	v_fma_f32 v10, -v3, v9, 1.0
	v_fmac_f32_e32 v9, v10, v9
	v_div_scale_f32 v10, vcc, v0, v5, v0
	v_mul_f32_e32 v12, v10, v9
	v_fma_f32 v13, -v3, v12, v10
	v_fmac_f32_e32 v12, v13, v9
	v_fma_f32 v3, -v3, v12, v10
	v_div_fmas_f32 v3, v3, v9, v12
	v_div_fixup_f32 v0, v3, v5, v0
	global_store_dwordx2 v[6:7], v[0:1], off
	v_accvgpr_read_b32 v0, a102
	ds_read_b32 v3, v0 offset:8448
	v_cvt_f32_f16_sdwa v1, v11 dst_sel:DWORD dst_unused:UNUSED_PAD src0_sel:WORD_1
	v_cvt_f32_f16_e32 v0, v11
	s_waitcnt lgkmcnt(0)
	v_cvt_f32_f16_sdwa v11, v3 dst_sel:DWORD dst_unused:UNUSED_PAD src0_sel:WORD_1
	v_cvt_f32_f16_e32 v10, v3
	v_pk_fma_f32 v[0:1], v[4:5], v[0:1], 0 op_sel_hi:[0,1,0]
	v_pk_fma_f32 v[0:1], v[8:9], v[10:11], v[0:1] op_sel_hi:[0,1,1]
	v_div_scale_f32 v3, s[48:49], v5, v5, v1
	v_rcp_f32_e32 v4, v3
	s_nop 0
	v_fma_f32 v8, -v3, v4, 1.0
	v_fmac_f32_e32 v4, v8, v4
	v_div_scale_f32 v8, vcc, v1, v5, v1
	v_mul_f32_e32 v9, v8, v4
	v_fma_f32 v10, -v3, v9, v8
	v_fmac_f32_e32 v9, v10, v4
	v_fma_f32 v3, -v3, v9, v8
	v_div_fmas_f32 v3, v3, v4, v9
	v_div_fixup_f32 v1, v3, v5, v1
	v_div_scale_f32 v3, s[48:49], v5, v5, v0
	v_rcp_f32_e32 v4, v3
	s_nop 0
	v_fma_f32 v8, -v3, v4, 1.0
	v_fmac_f32_e32 v4, v8, v4
	v_div_scale_f32 v8, vcc, v0, v5, v0
	v_mul_f32_e32 v9, v8, v4
	v_fma_f32 v10, -v3, v9, v8
	v_fmac_f32_e32 v9, v10, v4
	v_fma_f32 v3, -v3, v9, v8
	v_div_fmas_f32 v3, v3, v4, v9
	v_div_fixup_f32 v0, v3, v5, v0
	global_store_dwordx2 v[6:7], v[0:1], off offset:512
	v_mov_b32_e32 v1, 0
.LBB29_259:                             ;   in Loop: Header=BB29_14 Depth=1
	s_or_b64 exec, exec, s[46:47]
	s_movk_i32 s41, 0x47
	v_cmp_gt_i32_e32 vcc, s41, v1
	s_mov_b64 s[46:47], -1
	s_and_saveexec_b64 s[48:49], vcc
; %bb.260:                              ;   in Loop: Header=BB29_14 Depth=1
	v_cmp_eq_u32_e32 vcc, 0, v1
	s_orn2_b64 s[46:47], vcc, exec
; %bb.261:                              ;   in Loop: Header=BB29_14 Depth=1
	s_or_b64 exec, exec, s[48:49]
	s_and_b64 exec, exec, s[46:47]
	s_cbranch_execz .LBB29_12
; %bb.262:                              ;   in Loop: Header=BB29_14 Depth=1
	v_accvgpr_read_b32 v0, a32
	v_add_u32_e32 v0, v0, v84
	v_cmp_gt_i32_e32 vcc, s96, v0
	v_mov_b32_e32 v1, 0x47
	s_and_saveexec_b64 s[46:47], vcc
	s_cbranch_execz .LBB29_264
; %bb.263:                              ;   in Loop: Header=BB29_14 Depth=1
	v_accvgpr_read_b32 v1, a104
	v_add_u32_e32 v1, 0, v1
	ds_read2_b32 v[4:5], v1 offset0:128 offset1:129
	ds_read_b32 v8, v1 offset:8960
	v_accvgpr_read_b32 v1, a103
	ds_read2st64_b32 v[10:11], v1 offset1:1
	ds_read_b32 v3, v1 offset:8448
	v_readlane_b32 s41, v254, 56
	v_accvgpr_read_b32 v6, a192
	v_accvgpr_read_b32 v7, a193
	v_mad_u64_u32 v[0:1], s[48:49], s41, v0, v[146:147]
	v_ashrrev_i32_e32 v1, 31, v0
	v_lshl_add_u64 v[6:7], v[0:1], 3, v[6:7]
	s_waitcnt lgkmcnt(1)
	v_cvt_f32_f16_sdwa v1, v10 dst_sel:DWORD dst_unused:UNUSED_PAD src0_sel:WORD_1
	v_cvt_f32_f16_e32 v0, v10
	s_waitcnt lgkmcnt(0)
	v_cvt_f32_f16_sdwa v13, v3 dst_sel:DWORD dst_unused:UNUSED_PAD src0_sel:WORD_1
	v_cvt_f32_f16_e32 v12, v3
	v_pk_fma_f32 v[0:1], v[4:5], v[0:1], 0 op_sel_hi:[0,1,0]
	v_pk_fma_f32 v[0:1], v[8:9], v[12:13], v[0:1] op_sel_hi:[0,1,1]
	v_div_scale_f32 v3, s[48:49], v5, v5, v1
	v_rcp_f32_e32 v9, v3
	s_nop 0
	v_fma_f32 v10, -v3, v9, 1.0
	v_fmac_f32_e32 v9, v10, v9
	v_div_scale_f32 v10, vcc, v1, v5, v1
	v_mul_f32_e32 v12, v10, v9
	v_fma_f32 v13, -v3, v12, v10
	v_fmac_f32_e32 v12, v13, v9
	v_fma_f32 v3, -v3, v12, v10
	v_div_fmas_f32 v3, v3, v9, v12
	v_div_fixup_f32 v1, v3, v5, v1
	v_div_scale_f32 v3, s[48:49], v5, v5, v0
	v_rcp_f32_e32 v9, v3
	s_nop 0
	v_fma_f32 v10, -v3, v9, 1.0
	v_fmac_f32_e32 v9, v10, v9
	v_div_scale_f32 v10, vcc, v0, v5, v0
	v_mul_f32_e32 v12, v10, v9
	v_fma_f32 v13, -v3, v12, v10
	v_fmac_f32_e32 v12, v13, v9
	v_fma_f32 v3, -v3, v12, v10
	v_div_fmas_f32 v3, v3, v9, v12
	v_div_fixup_f32 v0, v3, v5, v0
	global_store_dwordx2 v[6:7], v[0:1], off
	v_accvgpr_read_b32 v0, a105
	ds_read_b32 v3, v0 offset:8448
	v_cvt_f32_f16_sdwa v1, v11 dst_sel:DWORD dst_unused:UNUSED_PAD src0_sel:WORD_1
	v_cvt_f32_f16_e32 v0, v11
	s_waitcnt lgkmcnt(0)
	v_cvt_f32_f16_sdwa v11, v3 dst_sel:DWORD dst_unused:UNUSED_PAD src0_sel:WORD_1
	v_cvt_f32_f16_e32 v10, v3
	v_pk_fma_f32 v[0:1], v[4:5], v[0:1], 0 op_sel_hi:[0,1,0]
	v_pk_fma_f32 v[0:1], v[8:9], v[10:11], v[0:1] op_sel_hi:[0,1,1]
	v_div_scale_f32 v3, s[48:49], v5, v5, v1
	v_rcp_f32_e32 v4, v3
	s_nop 0
	v_fma_f32 v8, -v3, v4, 1.0
	v_fmac_f32_e32 v4, v8, v4
	v_div_scale_f32 v8, vcc, v1, v5, v1
	v_mul_f32_e32 v9, v8, v4
	v_fma_f32 v10, -v3, v9, v8
	v_fmac_f32_e32 v9, v10, v4
	v_fma_f32 v3, -v3, v9, v8
	v_div_fmas_f32 v3, v3, v4, v9
	v_div_fixup_f32 v1, v3, v5, v1
	v_div_scale_f32 v3, s[48:49], v5, v5, v0
	v_rcp_f32_e32 v4, v3
	s_nop 0
	v_fma_f32 v8, -v3, v4, 1.0
	v_fmac_f32_e32 v4, v8, v4
	v_div_scale_f32 v8, vcc, v0, v5, v0
	v_mul_f32_e32 v9, v8, v4
	v_fma_f32 v10, -v3, v9, v8
	v_fmac_f32_e32 v9, v10, v4
	v_fma_f32 v3, -v3, v9, v8
	v_div_fmas_f32 v3, v3, v4, v9
	v_div_fixup_f32 v0, v3, v5, v0
	global_store_dwordx2 v[6:7], v[0:1], off offset:512
	v_mov_b32_e32 v1, 0
.LBB29_264:                             ;   in Loop: Header=BB29_14 Depth=1
	s_or_b64 exec, exec, s[46:47]
	s_movk_i32 s41, 0x47
	v_cmp_gt_i32_e32 vcc, s41, v1
	s_mov_b64 s[46:47], -1
	s_and_saveexec_b64 s[48:49], vcc
; %bb.265:                              ;   in Loop: Header=BB29_14 Depth=1
	v_cmp_eq_u32_e32 vcc, 0, v1
	s_orn2_b64 s[46:47], vcc, exec
; %bb.266:                              ;   in Loop: Header=BB29_14 Depth=1
	s_or_b64 exec, exec, s[48:49]
	s_and_b64 exec, exec, s[46:47]
	s_cbranch_execz .LBB29_12
; %bb.267:                              ;   in Loop: Header=BB29_14 Depth=1
	v_accvgpr_read_b32 v0, a33
	v_add_u32_e32 v0, v0, v84
	v_cmp_gt_i32_e32 vcc, s96, v0
	v_mov_b32_e32 v1, 0x47
	s_and_saveexec_b64 s[46:47], vcc
	s_cbranch_execz .LBB29_269
; %bb.268:                              ;   in Loop: Header=BB29_14 Depth=1
	v_accvgpr_read_b32 v1, a107
	v_add_u32_e32 v1, 0, v1
	ds_read2_b32 v[4:5], v1 offset0:128 offset1:129
	ds_read_b32 v8, v1 offset:8960
	v_accvgpr_read_b32 v1, a106
	ds_read2st64_b32 v[10:11], v1 offset1:1
	ds_read_b32 v3, v1 offset:8448
	v_readlane_b32 s41, v254, 56
	v_accvgpr_read_b32 v6, a192
	v_accvgpr_read_b32 v7, a193
	v_mad_u64_u32 v[0:1], s[48:49], s41, v0, v[146:147]
	v_ashrrev_i32_e32 v1, 31, v0
	v_lshl_add_u64 v[6:7], v[0:1], 3, v[6:7]
	s_waitcnt lgkmcnt(1)
	v_cvt_f32_f16_sdwa v1, v10 dst_sel:DWORD dst_unused:UNUSED_PAD src0_sel:WORD_1
	v_cvt_f32_f16_e32 v0, v10
	s_waitcnt lgkmcnt(0)
	v_cvt_f32_f16_sdwa v13, v3 dst_sel:DWORD dst_unused:UNUSED_PAD src0_sel:WORD_1
	v_cvt_f32_f16_e32 v12, v3
	v_pk_fma_f32 v[0:1], v[4:5], v[0:1], 0 op_sel_hi:[0,1,0]
	v_pk_fma_f32 v[0:1], v[8:9], v[12:13], v[0:1] op_sel_hi:[0,1,1]
	v_div_scale_f32 v3, s[48:49], v5, v5, v1
	v_rcp_f32_e32 v9, v3
	s_nop 0
	v_fma_f32 v10, -v3, v9, 1.0
	v_fmac_f32_e32 v9, v10, v9
	v_div_scale_f32 v10, vcc, v1, v5, v1
	v_mul_f32_e32 v12, v10, v9
	v_fma_f32 v13, -v3, v12, v10
	v_fmac_f32_e32 v12, v13, v9
	v_fma_f32 v3, -v3, v12, v10
	v_div_fmas_f32 v3, v3, v9, v12
	v_div_fixup_f32 v1, v3, v5, v1
	v_div_scale_f32 v3, s[48:49], v5, v5, v0
	v_rcp_f32_e32 v9, v3
	s_nop 0
	v_fma_f32 v10, -v3, v9, 1.0
	v_fmac_f32_e32 v9, v10, v9
	v_div_scale_f32 v10, vcc, v0, v5, v0
	v_mul_f32_e32 v12, v10, v9
	v_fma_f32 v13, -v3, v12, v10
	v_fmac_f32_e32 v12, v13, v9
	v_fma_f32 v3, -v3, v12, v10
	v_div_fmas_f32 v3, v3, v9, v12
	v_div_fixup_f32 v0, v3, v5, v0
	global_store_dwordx2 v[6:7], v[0:1], off
	v_accvgpr_read_b32 v0, a108
	ds_read_b32 v3, v0 offset:8448
	v_cvt_f32_f16_sdwa v1, v11 dst_sel:DWORD dst_unused:UNUSED_PAD src0_sel:WORD_1
	v_cvt_f32_f16_e32 v0, v11
	s_waitcnt lgkmcnt(0)
	v_cvt_f32_f16_sdwa v11, v3 dst_sel:DWORD dst_unused:UNUSED_PAD src0_sel:WORD_1
	v_cvt_f32_f16_e32 v10, v3
	v_pk_fma_f32 v[0:1], v[4:5], v[0:1], 0 op_sel_hi:[0,1,0]
	v_pk_fma_f32 v[0:1], v[8:9], v[10:11], v[0:1] op_sel_hi:[0,1,1]
	v_div_scale_f32 v3, s[48:49], v5, v5, v1
	v_rcp_f32_e32 v4, v3
	s_nop 0
	v_fma_f32 v8, -v3, v4, 1.0
	v_fmac_f32_e32 v4, v8, v4
	v_div_scale_f32 v8, vcc, v1, v5, v1
	v_mul_f32_e32 v9, v8, v4
	v_fma_f32 v10, -v3, v9, v8
	v_fmac_f32_e32 v9, v10, v4
	v_fma_f32 v3, -v3, v9, v8
	v_div_fmas_f32 v3, v3, v4, v9
	v_div_fixup_f32 v1, v3, v5, v1
	v_div_scale_f32 v3, s[48:49], v5, v5, v0
	v_rcp_f32_e32 v4, v3
	s_nop 0
	v_fma_f32 v8, -v3, v4, 1.0
	v_fmac_f32_e32 v4, v8, v4
	v_div_scale_f32 v8, vcc, v0, v5, v0
	v_mul_f32_e32 v9, v8, v4
	v_fma_f32 v10, -v3, v9, v8
	v_fmac_f32_e32 v9, v10, v4
	v_fma_f32 v3, -v3, v9, v8
	v_div_fmas_f32 v3, v3, v4, v9
	v_div_fixup_f32 v0, v3, v5, v0
	global_store_dwordx2 v[6:7], v[0:1], off offset:512
	v_mov_b32_e32 v1, 0
.LBB29_269:                             ;   in Loop: Header=BB29_14 Depth=1
	s_or_b64 exec, exec, s[46:47]
	s_movk_i32 s41, 0x47
	v_cmp_gt_i32_e32 vcc, s41, v1
	s_mov_b64 s[46:47], -1
	s_and_saveexec_b64 s[48:49], vcc
; %bb.270:                              ;   in Loop: Header=BB29_14 Depth=1
	v_cmp_eq_u32_e32 vcc, 0, v1
	s_orn2_b64 s[46:47], vcc, exec
; %bb.271:                              ;   in Loop: Header=BB29_14 Depth=1
	s_or_b64 exec, exec, s[48:49]
	s_and_b64 exec, exec, s[46:47]
	s_cbranch_execz .LBB29_12
; %bb.272:                              ;   in Loop: Header=BB29_14 Depth=1
	v_accvgpr_read_b32 v0, a34
	v_add_u32_e32 v0, v0, v84
	v_cmp_gt_i32_e32 vcc, s96, v0
	v_mov_b32_e32 v1, 0x47
	s_and_saveexec_b64 s[46:47], vcc
	s_cbranch_execz .LBB29_274
; %bb.273:                              ;   in Loop: Header=BB29_14 Depth=1
	v_accvgpr_read_b32 v1, a110
	v_add_u32_e32 v1, 0, v1
	ds_read2_b32 v[4:5], v1 offset0:128 offset1:129
	ds_read_b32 v8, v1 offset:8960
	v_accvgpr_read_b32 v1, a109
	ds_read2st64_b32 v[10:11], v1 offset1:1
	ds_read_b32 v3, v1 offset:8448
	v_readlane_b32 s41, v254, 56
	v_accvgpr_read_b32 v6, a192
	v_accvgpr_read_b32 v7, a193
	v_mad_u64_u32 v[0:1], s[48:49], s41, v0, v[146:147]
	v_ashrrev_i32_e32 v1, 31, v0
	v_lshl_add_u64 v[6:7], v[0:1], 3, v[6:7]
	s_waitcnt lgkmcnt(1)
	v_cvt_f32_f16_sdwa v1, v10 dst_sel:DWORD dst_unused:UNUSED_PAD src0_sel:WORD_1
	v_cvt_f32_f16_e32 v0, v10
	s_waitcnt lgkmcnt(0)
	v_cvt_f32_f16_sdwa v13, v3 dst_sel:DWORD dst_unused:UNUSED_PAD src0_sel:WORD_1
	v_cvt_f32_f16_e32 v12, v3
	v_pk_fma_f32 v[0:1], v[4:5], v[0:1], 0 op_sel_hi:[0,1,0]
	v_pk_fma_f32 v[0:1], v[8:9], v[12:13], v[0:1] op_sel_hi:[0,1,1]
	v_div_scale_f32 v3, s[48:49], v5, v5, v1
	v_rcp_f32_e32 v9, v3
	s_nop 0
	v_fma_f32 v10, -v3, v9, 1.0
	v_fmac_f32_e32 v9, v10, v9
	v_div_scale_f32 v10, vcc, v1, v5, v1
	v_mul_f32_e32 v12, v10, v9
	v_fma_f32 v13, -v3, v12, v10
	v_fmac_f32_e32 v12, v13, v9
	v_fma_f32 v3, -v3, v12, v10
	v_div_fmas_f32 v3, v3, v9, v12
	v_div_fixup_f32 v1, v3, v5, v1
	v_div_scale_f32 v3, s[48:49], v5, v5, v0
	v_rcp_f32_e32 v9, v3
	s_nop 0
	v_fma_f32 v10, -v3, v9, 1.0
	v_fmac_f32_e32 v9, v10, v9
	v_div_scale_f32 v10, vcc, v0, v5, v0
	v_mul_f32_e32 v12, v10, v9
	v_fma_f32 v13, -v3, v12, v10
	v_fmac_f32_e32 v12, v13, v9
	v_fma_f32 v3, -v3, v12, v10
	v_div_fmas_f32 v3, v3, v9, v12
	v_div_fixup_f32 v0, v3, v5, v0
	global_store_dwordx2 v[6:7], v[0:1], off
	v_accvgpr_read_b32 v0, a111
	ds_read_b32 v3, v0 offset:8448
	v_cvt_f32_f16_sdwa v1, v11 dst_sel:DWORD dst_unused:UNUSED_PAD src0_sel:WORD_1
	v_cvt_f32_f16_e32 v0, v11
	s_waitcnt lgkmcnt(0)
	v_cvt_f32_f16_sdwa v11, v3 dst_sel:DWORD dst_unused:UNUSED_PAD src0_sel:WORD_1
	v_cvt_f32_f16_e32 v10, v3
	v_pk_fma_f32 v[0:1], v[4:5], v[0:1], 0 op_sel_hi:[0,1,0]
	v_pk_fma_f32 v[0:1], v[8:9], v[10:11], v[0:1] op_sel_hi:[0,1,1]
	v_div_scale_f32 v3, s[48:49], v5, v5, v1
	v_rcp_f32_e32 v4, v3
	s_nop 0
	v_fma_f32 v8, -v3, v4, 1.0
	v_fmac_f32_e32 v4, v8, v4
	v_div_scale_f32 v8, vcc, v1, v5, v1
	v_mul_f32_e32 v9, v8, v4
	v_fma_f32 v10, -v3, v9, v8
	v_fmac_f32_e32 v9, v10, v4
	v_fma_f32 v3, -v3, v9, v8
	v_div_fmas_f32 v3, v3, v4, v9
	v_div_fixup_f32 v1, v3, v5, v1
	v_div_scale_f32 v3, s[48:49], v5, v5, v0
	v_rcp_f32_e32 v4, v3
	s_nop 0
	v_fma_f32 v8, -v3, v4, 1.0
	v_fmac_f32_e32 v4, v8, v4
	v_div_scale_f32 v8, vcc, v0, v5, v0
	v_mul_f32_e32 v9, v8, v4
	v_fma_f32 v10, -v3, v9, v8
	v_fmac_f32_e32 v9, v10, v4
	v_fma_f32 v3, -v3, v9, v8
	v_div_fmas_f32 v3, v3, v4, v9
	v_div_fixup_f32 v0, v3, v5, v0
	global_store_dwordx2 v[6:7], v[0:1], off offset:512
	v_mov_b32_e32 v1, 0
.LBB29_274:                             ;   in Loop: Header=BB29_14 Depth=1
	s_or_b64 exec, exec, s[46:47]
	s_movk_i32 s41, 0x47
	v_cmp_gt_i32_e32 vcc, s41, v1
	s_mov_b64 s[46:47], -1
	s_and_saveexec_b64 s[48:49], vcc
; %bb.275:                              ;   in Loop: Header=BB29_14 Depth=1
	v_cmp_eq_u32_e32 vcc, 0, v1
	s_orn2_b64 s[46:47], vcc, exec
; %bb.276:                              ;   in Loop: Header=BB29_14 Depth=1
	s_or_b64 exec, exec, s[48:49]
	s_and_b64 exec, exec, s[46:47]
	s_cbranch_execz .LBB29_12
; %bb.277:                              ;   in Loop: Header=BB29_14 Depth=1
	v_accvgpr_read_b32 v0, a35
	v_add_u32_e32 v0, v0, v84
	v_cmp_gt_i32_e32 vcc, s96, v0
	v_mov_b32_e32 v1, 0x47
	s_and_saveexec_b64 s[46:47], vcc
	s_cbranch_execz .LBB29_279
; %bb.278:                              ;   in Loop: Header=BB29_14 Depth=1
	v_accvgpr_read_b32 v1, a113
	v_add_u32_e32 v1, 0, v1
	ds_read2_b32 v[4:5], v1 offset0:128 offset1:129
	ds_read_b32 v8, v1 offset:8960
	v_accvgpr_read_b32 v1, a112
	ds_read2st64_b32 v[10:11], v1 offset1:1
	ds_read_b32 v3, v1 offset:8448
	v_readlane_b32 s41, v254, 56
	v_accvgpr_read_b32 v6, a192
	v_accvgpr_read_b32 v7, a193
	v_mad_u64_u32 v[0:1], s[48:49], s41, v0, v[146:147]
	v_ashrrev_i32_e32 v1, 31, v0
	v_lshl_add_u64 v[6:7], v[0:1], 3, v[6:7]
	s_waitcnt lgkmcnt(1)
	v_cvt_f32_f16_sdwa v1, v10 dst_sel:DWORD dst_unused:UNUSED_PAD src0_sel:WORD_1
	v_cvt_f32_f16_e32 v0, v10
	s_waitcnt lgkmcnt(0)
	v_cvt_f32_f16_sdwa v13, v3 dst_sel:DWORD dst_unused:UNUSED_PAD src0_sel:WORD_1
	v_cvt_f32_f16_e32 v12, v3
	v_pk_fma_f32 v[0:1], v[4:5], v[0:1], 0 op_sel_hi:[0,1,0]
	v_pk_fma_f32 v[0:1], v[8:9], v[12:13], v[0:1] op_sel_hi:[0,1,1]
	v_div_scale_f32 v3, s[48:49], v5, v5, v1
	v_rcp_f32_e32 v9, v3
	s_nop 0
	v_fma_f32 v10, -v3, v9, 1.0
	v_fmac_f32_e32 v9, v10, v9
	v_div_scale_f32 v10, vcc, v1, v5, v1
	v_mul_f32_e32 v12, v10, v9
	v_fma_f32 v13, -v3, v12, v10
	v_fmac_f32_e32 v12, v13, v9
	v_fma_f32 v3, -v3, v12, v10
	v_div_fmas_f32 v3, v3, v9, v12
	v_div_fixup_f32 v1, v3, v5, v1
	v_div_scale_f32 v3, s[48:49], v5, v5, v0
	v_rcp_f32_e32 v9, v3
	s_nop 0
	v_fma_f32 v10, -v3, v9, 1.0
	v_fmac_f32_e32 v9, v10, v9
	v_div_scale_f32 v10, vcc, v0, v5, v0
	v_mul_f32_e32 v12, v10, v9
	v_fma_f32 v13, -v3, v12, v10
	v_fmac_f32_e32 v12, v13, v9
	v_fma_f32 v3, -v3, v12, v10
	v_div_fmas_f32 v3, v3, v9, v12
	v_div_fixup_f32 v0, v3, v5, v0
	global_store_dwordx2 v[6:7], v[0:1], off
	v_accvgpr_read_b32 v0, a114
	ds_read_b32 v3, v0 offset:8448
	v_cvt_f32_f16_sdwa v1, v11 dst_sel:DWORD dst_unused:UNUSED_PAD src0_sel:WORD_1
	v_cvt_f32_f16_e32 v0, v11
	s_waitcnt lgkmcnt(0)
	v_cvt_f32_f16_sdwa v11, v3 dst_sel:DWORD dst_unused:UNUSED_PAD src0_sel:WORD_1
	v_cvt_f32_f16_e32 v10, v3
	v_pk_fma_f32 v[0:1], v[4:5], v[0:1], 0 op_sel_hi:[0,1,0]
	v_pk_fma_f32 v[0:1], v[8:9], v[10:11], v[0:1] op_sel_hi:[0,1,1]
	v_div_scale_f32 v3, s[48:49], v5, v5, v1
	v_rcp_f32_e32 v4, v3
	s_nop 0
	v_fma_f32 v8, -v3, v4, 1.0
	v_fmac_f32_e32 v4, v8, v4
	v_div_scale_f32 v8, vcc, v1, v5, v1
	v_mul_f32_e32 v9, v8, v4
	v_fma_f32 v10, -v3, v9, v8
	v_fmac_f32_e32 v9, v10, v4
	v_fma_f32 v3, -v3, v9, v8
	v_div_fmas_f32 v3, v3, v4, v9
	v_div_fixup_f32 v1, v3, v5, v1
	v_div_scale_f32 v3, s[48:49], v5, v5, v0
	v_rcp_f32_e32 v4, v3
	s_nop 0
	v_fma_f32 v8, -v3, v4, 1.0
	v_fmac_f32_e32 v4, v8, v4
	v_div_scale_f32 v8, vcc, v0, v5, v0
	v_mul_f32_e32 v9, v8, v4
	v_fma_f32 v10, -v3, v9, v8
	v_fmac_f32_e32 v9, v10, v4
	v_fma_f32 v3, -v3, v9, v8
	v_div_fmas_f32 v3, v3, v4, v9
	v_div_fixup_f32 v0, v3, v5, v0
	global_store_dwordx2 v[6:7], v[0:1], off offset:512
	v_mov_b32_e32 v1, 0
.LBB29_279:                             ;   in Loop: Header=BB29_14 Depth=1
	s_or_b64 exec, exec, s[46:47]
	s_movk_i32 s41, 0x47
	v_cmp_gt_i32_e32 vcc, s41, v1
	s_mov_b64 s[46:47], -1
	s_and_saveexec_b64 s[48:49], vcc
; %bb.280:                              ;   in Loop: Header=BB29_14 Depth=1
	v_cmp_eq_u32_e32 vcc, 0, v1
	s_orn2_b64 s[46:47], vcc, exec
; %bb.281:                              ;   in Loop: Header=BB29_14 Depth=1
	s_or_b64 exec, exec, s[48:49]
	s_and_b64 exec, exec, s[46:47]
	s_cbranch_execz .LBB29_12
; %bb.282:                              ;   in Loop: Header=BB29_14 Depth=1
	v_accvgpr_read_b32 v0, a90
	v_add_u32_e32 v0, v0, v84
	v_cmp_gt_i32_e32 vcc, s96, v0
	v_mov_b32_e32 v1, 0x47
	s_and_saveexec_b64 s[46:47], vcc
	s_cbranch_execz .LBB29_284
; %bb.283:                              ;   in Loop: Header=BB29_14 Depth=1
	v_accvgpr_read_b32 v1, a116
	v_add_u32_e32 v1, 0, v1
	ds_read2_b32 v[4:5], v1 offset0:128 offset1:129
	ds_read_b32 v8, v1 offset:8960
	v_accvgpr_read_b32 v1, a115
	ds_read2st64_b32 v[10:11], v1 offset1:1
	ds_read_b32 v3, v1 offset:8448
	v_readlane_b32 s41, v254, 56
	v_accvgpr_read_b32 v6, a192
	v_accvgpr_read_b32 v7, a193
	v_mad_u64_u32 v[0:1], s[48:49], s41, v0, v[146:147]
	v_ashrrev_i32_e32 v1, 31, v0
	v_lshl_add_u64 v[6:7], v[0:1], 3, v[6:7]
	s_waitcnt lgkmcnt(1)
	v_cvt_f32_f16_sdwa v1, v10 dst_sel:DWORD dst_unused:UNUSED_PAD src0_sel:WORD_1
	v_cvt_f32_f16_e32 v0, v10
	s_waitcnt lgkmcnt(0)
	v_cvt_f32_f16_sdwa v13, v3 dst_sel:DWORD dst_unused:UNUSED_PAD src0_sel:WORD_1
	v_cvt_f32_f16_e32 v12, v3
	v_pk_fma_f32 v[0:1], v[4:5], v[0:1], 0 op_sel_hi:[0,1,0]
	v_pk_fma_f32 v[0:1], v[8:9], v[12:13], v[0:1] op_sel_hi:[0,1,1]
	v_div_scale_f32 v3, s[48:49], v5, v5, v1
	v_rcp_f32_e32 v9, v3
	s_nop 0
	v_fma_f32 v10, -v3, v9, 1.0
	v_fmac_f32_e32 v9, v10, v9
	v_div_scale_f32 v10, vcc, v1, v5, v1
	v_mul_f32_e32 v12, v10, v9
	v_fma_f32 v13, -v3, v12, v10
	v_fmac_f32_e32 v12, v13, v9
	v_fma_f32 v3, -v3, v12, v10
	v_div_fmas_f32 v3, v3, v9, v12
	v_div_fixup_f32 v1, v3, v5, v1
	v_div_scale_f32 v3, s[48:49], v5, v5, v0
	v_rcp_f32_e32 v9, v3
	s_nop 0
	v_fma_f32 v10, -v3, v9, 1.0
	v_fmac_f32_e32 v9, v10, v9
	v_div_scale_f32 v10, vcc, v0, v5, v0
	v_mul_f32_e32 v12, v10, v9
	v_fma_f32 v13, -v3, v12, v10
	v_fmac_f32_e32 v12, v13, v9
	v_fma_f32 v3, -v3, v12, v10
	v_div_fmas_f32 v3, v3, v9, v12
	v_div_fixup_f32 v0, v3, v5, v0
	global_store_dwordx2 v[6:7], v[0:1], off
	v_accvgpr_read_b32 v0, a117
	ds_read_b32 v3, v0 offset:8448
	v_cvt_f32_f16_sdwa v1, v11 dst_sel:DWORD dst_unused:UNUSED_PAD src0_sel:WORD_1
	v_cvt_f32_f16_e32 v0, v11
	s_waitcnt lgkmcnt(0)
	v_cvt_f32_f16_sdwa v11, v3 dst_sel:DWORD dst_unused:UNUSED_PAD src0_sel:WORD_1
	v_cvt_f32_f16_e32 v10, v3
	v_pk_fma_f32 v[0:1], v[4:5], v[0:1], 0 op_sel_hi:[0,1,0]
	v_pk_fma_f32 v[0:1], v[8:9], v[10:11], v[0:1] op_sel_hi:[0,1,1]
	v_div_scale_f32 v3, s[48:49], v5, v5, v1
	v_rcp_f32_e32 v4, v3
	s_nop 0
	v_fma_f32 v8, -v3, v4, 1.0
	v_fmac_f32_e32 v4, v8, v4
	v_div_scale_f32 v8, vcc, v1, v5, v1
	v_mul_f32_e32 v9, v8, v4
	v_fma_f32 v10, -v3, v9, v8
	v_fmac_f32_e32 v9, v10, v4
	v_fma_f32 v3, -v3, v9, v8
	v_div_fmas_f32 v3, v3, v4, v9
	v_div_fixup_f32 v1, v3, v5, v1
	v_div_scale_f32 v3, s[48:49], v5, v5, v0
	v_rcp_f32_e32 v4, v3
	s_nop 0
	v_fma_f32 v8, -v3, v4, 1.0
	v_fmac_f32_e32 v4, v8, v4
	v_div_scale_f32 v8, vcc, v0, v5, v0
	v_mul_f32_e32 v9, v8, v4
	v_fma_f32 v10, -v3, v9, v8
	v_fmac_f32_e32 v9, v10, v4
	v_fma_f32 v3, -v3, v9, v8
	v_div_fmas_f32 v3, v3, v4, v9
	v_div_fixup_f32 v0, v3, v5, v0
	global_store_dwordx2 v[6:7], v[0:1], off offset:512
	v_mov_b32_e32 v1, 0
.LBB29_284:                             ;   in Loop: Header=BB29_14 Depth=1
	s_or_b64 exec, exec, s[46:47]
	s_movk_i32 s41, 0x47
	v_cmp_gt_i32_e32 vcc, s41, v1
	s_mov_b64 s[46:47], -1
	s_and_saveexec_b64 s[48:49], vcc
; %bb.285:                              ;   in Loop: Header=BB29_14 Depth=1
	v_cmp_eq_u32_e32 vcc, 0, v1
	s_orn2_b64 s[46:47], vcc, exec
; %bb.286:                              ;   in Loop: Header=BB29_14 Depth=1
	s_or_b64 exec, exec, s[48:49]
	s_and_b64 exec, exec, s[46:47]
	s_cbranch_execz .LBB29_12
; %bb.287:                              ;   in Loop: Header=BB29_14 Depth=1
	v_accvgpr_read_b32 v0, a36
	v_add_u32_e32 v0, v0, v84
	v_cmp_gt_i32_e32 vcc, s96, v0
	v_mov_b32_e32 v1, 0x47
	s_and_saveexec_b64 s[46:47], vcc
	s_cbranch_execz .LBB29_289
; %bb.288:                              ;   in Loop: Header=BB29_14 Depth=1
	v_accvgpr_read_b32 v1, a119
	v_add_u32_e32 v1, 0, v1
	ds_read2_b32 v[4:5], v1 offset0:128 offset1:129
	ds_read_b32 v8, v1 offset:8960
	v_accvgpr_read_b32 v1, a118
	ds_read2st64_b32 v[10:11], v1 offset1:1
	ds_read_b32 v3, v1 offset:8448
	v_readlane_b32 s41, v254, 56
	v_accvgpr_read_b32 v6, a192
	v_accvgpr_read_b32 v7, a193
	v_mad_u64_u32 v[0:1], s[48:49], s41, v0, v[146:147]
	v_ashrrev_i32_e32 v1, 31, v0
	v_lshl_add_u64 v[6:7], v[0:1], 3, v[6:7]
	s_waitcnt lgkmcnt(1)
	v_cvt_f32_f16_sdwa v1, v10 dst_sel:DWORD dst_unused:UNUSED_PAD src0_sel:WORD_1
	v_cvt_f32_f16_e32 v0, v10
	s_waitcnt lgkmcnt(0)
	v_cvt_f32_f16_sdwa v13, v3 dst_sel:DWORD dst_unused:UNUSED_PAD src0_sel:WORD_1
	v_cvt_f32_f16_e32 v12, v3
	v_pk_fma_f32 v[0:1], v[4:5], v[0:1], 0 op_sel_hi:[0,1,0]
	v_pk_fma_f32 v[0:1], v[8:9], v[12:13], v[0:1] op_sel_hi:[0,1,1]
	v_div_scale_f32 v3, s[48:49], v5, v5, v1
	v_rcp_f32_e32 v9, v3
	s_nop 0
	v_fma_f32 v10, -v3, v9, 1.0
	v_fmac_f32_e32 v9, v10, v9
	v_div_scale_f32 v10, vcc, v1, v5, v1
	v_mul_f32_e32 v12, v10, v9
	v_fma_f32 v13, -v3, v12, v10
	v_fmac_f32_e32 v12, v13, v9
	v_fma_f32 v3, -v3, v12, v10
	v_div_fmas_f32 v3, v3, v9, v12
	v_div_fixup_f32 v1, v3, v5, v1
	v_div_scale_f32 v3, s[48:49], v5, v5, v0
	v_rcp_f32_e32 v9, v3
	s_nop 0
	v_fma_f32 v10, -v3, v9, 1.0
	v_fmac_f32_e32 v9, v10, v9
	v_div_scale_f32 v10, vcc, v0, v5, v0
	v_mul_f32_e32 v12, v10, v9
	v_fma_f32 v13, -v3, v12, v10
	v_fmac_f32_e32 v12, v13, v9
	v_fma_f32 v3, -v3, v12, v10
	v_div_fmas_f32 v3, v3, v9, v12
	v_div_fixup_f32 v0, v3, v5, v0
	global_store_dwordx2 v[6:7], v[0:1], off
	v_accvgpr_read_b32 v0, a120
	ds_read_b32 v3, v0 offset:8448
	v_cvt_f32_f16_sdwa v1, v11 dst_sel:DWORD dst_unused:UNUSED_PAD src0_sel:WORD_1
	v_cvt_f32_f16_e32 v0, v11
	s_waitcnt lgkmcnt(0)
	v_cvt_f32_f16_sdwa v11, v3 dst_sel:DWORD dst_unused:UNUSED_PAD src0_sel:WORD_1
	v_cvt_f32_f16_e32 v10, v3
	v_pk_fma_f32 v[0:1], v[4:5], v[0:1], 0 op_sel_hi:[0,1,0]
	v_pk_fma_f32 v[0:1], v[8:9], v[10:11], v[0:1] op_sel_hi:[0,1,1]
	v_div_scale_f32 v3, s[48:49], v5, v5, v1
	v_rcp_f32_e32 v4, v3
	s_nop 0
	v_fma_f32 v8, -v3, v4, 1.0
	v_fmac_f32_e32 v4, v8, v4
	v_div_scale_f32 v8, vcc, v1, v5, v1
	v_mul_f32_e32 v9, v8, v4
	v_fma_f32 v10, -v3, v9, v8
	v_fmac_f32_e32 v9, v10, v4
	v_fma_f32 v3, -v3, v9, v8
	v_div_fmas_f32 v3, v3, v4, v9
	v_div_fixup_f32 v1, v3, v5, v1
	v_div_scale_f32 v3, s[48:49], v5, v5, v0
	v_rcp_f32_e32 v4, v3
	s_nop 0
	v_fma_f32 v8, -v3, v4, 1.0
	v_fmac_f32_e32 v4, v8, v4
	v_div_scale_f32 v8, vcc, v0, v5, v0
	v_mul_f32_e32 v9, v8, v4
	v_fma_f32 v10, -v3, v9, v8
	v_fmac_f32_e32 v9, v10, v4
	v_fma_f32 v3, -v3, v9, v8
	v_div_fmas_f32 v3, v3, v4, v9
	v_div_fixup_f32 v0, v3, v5, v0
	global_store_dwordx2 v[6:7], v[0:1], off offset:512
	v_mov_b32_e32 v1, 0
.LBB29_289:                             ;   in Loop: Header=BB29_14 Depth=1
	s_or_b64 exec, exec, s[46:47]
	s_movk_i32 s41, 0x47
	v_cmp_gt_i32_e32 vcc, s41, v1
	s_mov_b64 s[46:47], -1
	s_and_saveexec_b64 s[48:49], vcc
; %bb.290:                              ;   in Loop: Header=BB29_14 Depth=1
	v_cmp_eq_u32_e32 vcc, 0, v1
	s_orn2_b64 s[46:47], vcc, exec
; %bb.291:                              ;   in Loop: Header=BB29_14 Depth=1
	s_or_b64 exec, exec, s[48:49]
	s_and_b64 exec, exec, s[46:47]
	s_cbranch_execz .LBB29_12
; %bb.292:                              ;   in Loop: Header=BB29_14 Depth=1
	v_accvgpr_read_b32 v0, a37
	v_add_u32_e32 v0, v0, v84
	v_cmp_gt_i32_e32 vcc, s96, v0
	v_mov_b32_e32 v1, 0x47
	s_and_saveexec_b64 s[46:47], vcc
	s_cbranch_execz .LBB29_294
; %bb.293:                              ;   in Loop: Header=BB29_14 Depth=1
	v_accvgpr_read_b32 v1, a122
	v_add_u32_e32 v1, 0, v1
	ds_read2_b32 v[4:5], v1 offset0:128 offset1:129
	ds_read_b32 v8, v1 offset:8960
	v_accvgpr_read_b32 v1, a121
	ds_read2st64_b32 v[10:11], v1 offset1:1
	ds_read_b32 v3, v1 offset:8448
	v_readlane_b32 s41, v254, 56
	v_accvgpr_read_b32 v6, a192
	v_accvgpr_read_b32 v7, a193
	v_mad_u64_u32 v[0:1], s[48:49], s41, v0, v[146:147]
	v_ashrrev_i32_e32 v1, 31, v0
	v_lshl_add_u64 v[6:7], v[0:1], 3, v[6:7]
	s_waitcnt lgkmcnt(1)
	v_cvt_f32_f16_sdwa v1, v10 dst_sel:DWORD dst_unused:UNUSED_PAD src0_sel:WORD_1
	v_cvt_f32_f16_e32 v0, v10
	s_waitcnt lgkmcnt(0)
	v_cvt_f32_f16_sdwa v13, v3 dst_sel:DWORD dst_unused:UNUSED_PAD src0_sel:WORD_1
	v_cvt_f32_f16_e32 v12, v3
	v_pk_fma_f32 v[0:1], v[4:5], v[0:1], 0 op_sel_hi:[0,1,0]
	v_pk_fma_f32 v[0:1], v[8:9], v[12:13], v[0:1] op_sel_hi:[0,1,1]
	v_div_scale_f32 v3, s[48:49], v5, v5, v1
	v_rcp_f32_e32 v9, v3
	s_nop 0
	v_fma_f32 v10, -v3, v9, 1.0
	v_fmac_f32_e32 v9, v10, v9
	v_div_scale_f32 v10, vcc, v1, v5, v1
	v_mul_f32_e32 v12, v10, v9
	v_fma_f32 v13, -v3, v12, v10
	v_fmac_f32_e32 v12, v13, v9
	v_fma_f32 v3, -v3, v12, v10
	v_div_fmas_f32 v3, v3, v9, v12
	v_div_fixup_f32 v1, v3, v5, v1
	v_div_scale_f32 v3, s[48:49], v5, v5, v0
	v_rcp_f32_e32 v9, v3
	s_nop 0
	v_fma_f32 v10, -v3, v9, 1.0
	v_fmac_f32_e32 v9, v10, v9
	v_div_scale_f32 v10, vcc, v0, v5, v0
	v_mul_f32_e32 v12, v10, v9
	v_fma_f32 v13, -v3, v12, v10
	v_fmac_f32_e32 v12, v13, v9
	v_fma_f32 v3, -v3, v12, v10
	v_div_fmas_f32 v3, v3, v9, v12
	v_div_fixup_f32 v0, v3, v5, v0
	global_store_dwordx2 v[6:7], v[0:1], off
	v_accvgpr_read_b32 v0, a123
	ds_read_b32 v3, v0 offset:8448
	v_cvt_f32_f16_sdwa v1, v11 dst_sel:DWORD dst_unused:UNUSED_PAD src0_sel:WORD_1
	v_cvt_f32_f16_e32 v0, v11
	s_waitcnt lgkmcnt(0)
	v_cvt_f32_f16_sdwa v11, v3 dst_sel:DWORD dst_unused:UNUSED_PAD src0_sel:WORD_1
	v_cvt_f32_f16_e32 v10, v3
	v_pk_fma_f32 v[0:1], v[4:5], v[0:1], 0 op_sel_hi:[0,1,0]
	v_pk_fma_f32 v[0:1], v[8:9], v[10:11], v[0:1] op_sel_hi:[0,1,1]
	v_div_scale_f32 v3, s[48:49], v5, v5, v1
	v_rcp_f32_e32 v4, v3
	s_nop 0
	v_fma_f32 v8, -v3, v4, 1.0
	v_fmac_f32_e32 v4, v8, v4
	v_div_scale_f32 v8, vcc, v1, v5, v1
	v_mul_f32_e32 v9, v8, v4
	v_fma_f32 v10, -v3, v9, v8
	v_fmac_f32_e32 v9, v10, v4
	v_fma_f32 v3, -v3, v9, v8
	v_div_fmas_f32 v3, v3, v4, v9
	v_div_fixup_f32 v1, v3, v5, v1
	v_div_scale_f32 v3, s[48:49], v5, v5, v0
	v_rcp_f32_e32 v4, v3
	s_nop 0
	v_fma_f32 v8, -v3, v4, 1.0
	v_fmac_f32_e32 v4, v8, v4
	v_div_scale_f32 v8, vcc, v0, v5, v0
	v_mul_f32_e32 v9, v8, v4
	v_fma_f32 v10, -v3, v9, v8
	v_fmac_f32_e32 v9, v10, v4
	v_fma_f32 v3, -v3, v9, v8
	v_div_fmas_f32 v3, v3, v4, v9
	v_div_fixup_f32 v0, v3, v5, v0
	global_store_dwordx2 v[6:7], v[0:1], off offset:512
	v_mov_b32_e32 v1, 0
.LBB29_294:                             ;   in Loop: Header=BB29_14 Depth=1
	s_or_b64 exec, exec, s[46:47]
	s_movk_i32 s41, 0x47
	v_cmp_gt_i32_e32 vcc, s41, v1
	s_mov_b64 s[46:47], -1
	s_and_saveexec_b64 s[48:49], vcc
; %bb.295:                              ;   in Loop: Header=BB29_14 Depth=1
	v_cmp_eq_u32_e32 vcc, 0, v1
	s_orn2_b64 s[46:47], vcc, exec
; %bb.296:                              ;   in Loop: Header=BB29_14 Depth=1
	s_or_b64 exec, exec, s[48:49]
	s_and_b64 exec, exec, s[46:47]
	s_cbranch_execz .LBB29_12
; %bb.297:                              ;   in Loop: Header=BB29_14 Depth=1
	v_accvgpr_read_b32 v0, a38
	v_add_u32_e32 v0, v0, v84
	v_cmp_gt_i32_e32 vcc, s96, v0
	v_mov_b32_e32 v1, 0x47
	s_and_saveexec_b64 s[46:47], vcc
	s_cbranch_execz .LBB29_299
; %bb.298:                              ;   in Loop: Header=BB29_14 Depth=1
	v_accvgpr_read_b32 v1, a125
	v_add_u32_e32 v1, 0, v1
	ds_read2_b32 v[4:5], v1 offset0:128 offset1:129
	ds_read_b32 v8, v1 offset:8960
	v_accvgpr_read_b32 v1, a124
	ds_read2st64_b32 v[10:11], v1 offset1:1
	ds_read_b32 v3, v1 offset:8448
	v_readlane_b32 s41, v254, 56
	v_accvgpr_read_b32 v6, a192
	v_accvgpr_read_b32 v7, a193
	v_mad_u64_u32 v[0:1], s[48:49], s41, v0, v[146:147]
	v_ashrrev_i32_e32 v1, 31, v0
	v_lshl_add_u64 v[6:7], v[0:1], 3, v[6:7]
	s_waitcnt lgkmcnt(1)
	v_cvt_f32_f16_sdwa v1, v10 dst_sel:DWORD dst_unused:UNUSED_PAD src0_sel:WORD_1
	v_cvt_f32_f16_e32 v0, v10
	s_waitcnt lgkmcnt(0)
	v_cvt_f32_f16_sdwa v13, v3 dst_sel:DWORD dst_unused:UNUSED_PAD src0_sel:WORD_1
	v_cvt_f32_f16_e32 v12, v3
	v_pk_fma_f32 v[0:1], v[4:5], v[0:1], 0 op_sel_hi:[0,1,0]
	v_pk_fma_f32 v[0:1], v[8:9], v[12:13], v[0:1] op_sel_hi:[0,1,1]
	v_div_scale_f32 v3, s[48:49], v5, v5, v1
	v_rcp_f32_e32 v9, v3
	s_nop 0
	v_fma_f32 v10, -v3, v9, 1.0
	v_fmac_f32_e32 v9, v10, v9
	v_div_scale_f32 v10, vcc, v1, v5, v1
	v_mul_f32_e32 v12, v10, v9
	v_fma_f32 v13, -v3, v12, v10
	v_fmac_f32_e32 v12, v13, v9
	v_fma_f32 v3, -v3, v12, v10
	v_div_fmas_f32 v3, v3, v9, v12
	v_div_fixup_f32 v1, v3, v5, v1
	v_div_scale_f32 v3, s[48:49], v5, v5, v0
	v_rcp_f32_e32 v9, v3
	s_nop 0
	v_fma_f32 v10, -v3, v9, 1.0
	v_fmac_f32_e32 v9, v10, v9
	v_div_scale_f32 v10, vcc, v0, v5, v0
	v_mul_f32_e32 v12, v10, v9
	v_fma_f32 v13, -v3, v12, v10
	v_fmac_f32_e32 v12, v13, v9
	v_fma_f32 v3, -v3, v12, v10
	v_div_fmas_f32 v3, v3, v9, v12
	v_div_fixup_f32 v0, v3, v5, v0
	global_store_dwordx2 v[6:7], v[0:1], off
	v_accvgpr_read_b32 v0, a126
	ds_read_b32 v3, v0 offset:8448
	v_cvt_f32_f16_sdwa v1, v11 dst_sel:DWORD dst_unused:UNUSED_PAD src0_sel:WORD_1
	v_cvt_f32_f16_e32 v0, v11
	s_waitcnt lgkmcnt(0)
	v_cvt_f32_f16_sdwa v11, v3 dst_sel:DWORD dst_unused:UNUSED_PAD src0_sel:WORD_1
	v_cvt_f32_f16_e32 v10, v3
	v_pk_fma_f32 v[0:1], v[4:5], v[0:1], 0 op_sel_hi:[0,1,0]
	v_pk_fma_f32 v[0:1], v[8:9], v[10:11], v[0:1] op_sel_hi:[0,1,1]
	v_div_scale_f32 v3, s[48:49], v5, v5, v1
	v_rcp_f32_e32 v4, v3
	s_nop 0
	v_fma_f32 v8, -v3, v4, 1.0
	v_fmac_f32_e32 v4, v8, v4
	v_div_scale_f32 v8, vcc, v1, v5, v1
	v_mul_f32_e32 v9, v8, v4
	v_fma_f32 v10, -v3, v9, v8
	v_fmac_f32_e32 v9, v10, v4
	v_fma_f32 v3, -v3, v9, v8
	v_div_fmas_f32 v3, v3, v4, v9
	v_div_fixup_f32 v1, v3, v5, v1
	v_div_scale_f32 v3, s[48:49], v5, v5, v0
	v_rcp_f32_e32 v4, v3
	s_nop 0
	v_fma_f32 v8, -v3, v4, 1.0
	v_fmac_f32_e32 v4, v8, v4
	v_div_scale_f32 v8, vcc, v0, v5, v0
	v_mul_f32_e32 v9, v8, v4
	v_fma_f32 v10, -v3, v9, v8
	v_fmac_f32_e32 v9, v10, v4
	v_fma_f32 v3, -v3, v9, v8
	v_div_fmas_f32 v3, v3, v4, v9
	v_div_fixup_f32 v0, v3, v5, v0
	global_store_dwordx2 v[6:7], v[0:1], off offset:512
	v_mov_b32_e32 v1, 0
.LBB29_299:                             ;   in Loop: Header=BB29_14 Depth=1
	s_or_b64 exec, exec, s[46:47]
	s_movk_i32 s41, 0x47
	v_cmp_gt_i32_e32 vcc, s41, v1
	s_mov_b64 s[46:47], -1
	s_and_saveexec_b64 s[48:49], vcc
; %bb.300:                              ;   in Loop: Header=BB29_14 Depth=1
	v_cmp_eq_u32_e32 vcc, 0, v1
	s_orn2_b64 s[46:47], vcc, exec
; %bb.301:                              ;   in Loop: Header=BB29_14 Depth=1
	s_or_b64 exec, exec, s[48:49]
	s_and_b64 exec, exec, s[46:47]
	s_cbranch_execz .LBB29_12
; %bb.302:                              ;   in Loop: Header=BB29_14 Depth=1
	v_accvgpr_read_b32 v0, a39
	v_add_u32_e32 v0, v0, v84
	v_cmp_gt_i32_e32 vcc, s96, v0
	v_mov_b32_e32 v1, 0x47
	s_and_saveexec_b64 s[46:47], vcc
	s_cbranch_execz .LBB29_304
; %bb.303:                              ;   in Loop: Header=BB29_14 Depth=1
	v_accvgpr_read_b32 v1, a128
	v_add_u32_e32 v1, 0, v1
	ds_read2_b32 v[4:5], v1 offset0:128 offset1:129
	ds_read_b32 v8, v1 offset:8960
	v_accvgpr_read_b32 v1, a127
	ds_read2st64_b32 v[10:11], v1 offset1:1
	ds_read_b32 v3, v1 offset:8448
	v_readlane_b32 s41, v254, 56
	v_accvgpr_read_b32 v6, a192
	v_accvgpr_read_b32 v7, a193
	v_mad_u64_u32 v[0:1], s[48:49], s41, v0, v[146:147]
	v_ashrrev_i32_e32 v1, 31, v0
	v_lshl_add_u64 v[6:7], v[0:1], 3, v[6:7]
	s_waitcnt lgkmcnt(1)
	v_cvt_f32_f16_sdwa v1, v10 dst_sel:DWORD dst_unused:UNUSED_PAD src0_sel:WORD_1
	v_cvt_f32_f16_e32 v0, v10
	s_waitcnt lgkmcnt(0)
	v_cvt_f32_f16_sdwa v13, v3 dst_sel:DWORD dst_unused:UNUSED_PAD src0_sel:WORD_1
	v_cvt_f32_f16_e32 v12, v3
	v_pk_fma_f32 v[0:1], v[4:5], v[0:1], 0 op_sel_hi:[0,1,0]
	v_pk_fma_f32 v[0:1], v[8:9], v[12:13], v[0:1] op_sel_hi:[0,1,1]
	v_div_scale_f32 v3, s[48:49], v5, v5, v1
	v_rcp_f32_e32 v9, v3
	s_nop 0
	v_fma_f32 v10, -v3, v9, 1.0
	v_fmac_f32_e32 v9, v10, v9
	v_div_scale_f32 v10, vcc, v1, v5, v1
	v_mul_f32_e32 v12, v10, v9
	v_fma_f32 v13, -v3, v12, v10
	v_fmac_f32_e32 v12, v13, v9
	v_fma_f32 v3, -v3, v12, v10
	v_div_fmas_f32 v3, v3, v9, v12
	v_div_fixup_f32 v1, v3, v5, v1
	v_div_scale_f32 v3, s[48:49], v5, v5, v0
	v_rcp_f32_e32 v9, v3
	s_nop 0
	v_fma_f32 v10, -v3, v9, 1.0
	v_fmac_f32_e32 v9, v10, v9
	v_div_scale_f32 v10, vcc, v0, v5, v0
	v_mul_f32_e32 v12, v10, v9
	v_fma_f32 v13, -v3, v12, v10
	v_fmac_f32_e32 v12, v13, v9
	v_fma_f32 v3, -v3, v12, v10
	v_div_fmas_f32 v3, v3, v9, v12
	v_div_fixup_f32 v0, v3, v5, v0
	global_store_dwordx2 v[6:7], v[0:1], off
	v_accvgpr_read_b32 v0, a129
	ds_read_b32 v3, v0 offset:8448
	v_cvt_f32_f16_sdwa v1, v11 dst_sel:DWORD dst_unused:UNUSED_PAD src0_sel:WORD_1
	v_cvt_f32_f16_e32 v0, v11
	s_waitcnt lgkmcnt(0)
	v_cvt_f32_f16_sdwa v11, v3 dst_sel:DWORD dst_unused:UNUSED_PAD src0_sel:WORD_1
	v_cvt_f32_f16_e32 v10, v3
	v_pk_fma_f32 v[0:1], v[4:5], v[0:1], 0 op_sel_hi:[0,1,0]
	v_pk_fma_f32 v[0:1], v[8:9], v[10:11], v[0:1] op_sel_hi:[0,1,1]
	v_div_scale_f32 v3, s[48:49], v5, v5, v1
	v_rcp_f32_e32 v4, v3
	s_nop 0
	v_fma_f32 v8, -v3, v4, 1.0
	v_fmac_f32_e32 v4, v8, v4
	v_div_scale_f32 v8, vcc, v1, v5, v1
	v_mul_f32_e32 v9, v8, v4
	v_fma_f32 v10, -v3, v9, v8
	v_fmac_f32_e32 v9, v10, v4
	v_fma_f32 v3, -v3, v9, v8
	v_div_fmas_f32 v3, v3, v4, v9
	v_div_fixup_f32 v1, v3, v5, v1
	v_div_scale_f32 v3, s[48:49], v5, v5, v0
	v_rcp_f32_e32 v4, v3
	s_nop 0
	v_fma_f32 v8, -v3, v4, 1.0
	v_fmac_f32_e32 v4, v8, v4
	v_div_scale_f32 v8, vcc, v0, v5, v0
	v_mul_f32_e32 v9, v8, v4
	v_fma_f32 v10, -v3, v9, v8
	v_fmac_f32_e32 v9, v10, v4
	v_fma_f32 v3, -v3, v9, v8
	v_div_fmas_f32 v3, v3, v4, v9
	v_div_fixup_f32 v0, v3, v5, v0
	global_store_dwordx2 v[6:7], v[0:1], off offset:512
	v_mov_b32_e32 v1, 0
.LBB29_304:                             ;   in Loop: Header=BB29_14 Depth=1
	s_or_b64 exec, exec, s[46:47]
	s_movk_i32 s41, 0x47
	v_cmp_gt_i32_e32 vcc, s41, v1
	s_mov_b64 s[46:47], -1
	s_and_saveexec_b64 s[48:49], vcc
; %bb.305:                              ;   in Loop: Header=BB29_14 Depth=1
	v_cmp_eq_u32_e32 vcc, 0, v1
	s_orn2_b64 s[46:47], vcc, exec
; %bb.306:                              ;   in Loop: Header=BB29_14 Depth=1
	s_or_b64 exec, exec, s[48:49]
	s_and_b64 exec, exec, s[46:47]
	s_cbranch_execz .LBB29_12
; %bb.307:                              ;   in Loop: Header=BB29_14 Depth=1
	v_accvgpr_read_b32 v0, a40
	v_add_u32_e32 v0, v0, v84
	v_cmp_gt_i32_e32 vcc, s96, v0
	v_mov_b32_e32 v1, 0x47
	s_and_saveexec_b64 s[46:47], vcc
	s_cbranch_execz .LBB29_309
; %bb.308:                              ;   in Loop: Header=BB29_14 Depth=1
	v_accvgpr_read_b32 v1, a131
	v_add_u32_e32 v1, 0, v1
	ds_read2_b32 v[4:5], v1 offset0:128 offset1:129
	ds_read_b32 v8, v1 offset:8960
	v_accvgpr_read_b32 v1, a130
	ds_read2st64_b32 v[10:11], v1 offset1:1
	ds_read_b32 v3, v1 offset:8448
	v_readlane_b32 s41, v254, 56
	v_accvgpr_read_b32 v6, a192
	v_accvgpr_read_b32 v7, a193
	v_mad_u64_u32 v[0:1], s[48:49], s41, v0, v[146:147]
	v_ashrrev_i32_e32 v1, 31, v0
	v_lshl_add_u64 v[6:7], v[0:1], 3, v[6:7]
	s_waitcnt lgkmcnt(1)
	v_cvt_f32_f16_sdwa v1, v10 dst_sel:DWORD dst_unused:UNUSED_PAD src0_sel:WORD_1
	v_cvt_f32_f16_e32 v0, v10
	s_waitcnt lgkmcnt(0)
	v_cvt_f32_f16_sdwa v13, v3 dst_sel:DWORD dst_unused:UNUSED_PAD src0_sel:WORD_1
	v_cvt_f32_f16_e32 v12, v3
	v_pk_fma_f32 v[0:1], v[4:5], v[0:1], 0 op_sel_hi:[0,1,0]
	v_pk_fma_f32 v[0:1], v[8:9], v[12:13], v[0:1] op_sel_hi:[0,1,1]
	v_div_scale_f32 v3, s[48:49], v5, v5, v1
	v_rcp_f32_e32 v9, v3
	s_nop 0
	v_fma_f32 v10, -v3, v9, 1.0
	v_fmac_f32_e32 v9, v10, v9
	v_div_scale_f32 v10, vcc, v1, v5, v1
	v_mul_f32_e32 v12, v10, v9
	v_fma_f32 v13, -v3, v12, v10
	v_fmac_f32_e32 v12, v13, v9
	v_fma_f32 v3, -v3, v12, v10
	v_div_fmas_f32 v3, v3, v9, v12
	v_div_fixup_f32 v1, v3, v5, v1
	v_div_scale_f32 v3, s[48:49], v5, v5, v0
	v_rcp_f32_e32 v9, v3
	s_nop 0
	v_fma_f32 v10, -v3, v9, 1.0
	v_fmac_f32_e32 v9, v10, v9
	v_div_scale_f32 v10, vcc, v0, v5, v0
	v_mul_f32_e32 v12, v10, v9
	v_fma_f32 v13, -v3, v12, v10
	v_fmac_f32_e32 v12, v13, v9
	v_fma_f32 v3, -v3, v12, v10
	v_div_fmas_f32 v3, v3, v9, v12
	v_div_fixup_f32 v0, v3, v5, v0
	global_store_dwordx2 v[6:7], v[0:1], off
	v_accvgpr_read_b32 v0, a132
	ds_read_b32 v3, v0 offset:8448
	v_cvt_f32_f16_sdwa v1, v11 dst_sel:DWORD dst_unused:UNUSED_PAD src0_sel:WORD_1
	v_cvt_f32_f16_e32 v0, v11
	s_waitcnt lgkmcnt(0)
	v_cvt_f32_f16_sdwa v11, v3 dst_sel:DWORD dst_unused:UNUSED_PAD src0_sel:WORD_1
	v_cvt_f32_f16_e32 v10, v3
	v_pk_fma_f32 v[0:1], v[4:5], v[0:1], 0 op_sel_hi:[0,1,0]
	v_pk_fma_f32 v[0:1], v[8:9], v[10:11], v[0:1] op_sel_hi:[0,1,1]
	v_div_scale_f32 v3, s[48:49], v5, v5, v1
	v_rcp_f32_e32 v4, v3
	s_nop 0
	v_fma_f32 v8, -v3, v4, 1.0
	v_fmac_f32_e32 v4, v8, v4
	v_div_scale_f32 v8, vcc, v1, v5, v1
	v_mul_f32_e32 v9, v8, v4
	v_fma_f32 v10, -v3, v9, v8
	v_fmac_f32_e32 v9, v10, v4
	v_fma_f32 v3, -v3, v9, v8
	v_div_fmas_f32 v3, v3, v4, v9
	v_div_fixup_f32 v1, v3, v5, v1
	v_div_scale_f32 v3, s[48:49], v5, v5, v0
	v_rcp_f32_e32 v4, v3
	s_nop 0
	v_fma_f32 v8, -v3, v4, 1.0
	v_fmac_f32_e32 v4, v8, v4
	v_div_scale_f32 v8, vcc, v0, v5, v0
	v_mul_f32_e32 v9, v8, v4
	v_fma_f32 v10, -v3, v9, v8
	v_fmac_f32_e32 v9, v10, v4
	v_fma_f32 v3, -v3, v9, v8
	v_div_fmas_f32 v3, v3, v4, v9
	v_div_fixup_f32 v0, v3, v5, v0
	global_store_dwordx2 v[6:7], v[0:1], off offset:512
	v_mov_b32_e32 v1, 0
.LBB29_309:                             ;   in Loop: Header=BB29_14 Depth=1
	s_or_b64 exec, exec, s[46:47]
	s_movk_i32 s41, 0x47
	v_cmp_gt_i32_e32 vcc, s41, v1
	s_mov_b64 s[46:47], -1
	s_and_saveexec_b64 s[48:49], vcc
; %bb.310:                              ;   in Loop: Header=BB29_14 Depth=1
	v_cmp_eq_u32_e32 vcc, 0, v1
	s_orn2_b64 s[46:47], vcc, exec
; %bb.311:                              ;   in Loop: Header=BB29_14 Depth=1
	s_or_b64 exec, exec, s[48:49]
	s_and_b64 exec, exec, s[46:47]
	s_cbranch_execz .LBB29_12
; %bb.312:                              ;   in Loop: Header=BB29_14 Depth=1
	v_accvgpr_read_b32 v0, a41
	v_add_u32_e32 v0, v0, v84
	v_cmp_gt_i32_e32 vcc, s96, v0
	v_mov_b32_e32 v1, 0x47
	s_and_saveexec_b64 s[46:47], vcc
	s_cbranch_execz .LBB29_314
; %bb.313:                              ;   in Loop: Header=BB29_14 Depth=1
	v_accvgpr_read_b32 v1, a134
	v_add_u32_e32 v1, 0, v1
	ds_read2_b32 v[4:5], v1 offset0:128 offset1:129
	ds_read_b32 v8, v1 offset:8960
	v_accvgpr_read_b32 v1, a133
	ds_read2st64_b32 v[10:11], v1 offset1:1
	ds_read_b32 v3, v1 offset:8448
	v_readlane_b32 s41, v254, 56
	v_accvgpr_read_b32 v6, a192
	v_accvgpr_read_b32 v7, a193
	v_mad_u64_u32 v[0:1], s[48:49], s41, v0, v[146:147]
	v_ashrrev_i32_e32 v1, 31, v0
	v_lshl_add_u64 v[6:7], v[0:1], 3, v[6:7]
	s_waitcnt lgkmcnt(1)
	v_cvt_f32_f16_sdwa v1, v10 dst_sel:DWORD dst_unused:UNUSED_PAD src0_sel:WORD_1
	v_cvt_f32_f16_e32 v0, v10
	s_waitcnt lgkmcnt(0)
	v_cvt_f32_f16_sdwa v13, v3 dst_sel:DWORD dst_unused:UNUSED_PAD src0_sel:WORD_1
	v_cvt_f32_f16_e32 v12, v3
	v_pk_fma_f32 v[0:1], v[4:5], v[0:1], 0 op_sel_hi:[0,1,0]
	v_pk_fma_f32 v[0:1], v[8:9], v[12:13], v[0:1] op_sel_hi:[0,1,1]
	v_div_scale_f32 v3, s[48:49], v5, v5, v1
	v_rcp_f32_e32 v9, v3
	s_nop 0
	v_fma_f32 v10, -v3, v9, 1.0
	v_fmac_f32_e32 v9, v10, v9
	v_div_scale_f32 v10, vcc, v1, v5, v1
	v_mul_f32_e32 v12, v10, v9
	v_fma_f32 v13, -v3, v12, v10
	v_fmac_f32_e32 v12, v13, v9
	v_fma_f32 v3, -v3, v12, v10
	v_div_fmas_f32 v3, v3, v9, v12
	v_div_fixup_f32 v1, v3, v5, v1
	v_div_scale_f32 v3, s[48:49], v5, v5, v0
	v_rcp_f32_e32 v9, v3
	s_nop 0
	v_fma_f32 v10, -v3, v9, 1.0
	v_fmac_f32_e32 v9, v10, v9
	v_div_scale_f32 v10, vcc, v0, v5, v0
	v_mul_f32_e32 v12, v10, v9
	v_fma_f32 v13, -v3, v12, v10
	v_fmac_f32_e32 v12, v13, v9
	v_fma_f32 v3, -v3, v12, v10
	v_div_fmas_f32 v3, v3, v9, v12
	v_div_fixup_f32 v0, v3, v5, v0
	global_store_dwordx2 v[6:7], v[0:1], off
	v_accvgpr_read_b32 v0, a135
	ds_read_b32 v3, v0 offset:8448
	v_cvt_f32_f16_sdwa v1, v11 dst_sel:DWORD dst_unused:UNUSED_PAD src0_sel:WORD_1
	v_cvt_f32_f16_e32 v0, v11
	s_waitcnt lgkmcnt(0)
	v_cvt_f32_f16_sdwa v11, v3 dst_sel:DWORD dst_unused:UNUSED_PAD src0_sel:WORD_1
	v_cvt_f32_f16_e32 v10, v3
	v_pk_fma_f32 v[0:1], v[4:5], v[0:1], 0 op_sel_hi:[0,1,0]
	v_pk_fma_f32 v[0:1], v[8:9], v[10:11], v[0:1] op_sel_hi:[0,1,1]
	v_div_scale_f32 v3, s[48:49], v5, v5, v1
	v_rcp_f32_e32 v4, v3
	s_nop 0
	v_fma_f32 v8, -v3, v4, 1.0
	v_fmac_f32_e32 v4, v8, v4
	v_div_scale_f32 v8, vcc, v1, v5, v1
	v_mul_f32_e32 v9, v8, v4
	v_fma_f32 v10, -v3, v9, v8
	v_fmac_f32_e32 v9, v10, v4
	v_fma_f32 v3, -v3, v9, v8
	v_div_fmas_f32 v3, v3, v4, v9
	v_div_fixup_f32 v1, v3, v5, v1
	v_div_scale_f32 v3, s[48:49], v5, v5, v0
	v_rcp_f32_e32 v4, v3
	s_nop 0
	v_fma_f32 v8, -v3, v4, 1.0
	v_fmac_f32_e32 v4, v8, v4
	v_div_scale_f32 v8, vcc, v0, v5, v0
	v_mul_f32_e32 v9, v8, v4
	v_fma_f32 v10, -v3, v9, v8
	v_fmac_f32_e32 v9, v10, v4
	v_fma_f32 v3, -v3, v9, v8
	v_div_fmas_f32 v3, v3, v4, v9
	v_div_fixup_f32 v0, v3, v5, v0
	global_store_dwordx2 v[6:7], v[0:1], off offset:512
	v_mov_b32_e32 v1, 0
.LBB29_314:                             ;   in Loop: Header=BB29_14 Depth=1
	s_or_b64 exec, exec, s[46:47]
	s_movk_i32 s41, 0x47
	v_cmp_gt_i32_e32 vcc, s41, v1
	s_mov_b64 s[46:47], -1
	s_and_saveexec_b64 s[48:49], vcc
; %bb.315:                              ;   in Loop: Header=BB29_14 Depth=1
	v_cmp_eq_u32_e32 vcc, 0, v1
	s_orn2_b64 s[46:47], vcc, exec
; %bb.316:                              ;   in Loop: Header=BB29_14 Depth=1
	s_or_b64 exec, exec, s[48:49]
	s_and_b64 exec, exec, s[46:47]
	s_cbranch_execz .LBB29_12
; %bb.317:                              ;   in Loop: Header=BB29_14 Depth=1
	v_accvgpr_read_b32 v0, a42
	v_add_u32_e32 v0, v0, v84
	v_cmp_gt_i32_e32 vcc, s96, v0
	s_and_b64 exec, exec, vcc
	s_cbranch_execz .LBB29_12
; %bb.318:                              ;   in Loop: Header=BB29_14 Depth=1
	v_accvgpr_read_b32 v1, a136
	v_add_u32_e32 v1, 0, v1
	ds_read2_b32 v[4:5], v1 offset0:128 offset1:129
	ds_read_b32 v8, v1 offset:8960
	v_accvgpr_read_b32 v1, a137
	ds_read2st64_b32 v[10:11], v1 offset1:1
	ds_read_b32 v3, v1 offset:8448
	v_readlane_b32 s41, v254, 56
	v_accvgpr_read_b32 v6, a192
	v_accvgpr_read_b32 v7, a193
	v_mad_u64_u32 v[0:1], s[46:47], s41, v0, v[146:147]
	v_ashrrev_i32_e32 v1, 31, v0
	v_lshl_add_u64 v[6:7], v[0:1], 3, v[6:7]
	s_waitcnt lgkmcnt(1)
	v_cvt_f32_f16_sdwa v1, v10 dst_sel:DWORD dst_unused:UNUSED_PAD src0_sel:WORD_1
	v_cvt_f32_f16_e32 v0, v10
	s_waitcnt lgkmcnt(0)
	v_cvt_f32_f16_sdwa v13, v3 dst_sel:DWORD dst_unused:UNUSED_PAD src0_sel:WORD_1
	v_cvt_f32_f16_e32 v12, v3
	v_pk_fma_f32 v[0:1], v[4:5], v[0:1], 0 op_sel_hi:[0,1,0]
	v_pk_fma_f32 v[0:1], v[8:9], v[12:13], v[0:1] op_sel_hi:[0,1,1]
	v_div_scale_f32 v3, s[46:47], v5, v5, v1
	v_rcp_f32_e32 v9, v3
	s_nop 0
	v_fma_f32 v10, -v3, v9, 1.0
	v_fmac_f32_e32 v9, v10, v9
	v_div_scale_f32 v10, vcc, v1, v5, v1
	v_mul_f32_e32 v12, v10, v9
	v_fma_f32 v13, -v3, v12, v10
	v_fmac_f32_e32 v12, v13, v9
	v_fma_f32 v3, -v3, v12, v10
	v_div_fmas_f32 v3, v3, v9, v12
	v_div_fixup_f32 v1, v3, v5, v1
	v_div_scale_f32 v3, s[46:47], v5, v5, v0
	v_rcp_f32_e32 v9, v3
	s_nop 0
	v_fma_f32 v10, -v3, v9, 1.0
	v_fmac_f32_e32 v9, v10, v9
	v_div_scale_f32 v10, vcc, v0, v5, v0
	v_mul_f32_e32 v12, v10, v9
	v_fma_f32 v13, -v3, v12, v10
	v_fmac_f32_e32 v12, v13, v9
	v_fma_f32 v3, -v3, v12, v10
	v_div_fmas_f32 v3, v3, v9, v12
	v_div_fixup_f32 v0, v3, v5, v0
	global_store_dwordx2 v[6:7], v[0:1], off
	v_accvgpr_read_b32 v0, a138
	ds_read_b32 v3, v0 offset:8448
	v_cvt_f32_f16_sdwa v1, v11 dst_sel:DWORD dst_unused:UNUSED_PAD src0_sel:WORD_1
	v_cvt_f32_f16_e32 v0, v11
	s_waitcnt lgkmcnt(0)
	v_cvt_f32_f16_sdwa v11, v3 dst_sel:DWORD dst_unused:UNUSED_PAD src0_sel:WORD_1
	v_cvt_f32_f16_e32 v10, v3
	v_pk_fma_f32 v[0:1], v[4:5], v[0:1], 0 op_sel_hi:[0,1,0]
	v_pk_fma_f32 v[0:1], v[8:9], v[10:11], v[0:1] op_sel_hi:[0,1,1]
	v_div_scale_f32 v3, s[46:47], v5, v5, v1
	v_rcp_f32_e32 v4, v3
	s_nop 0
	v_fma_f32 v8, -v3, v4, 1.0
	v_fmac_f32_e32 v4, v8, v4
	v_div_scale_f32 v8, vcc, v1, v5, v1
	v_mul_f32_e32 v9, v8, v4
	v_fma_f32 v10, -v3, v9, v8
	v_fmac_f32_e32 v9, v10, v4
	v_fma_f32 v3, -v3, v9, v8
	v_div_fmas_f32 v3, v3, v4, v9
	v_div_fixup_f32 v1, v3, v5, v1
	v_div_scale_f32 v3, s[46:47], v5, v5, v0
	v_rcp_f32_e32 v4, v3
	s_nop 0
	v_fma_f32 v8, -v3, v4, 1.0
	v_fmac_f32_e32 v4, v8, v4
	v_div_scale_f32 v8, vcc, v0, v5, v0
	v_mul_f32_e32 v9, v8, v4
	v_fma_f32 v10, -v3, v9, v8
	v_fmac_f32_e32 v9, v10, v4
	v_fma_f32 v3, -v3, v9, v8
	v_div_fmas_f32 v3, v3, v4, v9
	v_div_fixup_f32 v0, v3, v5, v0
	global_store_dwordx2 v[6:7], v[0:1], off offset:512
	s_branch .LBB29_12
.LBB29_319:
	v_readlane_b32 s16, v254, 22
	v_readlane_b32 s48, v254, 50
	;; [unrolled: 1-line block ×17, first 2 shown]
	v_accvgpr_read_b32 v126, a9
	v_accvgpr_read_b32 v124, a10
	v_accvgpr_read_b32 v122, a11
	v_accvgpr_read_b32 v19, a12
	v_readlane_b32 s24, v254, 30
	v_readlane_b32 s25, v254, 31
	;; [unrolled: 1-line block ×7, first 2 shown]
	s_andn2_b64 vcc, exec, s[44:45]
	s_cbranch_vccnz .LBB29_10
.LBB29_320:
	v_readlane_b32 s9, v254, 7
	s_abs_i32 s0, s9
	v_cvt_f32_u32_e32 v0, s0
	s_sub_i32 s5, 0, s0
	s_abs_i32 s4, s42
	s_xor_b32 s1, s42, s9
	v_rcp_iflag_f32_e32 v0, v0
	s_ashr_i32 s1, s1, 31
	v_readlane_b32 s10, v254, 6
	v_readlane_b32 s11, v254, 3
	v_mul_f32_e32 v0, 0x4f7ffffe, v0
	v_cvt_u32_f32_e32 v0, v0
	s_nop 0
	v_readfirstlane_b32 s6, v0
	s_mul_i32 s5, s5, s6
	s_mul_hi_u32 s5, s6, s5
	s_add_i32 s6, s6, s5
	s_mul_hi_u32 s5, s4, s6
	s_mul_i32 s6, s5, s0
	s_sub_i32 s4, s4, s6
	s_add_i32 s7, s5, 1
	s_sub_i32 s6, s4, s0
	s_cmp_ge_u32 s4, s0
	s_cselect_b32 s5, s7, s5
	s_cselect_b32 s4, s6, s4
	s_add_i32 s6, s5, 1
	s_cmp_ge_u32 s4, s0
	s_cselect_b32 s0, s6, s5
	s_abs_i32 s4, s10
	v_cvt_f32_u32_e32 v0, s4
	s_xor_b32 s0, s0, s1
	s_sub_i32 s5, 0, s4
	s_sub_i32 s8, s0, s1
	v_rcp_iflag_f32_e32 v0, v0
	s_mul_i32 s0, s8, s9
	s_sub_i32 s0, s42, s0
	s_abs_i32 s6, s0
	v_mul_f32_e32 v0, 0x4f7ffffe, v0
	v_cvt_u32_f32_e32 v0, v0
	s_xor_b32 s1, s0, s10
	s_ashr_i32 s1, s1, 31
	s_mov_b64 s[42:43], 0
	v_readfirstlane_b32 s7, v0
	s_mul_i32 s5, s5, s7
	s_mul_hi_u32 s5, s7, s5
	s_add_i32 s7, s7, s5
	s_mul_hi_u32 s5, s6, s7
	s_mul_i32 s7, s5, s4
	s_sub_i32 s6, s6, s7
	s_add_i32 s9, s5, 1
	s_sub_i32 s7, s6, s4
	s_cmp_ge_u32 s6, s4
	s_cselect_b32 s5, s9, s5
	s_cselect_b32 s6, s7, s6
	s_add_i32 s7, s5, 1
	s_cmp_ge_u32 s6, s4
	s_cselect_b32 s4, s7, s5
	s_abs_i32 s5, s11
	v_cvt_f32_u32_e32 v0, s5
	s_xor_b32 s4, s4, s1
	s_sub_i32 s6, 0, s5
	s_sub_i32 s9, s4, s1
	v_rcp_iflag_f32_e32 v0, v0
	s_mul_i32 s1, s9, s10
	s_sub_i32 s1, s0, s1
	s_abs_i32 s4, s1
	v_mul_f32_e32 v0, 0x4f7ffffe, v0
	v_cvt_u32_f32_e32 v0, v0
	s_xor_b32 s0, s1, s11
	s_ashr_i32 s0, s0, 31
	v_readfirstlane_b32 s7, v0
	s_mul_i32 s6, s6, s7
	s_mul_hi_u32 s6, s7, s6
	s_add_i32 s7, s7, s6
	s_mul_hi_u32 s6, s4, s7
	s_mul_i32 s7, s6, s5
	s_sub_i32 s4, s4, s7
	s_add_i32 s10, s6, 1
	s_sub_i32 s7, s4, s5
	s_cmp_ge_u32 s4, s5
	s_cselect_b32 s6, s10, s6
	s_cselect_b32 s4, s7, s4
	s_add_i32 s7, s6, 1
	s_cmp_ge_u32 s4, s5
	s_cselect_b32 s4, s7, s6
	s_xor_b32 s4, s4, s0
	s_sub_i32 s0, s4, s0
	s_mul_i32 s4, s0, s11
	s_sub_i32 s1, s1, s4
	s_abs_i32 s12, s1
	s_ashr_i32 s10, s8, 31
	s_mul_hi_u32 s11, s12, s88
	s_cmp_eq_u64 s[22:23], 0
	s_cbranch_scc1 .LBB29_322
; %bb.321:
	s_abs_i32 s4, s14
	v_cvt_f32_u32_e32 v0, s4
	s_sub_i32 s6, 0, s4
	s_abs_i32 s5, s8
	v_readlane_b32 s14, v254, 13
	v_rcp_iflag_f32_e32 v0, v0
	v_readlane_b32 s15, v254, 14
	v_mul_f32_e32 v0, 0x4f7ffffe, v0
	v_cvt_u32_f32_e32 v0, v0
	s_nop 0
	v_readfirstlane_b32 s7, v0
	s_mul_i32 s6, s6, s7
	s_mul_hi_u32 s6, s7, s6
	s_add_i32 s7, s7, s6
	s_mul_hi_u32 s6, s5, s7
	s_mul_i32 s6, s6, s4
	s_sub_i32 s5, s5, s6
	s_sub_i32 s6, s5, s4
	s_cmp_ge_u32 s5, s4
	s_cselect_b32 s5, s6, s5
	s_sub_i32 s6, s5, s4
	s_cmp_ge_u32 s5, s4
	s_cselect_b32 s4, s6, s5
	s_xor_b32 s4, s4, s10
	s_sub_i32 s4, s4, s10
	s_ashr_i32 s5, s4, 31
	s_mul_i32 s6, s4, s15
	s_mul_hi_u32 s7, s4, s14
	s_add_i32 s6, s7, s6
	s_mul_i32 s5, s5, s14
	s_add_i32 s6, s6, s5
	s_mul_i32 s4, s4, s14
	s_add_u32 s42, s22, s4
	s_addc_u32 s43, s23, s6
.LBB29_322:
	s_ashr_i32 s14, s1, 31
	v_readlane_b32 s1, v254, 2
	s_mul_i32 s13, s9, s1
	s_add_i32 s13, s13, s0
	v_cmp_le_f32_e64 s[0:1], s49, 0
	s_and_b64 vcc, exec, s[0:1]
	v_mov_b32_e32 v44, 1.0
	s_cbranch_vccnz .LBB29_324
; %bb.323:
	v_readlane_b32 s1, v254, 10
	s_sub_i32 s0, s13, s1
	s_lshl_b32 s0, s0, 1
	s_add_i32 s4, s13, 1
	s_or_b32 s5, s0, 1
	s_cmp_lt_u32 s13, s1
	s_cselect_b64 vcc, -1, 0
	s_and_b64 s[0:1], vcc, exec
	v_mov_b32_e32 v0, s51
	v_mov_b32_e32 v1, s50
	s_cselect_b32 s0, s4, s5
	v_cndmask_b32_e32 v16, v0, v1, vcc
	v_cvt_f32_i32_e32 v0, s0
	v_cmp_neq_f32_e32 vcc, 1.0, v16
	s_mov_b32 s0, 0x3f2aaaab
	s_movk_i32 s4, 0x204
	v_cndmask_b32_e32 v17, 1.0, v0, vcc
	v_cmp_eq_f32_e32 vcc, 0, v17
	s_mov_b32 s6, 0x42b17218
	s_mov_b32 s5, 0x7f800000
	v_cndmask_b32_e64 v18, |v16|, 1.0, vcc
	v_frexp_mant_f32_e32 v0, v18
	v_cmp_gt_f32_e64 s[0:1], s0, v0
	s_brev_b32 s15, -2
	s_nop 0
	v_cndmask_b32_e64 v1, 1.0, 2.0, s[0:1]
	v_mul_f32_e32 v0, v0, v1
	v_add_f32_e32 v3, 1.0, v0
	v_rcp_f32_e32 v8, v3
	v_add_f32_e32 v1, -1.0, v3
	v_sub_f32_e32 v5, v0, v1
	v_add_f32_e32 v1, -1.0, v0
	v_mul_f32_e32 v9, v1, v8
	v_mul_f32_e32 v2, v3, v9
	v_fma_f32 v4, v9, v3, -v2
	v_fmac_f32_e32 v4, v9, v5
	v_add_f32_e32 v0, v2, v4
	v_sub_f32_e32 v3, v1, v0
	v_pk_add_f32 v[6:7], v[0:1], v[2:3] neg_lo:[0,1] neg_hi:[0,1]
	v_mov_b32_e32 v5, v0
	v_pk_add_f32 v[0:1], v[6:7], v[4:5] neg_lo:[0,1] neg_hi:[0,1]
	v_mov_b32_e32 v4, 0x3e91f4c4
	v_add_f32_e32 v0, v0, v1
	v_add_f32_e32 v0, v3, v0
	v_mul_f32_e32 v1, v8, v0
	v_add_f32_e32 v0, v9, v1
	v_sub_f32_e32 v2, v0, v9
	v_sub_f32_e32 v10, v1, v2
	v_mul_f32_e32 v1, v0, v0
	v_fma_f32 v3, v0, v0, -v1
	v_add_f32_e32 v2, v10, v10
	v_fmac_f32_e32 v3, v0, v2
	v_add_f32_e32 v2, v1, v3
	v_fmac_f32_e32 v4, 0x3e76c4e1, v2
	v_fmaak_f32 v4, v2, v4, 0x3ecccdef
	v_sub_f32_e32 v1, v2, v1
	v_sub_f32_e32 v11, v3, v1
	v_mul_f32_e32 v1, v2, v4
	v_fma_f32 v3, v2, v4, -v1
	v_fmac_f32_e32 v3, v11, v4
	v_add_f32_e32 v4, v1, v3
	v_add_f32_e32 v5, 0x3f2aaaaa, v4
	v_sub_f32_e32 v1, v4, v1
	v_sub_f32_e32 v1, v3, v1
	v_add_f32_e32 v3, 0xbf2aaaaa, v5
	v_add_f32_e32 v1, 0x31739010, v1
	v_sub_f32_e32 v3, v4, v3
	v_pk_mul_f32 v[6:7], v[0:1], v[2:3]
	v_pk_add_f32 v[8:9], v[0:1], v[2:3]
	v_fma_f32 v4, v2, v0, -v6
	v_fmac_f32_e32 v4, v2, v10
	v_mov_b32_e32 v7, v9
	v_fmac_f32_e32 v4, v11, v0
	v_pk_add_f32 v[2:3], v[6:7], v[4:5]
	v_ldexp_f32 v12, v10, 1
	v_sub_f32_e32 v1, v2, v6
	v_sub_f32_e32 v1, v4, v1
	;; [unrolled: 1-line block ×3, first 2 shown]
	v_add_f32_e32 v7, v9, v4
	v_mov_b32_e32 v4, v3
	v_pk_mul_f32 v[4:5], v[2:3], v[4:5]
	v_cvt_f64_f32_e32 v[8:9], v18
	v_frexp_exp_i32_f64_e32 v5, v[8:9]
	v_subbrev_co_u32_e64 v5, s[0:1], 0, v5, s[0:1]
	v_cvt_f32_i32_e32 v5, v5
	v_fma_f32 v6, v2, v3, -v4
	v_fmac_f32_e32 v6, v2, v7
	s_mov_b32 s0, 0x3f317218
	v_mul_f32_e32 v2, 0x3f317218, v5
	v_fmac_f32_e32 v6, v1, v3
	v_fma_f32 v1, v5, s0, -v2
	v_fmamk_f32 v8, v5, 0xb102e308, v1
	v_ldexp_f32 v9, v0, 1
	v_add_f32_e32 v3, v4, v6
	v_pk_add_f32 v[0:1], v[2:3], v[8:9]
	v_mov_b32_e32 v10, v3
	v_mov_b32_e32 v11, v1
	;; [unrolled: 1-line block ×3, first 2 shown]
	v_pk_add_f32 v[4:5], v[10:11], v[4:5] neg_lo:[0,1] neg_hi:[0,1]
	v_mov_b32_e32 v7, v3
	v_pk_add_f32 v[4:5], v[6:7], v[4:5] neg_lo:[0,1] neg_hi:[0,1]
	v_mov_b32_e32 v9, v0
	v_add_f32_e32 v3, v12, v4
	v_add_f32_e32 v3, v3, v5
	v_pk_add_f32 v[4:5], v[0:1], v[2:3] neg_lo:[0,1] neg_hi:[0,1]
	v_pk_add_f32 v[6:7], v[0:1], v[2:3]
	v_mov_b32_e32 v10, v4
	v_mov_b32_e32 v11, v7
	v_pk_add_f32 v[10:11], v[8:9], v[10:11]
	v_pk_add_f32 v[4:5], v[8:9], v[4:5] neg_lo:[0,1] neg_hi:[0,1]
	v_mov_b32_e32 v2, v11
	v_pk_add_f32 v[12:13], v[2:3], v[0:1] neg_lo:[0,1] neg_hi:[0,1]
	v_mov_b32_e32 v10, v7
	v_mov_b32_e32 v13, v12
	;; [unrolled: 1-line block ×4, first 2 shown]
	v_pk_add_f32 v[14:15], v[6:7], v[12:13] neg_lo:[0,1] neg_hi:[0,1]
	v_pk_add_f32 v[0:1], v[10:11], v[0:1] neg_lo:[0,1] neg_hi:[0,1]
	v_mov_b32_e32 v8, v3
	v_pk_add_f32 v[0:1], v[8:9], v[0:1] neg_lo:[0,1] neg_hi:[0,1]
	v_mov_b32_e32 v14, v4
	v_pk_add_f32 v[6:7], v[14:15], v[0:1]
	v_mov_b32_e32 v5, v11
	v_mov_b32_e32 v8, v7
	v_pk_add_f32 v[8:9], v[6:7], v[8:9]
	s_nop 0
	v_pk_add_f32 v[2:3], v[2:3], v[8:9]
	v_mov_b32_e32 v1, v8
	v_mov_b32_e32 v7, v2
	v_pk_add_f32 v[10:11], v[6:7], v[4:5] neg_lo:[0,1] neg_hi:[0,1]
	s_nop 0
	v_sub_f32_e32 v3, v6, v10
	v_pk_add_f32 v[0:1], v[0:1], v[10:11] neg_lo:[0,1] neg_hi:[0,1]
	v_sub_f32_e32 v3, v4, v3
	v_add_f32_e32 v0, v0, v3
	v_add_f32_e32 v0, v0, v1
	;; [unrolled: 1-line block ×3, first 2 shown]
	v_sub_f32_e32 v2, v1, v2
	v_sub_f32_e32 v0, v0, v2
	v_mul_f32_e32 v2, v17, v1
	v_fma_f32 v1, v17, v1, -v2
	v_fmac_f32_e32 v1, v17, v0
	v_add_f32_e32 v0, v2, v1
	v_cmp_class_f32_e64 s[0:1], v2, s4
	v_sub_f32_e32 v3, v0, v2
	v_sub_f32_e32 v1, v1, v3
	v_cndmask_b32_e64 v0, v0, v2, s[0:1]
	v_mov_b32_e32 v2, 0x37000000
	v_cmp_eq_f32_e64 s[0:1], s6, v0
	s_nop 1
	v_cndmask_b32_e64 v2, 0, v2, s[0:1]
	v_sub_f32_e32 v3, v0, v2
	s_mov_b32 s0, 0x3fb8aa3b
	v_mul_f32_e32 v4, 0x3fb8aa3b, v3
	v_fma_f32 v5, v3, s0, -v4
	v_rndne_f32_e32 v6, v4
	v_fmamk_f32 v5, v3, 0x32a5705f, v5
	v_sub_f32_e32 v4, v4, v6
	v_add_f32_e32 v4, v4, v5
	v_exp_f32_e32 v4, v4
	v_cvt_i32_f32_e32 v5, v6
	v_cmp_neq_f32_e64 s[0:1], |v0|, s5
	s_nop 1
	v_cndmask_b32_e64 v0, 0, v1, s[0:1]
	s_mov_b32 s0, 0xc2ce8ed0
	v_ldexp_f32 v1, v4, v5
	v_cmp_ngt_f32_e64 s[0:1], s0, v3
	v_add_f32_e32 v0, v2, v0
	v_mov_b32_e32 v2, 0x7f800000
	v_cndmask_b32_e64 v1, 0, v1, s[0:1]
	v_cmp_nlt_f32_e64 s[0:1], s6, v3
	v_trunc_f32_e32 v3, v17
	v_mov_b32_e32 v4, 0x7fc00000
	v_cndmask_b32_e64 v1, v2, v1, s[0:1]
	v_fma_f32 v0, v1, v0, v1
	v_cmp_class_f32_e64 s[0:1], v1, s4
	v_cmp_gt_f32_e64 s[6:7], 0, v17
	s_nop 0
	v_cndmask_b32_e64 v0, v0, v1, s[0:1]
	v_cndmask_b32_e64 v1, v16, 1.0, vcc
	v_cmp_eq_f32_e32 vcc, v3, v17
	v_mul_f32_e32 v3, 0.5, v17
	v_trunc_f32_e32 v5, v3
	v_cmp_neq_f32_e64 s[0:1], v5, v3
	s_and_b64 s[0:1], vcc, s[0:1]
	s_nop 0
	v_cndmask_b32_e64 v3, 1.0, v1, s[0:1]
	v_bfi_b32 v0, s15, v0, v3
	v_cndmask_b32_e32 v3, v4, v0, vcc
	v_cmp_gt_f32_e32 vcc, 0, v1
	s_nop 1
	v_cndmask_b32_e32 v0, v0, v3, vcc
	v_cmp_eq_f32_e32 vcc, s5, v18
	v_cmp_eq_f32_e64 s[4:5], 0, v1
	s_xor_b64 s[6:7], s[6:7], s[4:5]
	v_cndmask_b32_e64 v2, v2, 0, s[6:7]
	v_cndmask_b32_e64 v3, 0, v1, s[0:1]
	v_bfi_b32 v2, s15, v2, v3
	s_or_b64 vcc, vcc, s[4:5]
	v_cndmask_b32_e32 v0, v0, v2, vcc
	v_cmp_o_f32_e32 vcc, v1, v1
	s_nop 1
	v_cndmask_b32_e32 v44, v4, v0, vcc
.LBB29_324:
	s_mul_i32 s1, s11, s90
	v_readlane_b32 s0, v254, 21
	s_sub_i32 s1, s12, s1
	s_xor_b32 s0, s14, s0
	s_add_i32 s4, s11, 1
	s_sub_i32 s5, s1, s90
	s_cmp_ge_u32 s1, s90
	s_cselect_b32 s4, s4, s11
	s_cselect_b32 s1, s5, s1
	s_add_i32 s5, s4, 1
	s_cmp_ge_u32 s1, s90
	s_cselect_b32 s1, s5, s4
	s_xor_b32 s1, s1, s0
	s_sub_i32 s4, s1, s0
	s_cmp_eq_u64 s[26:27], 0
	s_cbranch_scc1 .LBB29_326
; %bb.325:
	v_readlane_b32 s0, v254, 0
	s_mul_i32 s0, s8, s0
	s_add_i32 s0, s4, s0
	s_ashr_i32 s1, s0, 31
	s_lshl_b64 s[0:1], s[0:1], 2
	s_add_u32 s0, s26, s0
	s_addc_u32 s1, s27, s1
	v_mov_b32_e32 v0, 0
	global_load_dword v0, v0, s[0:1]
	s_waitcnt vmcnt(0)
	v_ashrrev_i32_e32 v1, 31, v0
	v_lshrrev_b32_e32 v1, 26, v1
	v_add_u32_e32 v0, v0, v1
	v_ashrrev_i32_e32 v0, 6, v0
	v_min_i32_e32 v123, v123, v0
.LBB29_326:
	v_readlane_b32 s6, v254, 8
	v_readlane_b32 s7, v254, 9
	s_mul_i32 s0, s8, s7
	s_ashr_i32 s1, s0, 31
	s_add_u32 s0, s16, s0
	s_mul_i32 s13, s13, s6
	s_addc_u32 s1, s17, s1
	s_ashr_i32 s5, s13, 31
	s_add_u32 s0, s0, s13
	s_addc_u32 s1, s1, s5
	s_lshl_b32 s6, s4, 5
	v_add_u32_e32 v36, s6, v180
	v_and_b32_e32 v64, 0x3ff, v19
	v_cmp_le_i32_e32 vcc, s96, v36
	s_and_saveexec_b64 s[4:5], vcc
	s_xor_b64 s[4:5], exec, s[4:5]
	s_cbranch_execz .LBB29_328
; %bb.327:
	s_movk_i32 s7, 0x84
	v_mad_u32_u24 v0, v180, s7, v64
	v_lshl_add_u32 v0, v0, 2, 0
	v_mov_b32_e32 v1, 0
	ds_write2st64_b32 v0, v1, v1 offset1:1
.LBB29_328:
	s_andn2_saveexec_b64 s[4:5], s[4:5]
	s_cbranch_execz .LBB29_330
; %bb.329:
	v_mad_u64_u32 v[0:1], s[12:13], v36, s91, v[64:65]
	v_ashrrev_i32_e32 v1, 31, v0
	v_lshl_add_u64 v[0:1], v[0:1], 3, s[0:1]
	global_load_dwordx2 v[2:3], v[0:1], off
	global_load_dwordx2 v[4:5], v[0:1], off offset:512
	s_movk_i32 s7, 0x84
	s_waitcnt vmcnt(1)
	v_cvt_f16_f32_e32 v0, v2
	v_cvt_f16_f32_e32 v1, v3
	s_waitcnt vmcnt(0)
	v_cvt_f16_f32_e32 v2, v4
	v_cvt_f16_f32_e32 v3, v5
	v_mad_u32_u24 v4, v180, s7, v64
	v_pack_b32_f16 v0, v0, v1
	v_lshl_add_u32 v4, v4, 2, 0
	v_pack_b32_f16 v1, v2, v3
	v_pk_mul_f16 v0, v181, v0
	v_pk_mul_f16 v1, v181, v1
	ds_write2st64_b32 v4, v0, v1 offset1:1
.LBB29_330:
	s_or_b64 exec, exec, s[4:5]
	v_add_u32_e32 v37, s6, v99
	v_cmp_le_i32_e32 vcc, s96, v37
	s_and_saveexec_b64 s[4:5], vcc
	s_xor_b64 s[4:5], exec, s[4:5]
	s_cbranch_execz .LBB29_332
; %bb.331:
	s_movk_i32 s7, 0x84
	v_mad_u32_u24 v0, v99, s7, v64
	v_lshl_add_u32 v0, v0, 2, 0
	v_mov_b32_e32 v1, 0
	ds_write2st64_b32 v0, v1, v1 offset1:1
                                        ; implicit-def: $vgpr99
.LBB29_332:
	s_andn2_saveexec_b64 s[4:5], s[4:5]
	s_cbranch_execz .LBB29_334
; %bb.333:
	v_mad_u64_u32 v[0:1], s[12:13], v37, s91, v[64:65]
	v_ashrrev_i32_e32 v1, 31, v0
	v_lshl_add_u64 v[0:1], v[0:1], 3, s[0:1]
	global_load_dwordx2 v[2:3], v[0:1], off
	global_load_dwordx2 v[4:5], v[0:1], off offset:512
	s_movk_i32 s7, 0x84
	s_waitcnt vmcnt(1)
	v_cvt_f16_f32_e32 v0, v2
	v_cvt_f16_f32_e32 v1, v3
	s_waitcnt vmcnt(0)
	v_cvt_f16_f32_e32 v2, v4
	v_cvt_f16_f32_e32 v3, v5
	v_mad_u32_u24 v4, v99, s7, v64
	v_pack_b32_f16 v0, v0, v1
	v_lshl_add_u32 v4, v4, 2, 0
	v_pack_b32_f16 v1, v2, v3
	v_pk_mul_f16 v0, v181, v0
	v_pk_mul_f16 v1, v181, v1
	ds_write2st64_b32 v4, v0, v1 offset1:1
.LBB29_334:
	s_or_b64 exec, exec, s[4:5]
	v_add_u32_e32 v38, s6, v98
	v_cmp_le_i32_e32 vcc, s96, v38
	s_and_saveexec_b64 s[4:5], vcc
	s_xor_b64 s[4:5], exec, s[4:5]
	s_cbranch_execz .LBB29_336
; %bb.335:
	s_movk_i32 s7, 0x84
	v_mad_u32_u24 v0, v98, s7, v64
	v_lshl_add_u32 v0, v0, 2, 0
	v_mov_b32_e32 v1, 0
	ds_write2st64_b32 v0, v1, v1 offset1:1
                                        ; implicit-def: $vgpr98
.LBB29_336:
	s_andn2_saveexec_b64 s[4:5], s[4:5]
	s_cbranch_execz .LBB29_338
; %bb.337:
	v_mad_u64_u32 v[0:1], s[12:13], v38, s91, v[64:65]
	v_ashrrev_i32_e32 v1, 31, v0
	v_lshl_add_u64 v[0:1], v[0:1], 3, s[0:1]
	global_load_dwordx2 v[2:3], v[0:1], off
	global_load_dwordx2 v[4:5], v[0:1], off offset:512
	s_movk_i32 s7, 0x84
	s_waitcnt vmcnt(1)
	v_cvt_f16_f32_e32 v0, v2
	v_cvt_f16_f32_e32 v1, v3
	s_waitcnt vmcnt(0)
	v_cvt_f16_f32_e32 v2, v4
	v_cvt_f16_f32_e32 v3, v5
	v_mad_u32_u24 v4, v98, s7, v64
	v_pack_b32_f16 v0, v0, v1
	v_lshl_add_u32 v4, v4, 2, 0
	v_pack_b32_f16 v1, v2, v3
	v_pk_mul_f16 v0, v181, v0
	v_pk_mul_f16 v1, v181, v1
	ds_write2st64_b32 v4, v0, v1 offset1:1
.LBB29_338:
	s_or_b64 exec, exec, s[4:5]
	v_add_u32_e32 v39, s6, v187
	v_cmp_le_i32_e32 vcc, s96, v39
	s_and_saveexec_b64 s[4:5], vcc
	s_xor_b64 s[4:5], exec, s[4:5]
	s_cbranch_execz .LBB29_340
; %bb.339:
	s_movk_i32 s7, 0x84
	v_mad_u32_u24 v0, v187, s7, v64
	v_lshl_add_u32 v0, v0, 2, 0
	v_mov_b32_e32 v1, 0
	ds_write2st64_b32 v0, v1, v1 offset1:1
                                        ; implicit-def: $vgpr187
.LBB29_340:
	s_andn2_saveexec_b64 s[4:5], s[4:5]
	s_cbranch_execz .LBB29_342
; %bb.341:
	v_mad_u64_u32 v[0:1], s[12:13], v39, s91, v[64:65]
	v_ashrrev_i32_e32 v1, 31, v0
	v_lshl_add_u64 v[0:1], v[0:1], 3, s[0:1]
	global_load_dwordx2 v[2:3], v[0:1], off
	global_load_dwordx2 v[4:5], v[0:1], off offset:512
	s_movk_i32 s7, 0x84
	s_waitcnt vmcnt(1)
	v_cvt_f16_f32_e32 v0, v2
	v_cvt_f16_f32_e32 v1, v3
	s_waitcnt vmcnt(0)
	v_cvt_f16_f32_e32 v2, v4
	v_cvt_f16_f32_e32 v3, v5
	v_mad_u32_u24 v4, v187, s7, v64
	v_pack_b32_f16 v0, v0, v1
	v_lshl_add_u32 v4, v4, 2, 0
	v_pack_b32_f16 v1, v2, v3
	v_pk_mul_f16 v0, v181, v0
	v_pk_mul_f16 v1, v181, v1
	ds_write2st64_b32 v4, v0, v1 offset1:1
.LBB29_342:
	s_or_b64 exec, exec, s[4:5]
	v_add_u32_e32 v40, s6, v185
	v_cmp_le_i32_e32 vcc, s96, v40
	s_and_saveexec_b64 s[4:5], vcc
	s_xor_b64 s[4:5], exec, s[4:5]
	s_cbranch_execz .LBB29_344
; %bb.343:
	s_movk_i32 s7, 0x84
	v_mad_u32_u24 v0, v185, s7, v64
	v_lshl_add_u32 v0, v0, 2, 0
	v_mov_b32_e32 v1, 0
	ds_write2st64_b32 v0, v1, v1 offset1:1
                                        ; implicit-def: $vgpr185
.LBB29_344:
	s_andn2_saveexec_b64 s[4:5], s[4:5]
	s_cbranch_execz .LBB29_346
; %bb.345:
	v_mad_u64_u32 v[0:1], s[12:13], v40, s91, v[64:65]
	v_ashrrev_i32_e32 v1, 31, v0
	v_lshl_add_u64 v[0:1], v[0:1], 3, s[0:1]
	global_load_dwordx2 v[2:3], v[0:1], off
	global_load_dwordx2 v[4:5], v[0:1], off offset:512
	s_movk_i32 s7, 0x84
	s_waitcnt vmcnt(1)
	v_cvt_f16_f32_e32 v0, v2
	v_cvt_f16_f32_e32 v1, v3
	s_waitcnt vmcnt(0)
	v_cvt_f16_f32_e32 v2, v4
	v_cvt_f16_f32_e32 v3, v5
	v_mad_u32_u24 v4, v185, s7, v64
	v_pack_b32_f16 v0, v0, v1
	v_lshl_add_u32 v4, v4, 2, 0
	v_pack_b32_f16 v1, v2, v3
	v_pk_mul_f16 v0, v181, v0
	v_pk_mul_f16 v1, v181, v1
	ds_write2st64_b32 v4, v0, v1 offset1:1
.LBB29_346:
	s_or_b64 exec, exec, s[4:5]
	v_add_u32_e32 v41, s6, v184
	v_cmp_le_i32_e32 vcc, s96, v41
	s_and_saveexec_b64 s[4:5], vcc
	s_xor_b64 s[4:5], exec, s[4:5]
	s_cbranch_execz .LBB29_348
; %bb.347:
	s_movk_i32 s7, 0x84
	v_mad_u32_u24 v0, v184, s7, v64
	v_lshl_add_u32 v0, v0, 2, 0
	v_mov_b32_e32 v1, 0
	ds_write2st64_b32 v0, v1, v1 offset1:1
                                        ; implicit-def: $vgpr184
.LBB29_348:
	s_andn2_saveexec_b64 s[4:5], s[4:5]
	s_cbranch_execz .LBB29_350
; %bb.349:
	v_mad_u64_u32 v[0:1], s[12:13], v41, s91, v[64:65]
	v_ashrrev_i32_e32 v1, 31, v0
	v_lshl_add_u64 v[0:1], v[0:1], 3, s[0:1]
	global_load_dwordx2 v[2:3], v[0:1], off
	global_load_dwordx2 v[4:5], v[0:1], off offset:512
	s_movk_i32 s7, 0x84
	s_waitcnt vmcnt(1)
	v_cvt_f16_f32_e32 v0, v2
	v_cvt_f16_f32_e32 v1, v3
	s_waitcnt vmcnt(0)
	v_cvt_f16_f32_e32 v2, v4
	v_cvt_f16_f32_e32 v3, v5
	v_mad_u32_u24 v4, v184, s7, v64
	v_pack_b32_f16 v0, v0, v1
	v_lshl_add_u32 v4, v4, 2, 0
	v_pack_b32_f16 v1, v2, v3
	v_pk_mul_f16 v0, v181, v0
	v_pk_mul_f16 v1, v181, v1
	ds_write2st64_b32 v4, v0, v1 offset1:1
.LBB29_350:
	s_or_b64 exec, exec, s[4:5]
	v_add_u32_e32 v42, s6, v183
	v_cmp_le_i32_e32 vcc, s96, v42
	s_and_saveexec_b64 s[4:5], vcc
	s_xor_b64 s[4:5], exec, s[4:5]
	s_cbranch_execz .LBB29_352
; %bb.351:
	s_movk_i32 s7, 0x84
	v_mad_u32_u24 v0, v183, s7, v64
	v_lshl_add_u32 v0, v0, 2, 0
	v_mov_b32_e32 v1, 0
	ds_write2st64_b32 v0, v1, v1 offset1:1
                                        ; implicit-def: $vgpr183
.LBB29_352:
	s_andn2_saveexec_b64 s[4:5], s[4:5]
	s_cbranch_execz .LBB29_354
; %bb.353:
	v_mad_u64_u32 v[0:1], s[12:13], v42, s91, v[64:65]
	v_ashrrev_i32_e32 v1, 31, v0
	v_lshl_add_u64 v[0:1], v[0:1], 3, s[0:1]
	global_load_dwordx2 v[2:3], v[0:1], off
	global_load_dwordx2 v[4:5], v[0:1], off offset:512
	s_movk_i32 s7, 0x84
	s_waitcnt vmcnt(1)
	v_cvt_f16_f32_e32 v0, v2
	v_cvt_f16_f32_e32 v1, v3
	s_waitcnt vmcnt(0)
	v_cvt_f16_f32_e32 v2, v4
	v_cvt_f16_f32_e32 v3, v5
	v_mad_u32_u24 v4, v183, s7, v64
	v_pack_b32_f16 v0, v0, v1
	v_lshl_add_u32 v4, v4, 2, 0
	v_pack_b32_f16 v1, v2, v3
	v_pk_mul_f16 v0, v181, v0
	v_pk_mul_f16 v1, v181, v1
	ds_write2st64_b32 v4, v0, v1 offset1:1
.LBB29_354:
	s_or_b64 exec, exec, s[4:5]
	v_add_u32_e32 v43, s6, v182
	v_cmp_le_i32_e32 vcc, s96, v43
	s_and_saveexec_b64 s[4:5], vcc
	s_xor_b64 s[4:5], exec, s[4:5]
	s_cbranch_execz .LBB29_356
; %bb.355:
	s_movk_i32 s6, 0x84
	v_mad_u32_u24 v0, v182, s6, v64
	v_lshl_add_u32 v0, v0, 2, 0
	v_mov_b32_e32 v1, 0
	ds_write2st64_b32 v0, v1, v1 offset1:1
                                        ; implicit-def: $vgpr181
                                        ; implicit-def: $vgpr182
.LBB29_356:
	s_andn2_saveexec_b64 s[4:5], s[4:5]
	s_cbranch_execz .LBB29_358
; %bb.357:
	v_mad_u64_u32 v[0:1], s[6:7], v43, s91, v[64:65]
	v_ashrrev_i32_e32 v1, 31, v0
	v_lshl_add_u64 v[0:1], v[0:1], 3, s[0:1]
	global_load_dwordx2 v[2:3], v[0:1], off
	global_load_dwordx2 v[4:5], v[0:1], off offset:512
	s_movk_i32 s0, 0x84
	s_waitcnt vmcnt(1)
	v_cvt_f16_f32_e32 v0, v2
	v_cvt_f16_f32_e32 v1, v3
	s_waitcnt vmcnt(0)
	v_cvt_f16_f32_e32 v2, v4
	v_cvt_f16_f32_e32 v3, v5
	v_mad_u32_u24 v4, v182, s0, v64
	v_pack_b32_f16 v0, v0, v1
	v_lshl_add_u32 v4, v4, 2, 0
	v_pack_b32_f16 v1, v2, v3
	v_pk_mul_f16 v0, v181, v0
	v_pk_mul_f16 v1, v181, v1
	ds_write2st64_b32 v4, v0, v1 offset1:1
.LBB29_358:
	s_or_b64 exec, exec, s[4:5]
	v_readlane_b32 s4, v254, 11
	v_readlane_b32 s5, v254, 12
	v_lshrrev_b32_e32 v1, 3, v64
	s_mul_i32 s0, s8, s5
	s_mul_hi_u32 s1, s8, s4
	v_and_b32_e32 v32, 0x1ff0, v124
	s_movk_i32 s36, 0x210
	v_and_b32_e32 v127, 15, v64
	v_and_b32_e32 v128, 0x7e, v1
	s_add_i32 s0, s1, s0
	s_mul_i32 s1, s10, s4
	v_mad_u32_u24 v0, v32, s36, 0
	v_mul_u32_u24_e32 v49, 0x210, v127
	v_lshlrev_b32_e32 v85, 2, v128
	s_add_i32 s0, s0, s1
	s_mul_i32 s1, s8, s4
	v_readlane_b32 s4, v254, 17
	v_add3_u32 v0, v0, v49, v85
	v_readlane_b32 s5, v254, 18
	v_readlane_b32 s7, v254, 20
	s_waitcnt lgkmcnt(0)
	s_barrier
	ds_read2_b64 v[28:31], v0 offset1:4
	ds_read2_b64 v[24:27], v0 offset0:8 offset1:12
	ds_read2_b64 v[20:23], v0 offset0:16 offset1:20
	ds_read2_b64 v[16:19], v0 offset0:24 offset1:28
	ds_read2_b64 v[12:15], v0 offset0:32 offset1:36
	ds_read2_b64 v[8:11], v0 offset0:40 offset1:44
	ds_read2_b64 v[4:7], v0 offset0:48 offset1:52
	ds_read2_b64 v[0:3], v0 offset0:56 offset1:60
	s_add_u32 s1, s20, s1
	s_mov_b64 s[12:13], s[4:5]
	s_mul_i32 s4, s9, s7
	s_addc_u32 s0, s21, s0
	s_ashr_i32 s5, s4, 31
	s_add_u32 s33, s1, s4
	s_addc_u32 s41, s0, s5
	s_mul_i32 s0, s8, s13
	s_mul_hi_u32 s1, s8, s12
	s_add_i32 s0, s1, s0
	s_mul_i32 s10, s10, s12
	v_readlane_b32 s4, v254, 15
	s_add_i32 s0, s0, s10
	s_mul_i32 s8, s8, s12
	v_readlane_b32 s5, v254, 16
	s_add_u32 s1, s18, s8
	s_mul_i32 s9, s9, s5
	s_addc_u32 s0, s19, s0
	s_ashr_i32 s4, s9, 31
	v_add_u32_e32 v125, -1, v123
	s_add_u32 s53, s1, s9
	v_cmp_ge_i32_e32 vcc, s52, v125
	s_addc_u32 s54, s0, s4
	s_mov_b32 s55, 0
	s_and_b64 vcc, exec, vcc
	v_mov_b32_e32 v104, 0
	v_or_b32_e32 v84, v32, v127
	v_lshlrev_b32_e32 v46, 1, v64
	v_mbcnt_lo_u32_b32 v68, -1, 0
	v_lshrrev_b32_e32 v48, 5, v64
	v_lshlrev_b32_e32 v106, 2, v64
	v_lshrrev_b32_e32 v100, 2, v64
	v_and_b32_e32 v109, 8, v124
	v_lshlrev_b32_e32 v108, 1, v127
	v_readlane_b32 s6, v254, 19
	s_waitcnt lgkmcnt(0)
	s_barrier
	s_cbranch_vccnz .LBB29_371
; %bb.359:
	v_mul_hi_u32 v33, s2, v36
	v_add_u32_e32 v33, v36, v33
	v_lshrrev_b32_e32 v33, s3, v33
	v_mul_lo_u32 v33, v33, s96
	v_mov_b32_e32 v32, 0
	v_sub_u32_e32 v33, v36, v33
	v_mov_b32_e32 v47, v32
	v_mad_i64_i32 v[50:51], s[4:5], v33, s40, 0
	v_mul_u32_u24_e32 v33, 0x90, v180
	v_lshl_add_u64 v[34:35], s[42:43], 0, v[46:47]
	v_add3_u32 v47, 0, v33, v46
	v_mul_hi_u32 v33, s2, v37
	v_add_u32_e32 v33, v37, v33
	v_lshrrev_b32_e32 v33, s3, v33
	v_mul_lo_u32 v33, v33, s96
	v_sub_u32_e32 v33, v37, v33
	v_mad_i64_i32 v[52:53], s[4:5], v33, s40, 0
	v_mul_hi_u32 v33, s2, v38
	v_add_u32_e32 v33, v38, v33
	v_lshrrev_b32_e32 v33, s3, v33
	v_mul_lo_u32 v33, v33, s96
	v_sub_u32_e32 v33, v38, v33
	v_mad_i64_i32 v[54:55], s[4:5], v33, s40, 0
	;; [unrolled: 6-line block ×6, first 2 shown]
	v_mul_hi_u32 v33, s2, v43
	v_add_u32_e32 v33, v43, v33
	v_lshrrev_b32_e32 v33, s3, v33
	v_mul_lo_u32 v33, v33, s96
	v_sub_u32_e32 v33, v43, v33
	v_accvgpr_write_b32 a28, v34
	v_mad_i64_i32 v[66:67], s[4:5], v33, s40, 0
	v_mbcnt_hi_u32_b32 v33, -1, v68
	v_accvgpr_write_b32 a29, v35
	v_and_b32_e32 v34, 64, v33
	v_add_u32_e32 v34, 64, v34
	v_xor_b32_e32 v35, 32, v33
	v_cmp_lt_i32_e32 vcc, v35, v34
	s_cmp_lg_u64 s[42:43], 0
	s_movk_i32 s18, 0x90
	v_cndmask_b32_e32 v35, v33, v35, vcc
	v_lshlrev_b32_e32 v133, 2, v35
	v_xor_b32_e32 v35, 16, v33
	v_cmp_lt_i32_e32 vcc, v35, v34
	s_cselect_b64 s[44:45], -1, 0
	v_accvgpr_write_b32 a21, v40
	v_cndmask_b32_e32 v33, v33, v35, vcc
	v_lshlrev_b32_e32 v134, 2, v33
	v_lshl_add_u32 v33, v180, 1, v48
	v_accvgpr_write_b32 a18, v84
	v_mad_u32_u24 v40, v84, s18, 0
	v_mul_lo_u32 v84, s98, v33
	s_lshl_b32 s48, s98, 3
	v_accvgpr_write_b32 a15, v68
	v_mul_lo_u32 v68, s78, v33
	s_lshl_b32 s19, s78, 3
	v_add_u32_e32 v86, s48, v84
	v_and_b32_e32 v34, 0x7c, v106
	v_add_u32_e32 v70, s19, v68
	v_add_u32_e32 v88, s48, v86
	v_accvgpr_write_b32 a16, v36
	v_mul_u32_u24_e32 v35, 0x210, v33
	v_lshlrev_b32_e32 v36, 2, v34
	v_add_u32_e32 v72, s19, v70
	v_add_u32_e32 v90, s48, v88
	v_accvgpr_write_b32 a19, v38
	v_add3_u32 v135, 0, v35, v36
	v_add_u32_e32 v74, s19, v72
	v_and_b32_e32 v35, 16, v126
	v_and_b32_e32 v38, 0xfc, v100
	v_add_u32_e32 v92, s48, v90
	v_accvgpr_write_b32 a17, v37
	v_accvgpr_write_b32 a20, v39
	v_add_u32_e32 v76, s19, v74
	v_mul_u32_u24_e32 v37, 0x210, v35
	v_add_u32_e32 v39, v35, v38
	v_add_u16_e32 v35, v35, v38
	v_add_u32_e32 v94, s48, v92
	v_add_u32_e32 v78, s19, v76
	v_lshrrev_b16_e32 v35, 1, v35
	v_add_u32_e32 v96, s48, v94
	v_cmp_gt_u32_e64 s[38:39], 64, v33
	v_cmp_gt_u32_e64 s[4:5], 56, v33
	;; [unrolled: 1-line block ×7, first 2 shown]
	v_add_u32_e32 v80, s19, v78
	v_cmp_gt_u32_e64 s[16:17], 8, v33
	v_lshl_add_u32 v35, v35, 2, v40
	v_lshl_add_u32 v40, v39, 1, v40
	v_add_u32_e32 v98, s48, v96
	v_mul_u32_u24_e32 v33, 0x108, v38
	s_movk_i32 s48, 0x420
	v_accvgpr_write_b32 a24, v41
	v_accvgpr_write_b32 a25, v42
	v_add_u32_e32 v82, s19, v80
	v_add_u32_e32 v143, 64, v40
	;; [unrolled: 1-line block ×3, first 2 shown]
	v_cmp_gt_u32_e64 s[18:19], 64, v39
	v_cmp_gt_u32_e64 s[20:21], 63, v39
	;; [unrolled: 1-line block ×8, first 2 shown]
	v_or_b32_e32 v33, v33, v127
	v_mul_u32_u24_e32 v39, 0x210, v38
	v_or_b32_e32 v40, 3, v100
	v_mul_u32_u24_e32 v41, 0x420, v109
	v_mad_u32_u24 v42, v109, s48, 0
	v_mul_u32_u24_e32 v40, 0x210, v40
	v_lshlrev_b32_e32 v33, 1, v33
	v_add3_u32 v146, v42, v39, v108
	v_add3_u32 v39, 0, 32, v41
	v_add_u32_e32 v145, v42, v33
	v_add3_u32 v147, v42, v40, v108
	v_add_u32_e32 v150, v39, v33
	v_mad_u32_u24 v42, v38, s36, v39
	v_add3_u32 v153, v39, v40, v108
	v_add3_u32 v39, 0, 64, v41
	s_add_i32 s49, 0, 0x60
	v_add_u32_e32 v155, v39, v33
	v_mad_u32_u24 v41, v38, s36, v39
	v_add3_u32 v158, v39, v40, v108
	v_mov_b32_e32 v39, s49
	s_movk_i32 s37, 0x4200
	v_mad_u32_u24 v39, v109, s48, v39
	s_add_i32 s49, 0, 0x80
	v_add3_u32 v156, v41, v108, s37
	v_add_u32_e32 v160, v39, v33
	v_mad_u32_u24 v41, v38, s36, v39
	v_add3_u32 v163, v39, v40, v108
	v_mov_b32_e32 v39, s49
	v_mad_u32_u24 v39, v109, s48, v39
	s_add_i32 s49, 0, 0xa0
	v_add3_u32 v161, v41, v108, s37
	v_add_u32_e32 v165, v39, v33
	v_mad_u32_u24 v41, v38, s36, v39
	v_add3_u32 v168, v39, v40, v108
	v_mov_b32_e32 v39, s49
	;; [unrolled: 7-line block ×12, first 2 shown]
	v_mad_u32_u24 v39, v109, s48, v39
	s_mov_b64 s[46:47], src_private_base
	v_add3_u32 v36, 0, v49, v85
	v_add_u32_e32 v220, v39, v33
	v_mad_u32_u24 v33, v38, s36, v39
	v_accvgpr_write_b32 a13, v128
	v_accvgpr_write_b32 a11, v122
	;; [unrolled: 1-line block ×3, first 2 shown]
	v_cmp_lt_u32_e64 s[0:1], 63, v64
	v_add_u32_e32 v110, 0x240, v47
	v_add_u32_e32 v115, 0x480, v47
	;; [unrolled: 1-line block ×6, first 2 shown]
	v_accvgpr_write_b32 a26, v43
	v_add_u32_e32 v132, 0xfc0, v47
	s_mov_b32 s46, 0
	v_accvgpr_write_b32 a27, v48
	v_ashrrev_i32_e32 v69, 31, v68
	v_add_u32_e32 v136, 0x1080, v135
	v_ashrrev_i32_e32 v71, 31, v70
	v_add_u32_e32 v137, 0x2100, v135
	v_ashrrev_i32_e32 v73, 31, v72
	v_add_u32_e32 v138, 0x3180, v135
	v_ashrrev_i32_e32 v75, 31, v74
	v_add_u32_e32 v139, 0x4200, v135
	v_ashrrev_i32_e32 v77, 31, v76
	v_add_u32_e32 v140, 0x5280, v135
	v_ashrrev_i32_e32 v79, 31, v78
	v_add_u32_e32 v141, 0x6300, v135
	v_ashrrev_i32_e32 v81, 31, v80
	v_add_u32_e32 v142, 0x7380, v135
	v_ashrrev_i32_e32 v83, 31, v82
	v_accvgpr_write_b32 a9, v126
	v_accvgpr_write_b32 a22, v49
	;; [unrolled: 1-line block ×3, first 2 shown]
	v_ashrrev_i32_e32 v85, 31, v84
	v_ashrrev_i32_e32 v87, 31, v86
	;; [unrolled: 1-line block ×8, first 2 shown]
	v_accvgpr_write_b32 a12, v127
	v_accvgpr_write_b32 a14, v100
	v_add_u32_e32 v148, 0x4200, v146
	v_add_u32_e32 v149, 32, v146
	v_add3_u32 v151, v42, v108, s37
	v_add_u32_e32 v152, 0x4200, v150
	v_add_u32_e32 v154, 64, v146
	;; [unrolled: 1-line block ×26, first 2 shown]
	v_add3_u32 v216, v41, v108, s37
	v_add_u32_e32 v217, 0x4200, v215
	v_add_u32_e32 v219, 0x1e0, v146
	v_add3_u32 v221, v33, v108, s37
	v_add_u32_e32 v222, 0x4200, v220
	v_add3_u32 v223, v39, v40, v108
	v_mov_b32_e32 v100, v44
	v_mov_b32_e32 v101, v44
	s_lshl_b32 s48, s52, 6
	v_mov_b32_e32 v120, 0xfeffffff
	v_lshlrev_b32_e32 v102, 2, v34
	v_add_u32_e32 v224, v36, v37
	v_add_u32_e32 v225, 0x8400, v35
	s_mov_b32 s56, 0x3fb8aa3b
	s_mov_b32 s57, 0xc2ce8ed0
	;; [unrolled: 1-line block ×5, first 2 shown]
	v_mov_b32_e32 v226, 0x7f800000
	v_mov_b32_e32 v119, 0
	;; [unrolled: 1-line block ×34, first 2 shown]
.LBB29_360:                             ; =>This Inner Loop Header: Depth=1
	v_cndmask_b32_e64 v33, 0, 1, s[44:45]
	v_cmp_ne_u32_e64 s[36:37], 1, v33
	s_andn2_b64 vcc, exec, s[44:45]
	s_ashr_i32 s49, s48, 31
	s_cbranch_vccnz .LBB29_366
; %bb.361:                              ;   in Loop: Header=BB29_360 Depth=1
                                        ; implicit-def: $sgpr61
	s_and_saveexec_b64 s[50:51], s[0:1]
	s_xor_b64 s[50:51], exec, s[50:51]
	s_cbranch_execz .LBB29_363
; %bb.362:                              ;   in Loop: Header=BB29_360 Depth=1
	ds_write_b16 v47, v32 offset:33792
	ds_write_b16 v110, v32 offset:33792
	;; [unrolled: 1-line block ×4, first 2 shown]
	s_mov_b32 s61, 0
.LBB29_363:                             ;   in Loop: Header=BB29_360 Depth=1
	s_or_saveexec_b64 s[50:51], s[50:51]
	v_mov_b32_e32 v33, s61
	v_mov_b32_e32 v34, s61
	;; [unrolled: 1-line block ×4, first 2 shown]
	s_xor_b64 exec, exec, s[50:51]
	s_cbranch_execz .LBB29_365
; %bb.364:                              ;   in Loop: Header=BB29_360 Depth=1
	v_accvgpr_read_b32 v35, a29
	v_accvgpr_read_b32 v34, a28
	v_lshl_add_u64 v[36:37], s[48:49], 1, v[34:35]
	v_lshl_add_u64 v[34:35], v[50:51], 1, v[36:37]
	flat_load_ushort v33, v[34:35]
	v_lshl_add_u64 v[34:35], v[52:53], 1, v[36:37]
	flat_load_ushort v38, v[34:35]
	;; [unrolled: 2-line block ×4, first 2 shown]
	s_waitcnt vmcnt(0) lgkmcnt(0)
	ds_write_b16 v47, v33 offset:33792
	ds_write_b16 v110, v38 offset:33792
	;; [unrolled: 1-line block ×4, first 2 shown]
	v_lshl_add_u64 v[34:35], v[58:59], 1, v[36:37]
	flat_load_ushort v33, v[34:35]
	v_lshl_add_u64 v[34:35], v[60:61], 1, v[36:37]
	v_lshl_add_u64 v[38:39], v[62:63], 1, v[36:37]
	;; [unrolled: 1-line block ×3, first 2 shown]
	flat_load_ushort v34, v[34:35]
	s_nop 0
	flat_load_ushort v36, v[36:37]
	s_nop 0
	flat_load_ushort v35, v[38:39]
.LBB29_365:                             ;   in Loop: Header=BB29_360 Depth=1
	s_or_b64 exec, exec, s[50:51]
	s_waitcnt vmcnt(0) lgkmcnt(0)
	ds_write_b16 v121, v33 offset:33792
	ds_write_b16 v122, v34 offset:33792
	;; [unrolled: 1-line block ×4, first 2 shown]
.LBB29_366:                             ;   in Loop: Header=BB29_360 Depth=1
	s_mul_hi_i32 s51, s48, s78
	s_mul_i32 s50, s48, s78
	s_lshl_b64 s[50:51], s[50:51], 2
	s_add_u32 s50, s53, s50
	s_addc_u32 s51, s54, s51
	v_lshl_add_u64 v[36:37], v[68:69], 2, s[50:51]
	v_mov_b32_e32 v103, v32
	v_mov_b32_e32 v33, v32
	;; [unrolled: 1-line block ×4, first 2 shown]
	v_lshl_add_u64 v[36:37], v[36:37], 0, v[102:103]
	v_mov_b32_e32 v40, s47
	v_mov_b32_e32 v41, s46
	scratch_store_dwordx4 off, v[32:35], off
	v_cndmask_b32_e64 v37, v40, v37, s[38:39]
	v_cndmask_b32_e64 v36, v41, v36, s[38:39]
	flat_load_dwordx4 v[36:39], v[36:37]
	v_add_u32_e32 v45, 0x4000, v224
	s_and_b64 vcc, exec, s[36:37]
	s_waitcnt vmcnt(0) lgkmcnt(0)
	ds_write_b128 v135, v[36:39]
	v_lshl_add_u64 v[36:37], v[70:71], 2, s[50:51]
	v_lshl_add_u64 v[36:37], v[36:37], 0, v[102:103]
	v_cndmask_b32_e64 v37, v40, v37, s[4:5]
	v_cndmask_b32_e64 v36, v41, v36, s[4:5]
	flat_load_dwordx4 v[36:39], v[36:37]
	s_waitcnt vmcnt(0) lgkmcnt(0)
	ds_write_b128 v136, v[36:39]
	v_lshl_add_u64 v[36:37], v[72:73], 2, s[50:51]
	v_lshl_add_u64 v[36:37], v[36:37], 0, v[102:103]
	v_cndmask_b32_e64 v37, v40, v37, s[6:7]
	v_cndmask_b32_e64 v36, v41, v36, s[6:7]
	flat_load_dwordx4 v[36:39], v[36:37]
	;; [unrolled: 7-line block ×7, first 2 shown]
	s_waitcnt vmcnt(0) lgkmcnt(0)
	ds_write_b128 v142, v[36:39]
	s_waitcnt lgkmcnt(0)
	s_barrier
	ds_read2_b64 v[36:39], v224 offset1:4
	ds_read2_b64 v[40:43], v45 offset0:64 offset1:68
	s_waitcnt lgkmcnt(1)
	v_mfma_f32_16x16x16_f16 a[0:3], v[36:37], v[28:29], 0
	s_waitcnt lgkmcnt(0)
	v_mfma_f32_16x16x16_f16 a[4:7], v[40:41], v[28:29], 0
	v_mfma_f32_16x16x16_f16 a[0:3], v[38:39], v[30:31], a[0:3]
	ds_read2_b64 v[36:39], v224 offset0:8 offset1:12
	v_mfma_f32_16x16x16_f16 a[4:7], v[42:43], v[30:31], a[4:7]
	ds_read2_b64 v[40:43], v45 offset0:72 offset1:76
	s_waitcnt lgkmcnt(1)
	v_mfma_f32_16x16x16_f16 a[0:3], v[36:37], v[24:25], a[0:3]
	s_waitcnt lgkmcnt(0)
	v_mfma_f32_16x16x16_f16 a[4:7], v[40:41], v[24:25], a[4:7]
	v_mfma_f32_16x16x16_f16 a[0:3], v[38:39], v[26:27], a[0:3]
	ds_read2_b64 v[36:39], v224 offset0:16 offset1:20
	v_mfma_f32_16x16x16_f16 a[4:7], v[42:43], v[26:27], a[4:7]
	;; [unrolled: 8-line block ×7, first 2 shown]
	ds_read2_b64 v[40:43], v45 offset0:120 offset1:124
	s_waitcnt lgkmcnt(0)
	s_barrier
	v_mfma_f32_16x16x16_f16 a[0:3], v[36:37], v[0:1], a[0:3]
	v_mfma_f32_16x16x16_f16 a[4:7], v[40:41], v[0:1], a[4:7]
	;; [unrolled: 1-line block ×4, first 2 shown]
	s_cbranch_vccnz .LBB29_368
; %bb.367:                              ;   in Loop: Header=BB29_360 Depth=1
	ds_read2_b32 v[126:127], v225 offset1:1
	s_nop 3
	v_accvgpr_read_b32 v39, a3
	v_accvgpr_read_b32 v38, a2
	;; [unrolled: 1-line block ×4, first 2 shown]
	s_waitcnt lgkmcnt(0)
	v_cvt_f32_f16_e32 v128, v126
	v_cvt_f32_f16_sdwa v129, v126 dst_sel:DWORD dst_unused:UNUSED_PAD src0_sel:WORD_1
	v_cvt_f32_f16_e32 v126, v127
	v_cvt_f32_f16_sdwa v127, v127 dst_sel:DWORD dst_unused:UNUSED_PAD src0_sel:WORD_1
	v_mov_b32_e32 v45, v44
	v_pk_fma_f32 v[36:37], v[100:101], v[128:129], v[36:37]
	v_accvgpr_read_b32 v43, a7
	v_pk_fma_f32 v[38:39], v[44:45], v[126:127], v[38:39]
	v_accvgpr_write_b32 a0, v36
	v_accvgpr_write_b32 a2, v38
	ds_read_b32 v36, v143 offset:33792
	ds_read_b32 v38, v144 offset:33792
	v_accvgpr_write_b32 a1, v37
	v_accvgpr_write_b32 a3, v39
	v_accvgpr_read_b32 v42, a6
	s_waitcnt lgkmcnt(1)
	v_cvt_f32_f16_sdwa v37, v36 dst_sel:DWORD dst_unused:UNUSED_PAD src0_sel:WORD_1
	v_cvt_f32_f16_e32 v36, v36
	s_waitcnt lgkmcnt(0)
	v_cvt_f32_f16_sdwa v39, v38 dst_sel:DWORD dst_unused:UNUSED_PAD src0_sel:WORD_1
	v_cvt_f32_f16_e32 v38, v38
	v_accvgpr_read_b32 v41, a5
	v_accvgpr_read_b32 v40, a4
	v_pk_fma_f32 v[36:37], v[100:101], v[36:37], v[40:41]
	v_pk_fma_f32 v[38:39], v[44:45], v[38:39], v[42:43]
	v_accvgpr_write_b32 a4, v36
	v_accvgpr_write_b32 a5, v37
	;; [unrolled: 1-line block ×4, first 2 shown]
.LBB29_368:                             ;   in Loop: Header=BB29_360 Depth=1
	s_nop 4
	v_accvgpr_read_b32 v39, a3
	v_accvgpr_read_b32 v36, a0
	v_add_f32_e32 v45, 0x40051340, v36
	v_max_f32_e32 v48, v120, v120
	v_max_f32_e32 v45, v48, v45
	v_accvgpr_read_b32 v37, a1
	v_cndmask_b32_e64 v45, v120, v45, s[18:19]
	v_add_f32_e32 v48, 0x40051340, v37
	v_max_f32_e32 v49, v45, v45
	v_max_f32_e32 v48, v49, v48
	v_accvgpr_read_b32 v38, a2
	v_cndmask_b32_e64 v45, v45, v48, s[20:21]
	v_add_f32_e32 v48, 0x40051340, v38
	v_max_f32_e32 v49, v45, v45
	v_max_f32_e32 v48, v49, v48
	v_cndmask_b32_e64 v45, v45, v48, s[22:23]
	v_add_f32_e32 v48, 0x40051340, v39
	v_max_f32_e32 v49, v45, v45
	v_accvgpr_read_b32 v43, a7
	v_max_f32_e32 v48, v49, v48
	v_accvgpr_read_b32 v40, a4
	v_cndmask_b32_e64 v45, v45, v48, s[24:25]
	v_add_f32_e32 v48, 0x40051340, v40
	v_max_f32_e32 v49, v45, v45
	v_max_f32_e32 v48, v49, v48
	v_accvgpr_read_b32 v41, a5
	v_cndmask_b32_e64 v45, v45, v48, s[26:27]
	v_add_f32_e32 v48, 0x40051340, v41
	v_max_f32_e32 v49, v45, v45
	v_max_f32_e32 v48, v49, v48
	v_accvgpr_read_b32 v42, a6
	v_cndmask_b32_e64 v45, v45, v48, s[28:29]
	v_add_f32_e32 v48, 0x40051340, v42
	v_max_f32_e32 v49, v45, v45
	v_max_f32_e32 v48, v49, v48
	v_cndmask_b32_e64 v45, v45, v48, s[30:31]
	v_add_f32_e32 v48, 0x40051340, v43
	v_max_f32_e32 v49, v45, v45
	v_max_f32_e32 v48, v49, v48
	v_cndmask_b32_e64 v45, v45, v48, s[34:35]
	ds_bpermute_b32 v48, v133, v45
	v_max_f32_e32 v45, v45, v45
	v_cndmask_b32_e64 v38, v38, v38, s[20:21]
	v_cndmask_b32_e64 v39, v39, v39, s[20:21]
	;; [unrolled: 1-line block ×3, first 2 shown]
	s_waitcnt lgkmcnt(0)
	v_max_f32_e32 v48, v48, v48
	v_max_f32_e32 v45, v45, v48
	ds_bpermute_b32 v48, v134, v45
	v_cndmask_b32_e64 v42, v42, v42, s[26:27]
	v_cndmask_b32_e64 v43, v43, v43, s[26:27]
	s_mul_hi_i32 s37, s48, s98
	s_mul_i32 s36, s48, s98
	s_waitcnt lgkmcnt(0)
	v_max_f32_e32 v48, v48, v48
	v_max_f32_e32 v118, v45, v48
	v_sub_f32_e32 v36, v36, v118
	v_mul_f32_e32 v45, 0x3fb8aa3b, v36
	v_fma_f32 v48, v36, s56, -v45
	v_rndne_f32_e32 v49, v45
	v_fmac_f32_e32 v48, 0x32a5705f, v36
	v_sub_f32_e32 v45, v45, v49
	v_add_f32_e32 v45, v45, v48
	v_exp_f32_e32 v45, v45
	v_cvt_i32_f32_e32 v48, v49
	v_cmp_ngt_f32_e32 vcc, s57, v36
	v_sub_f32_e32 v37, v37, v118
	v_sub_f32_e32 v38, v38, v118
	v_ldexp_f32 v45, v45, v48
	v_cndmask_b32_e32 v45, 0, v45, vcc
	v_cmp_nlt_f32_e32 vcc, s58, v36
	s_lshl_b64 s[36:37], s[36:37], 2
	s_add_u32 s36, s33, s36
	v_cndmask_b32_e32 v36, v226, v45, vcc
	v_mul_f32_e32 v45, 0x3fb8aa3b, v37
	v_fma_f32 v48, v37, s56, -v45
	v_rndne_f32_e32 v49, v45
	v_fmac_f32_e32 v48, 0x32a5705f, v37
	v_sub_f32_e32 v45, v45, v49
	v_add_f32_e32 v45, v45, v48
	v_exp_f32_e32 v45, v45
	v_cvt_i32_f32_e32 v48, v49
	v_cmp_ngt_f32_e32 vcc, s57, v37
	v_cndmask_b32_e64 v36, 0, v36, s[18:19]
	s_addc_u32 s37, s41, s37
	v_ldexp_f32 v45, v45, v48
	v_cndmask_b32_e32 v45, 0, v45, vcc
	v_cmp_nlt_f32_e32 vcc, s58, v37
	v_mov_b32_e32 v37, s55
	v_mov_b32_e32 v128, s47
	v_cndmask_b32_e32 v45, v226, v45, vcc
	v_add_f32_e32 v48, v45, v36
	v_cndmask_b32_e64 v49, v37, v45, s[20:21]
	v_mul_f32_e32 v45, 0x3fb8aa3b, v38
	v_cndmask_b32_e64 v37, v36, v48, s[20:21]
	v_fma_f32 v48, v38, s56, -v45
	v_rndne_f32_e32 v112, v45
	v_fmac_f32_e32 v48, 0x32a5705f, v38
	v_sub_f32_e32 v45, v45, v112
	v_add_f32_e32 v45, v45, v48
	v_exp_f32_e32 v45, v45
	v_cvt_i32_f32_e32 v48, v112
	v_cmp_ngt_f32_e32 vcc, s57, v38
	v_cvt_f16_f32_e32 v36, v36
	v_mov_b32_e32 v129, s46
	v_ldexp_f32 v45, v45, v48
	v_cndmask_b32_e32 v45, 0, v45, vcc
	v_cmp_nlt_f32_e32 vcc, s58, v38
	v_mov_b32_e32 v38, s55
	scratch_store_dwordx4 off, v[32:35], off
	v_cndmask_b32_e32 v45, v226, v45, vcc
	v_add_f32_e32 v48, v37, v45
	v_cndmask_b32_e64 v112, v38, v45, s[22:23]
	v_cndmask_b32_e64 v38, v37, v48, s[22:23]
	v_sub_f32_e32 v37, v39, v118
	v_mul_f32_e32 v39, 0x3fb8aa3b, v37
	v_fma_f32 v45, v37, s56, -v39
	v_rndne_f32_e32 v48, v39
	v_fmac_f32_e32 v45, 0x32a5705f, v37
	v_sub_f32_e32 v39, v39, v48
	v_add_f32_e32 v39, v39, v45
	v_exp_f32_e32 v39, v39
	v_cvt_i32_f32_e32 v45, v48
	v_cmp_ngt_f32_e32 vcc, s57, v37
	s_add_i32 s52, s52, 1
	s_add_i32 s48, s48, 64
	v_ldexp_f32 v39, v39, v45
	v_cndmask_b32_e32 v39, 0, v39, vcc
	v_cmp_nlt_f32_e32 vcc, s58, v37
	v_mov_b32_e32 v37, s55
	s_nop 0
	v_cndmask_b32_e32 v39, v226, v39, vcc
	v_add_f32_e32 v45, v38, v39
	v_cndmask_b32_e64 v39, v37, v39, s[24:25]
	v_cndmask_b32_e64 v37, v38, v45, s[24:25]
	v_sub_f32_e32 v38, v40, v118
	v_mul_f32_e32 v40, 0x3fb8aa3b, v38
	v_fma_f32 v45, v38, s56, -v40
	v_rndne_f32_e32 v48, v40
	v_fmac_f32_e32 v45, 0x32a5705f, v38
	v_sub_f32_e32 v40, v40, v48
	v_add_f32_e32 v40, v40, v45
	v_exp_f32_e32 v40, v40
	v_cvt_i32_f32_e32 v45, v48
	v_cmp_ngt_f32_e32 vcc, s57, v38
	v_cvt_f16_f32_e32 v39, v39
	v_ldexp_f32 v40, v40, v45
	v_cndmask_b32_e32 v40, 0, v40, vcc
	v_cmp_nlt_f32_e32 vcc, s58, v38
	v_mov_b32_e32 v38, s55
	s_nop 0
	v_cndmask_b32_e32 v40, v226, v40, vcc
	v_add_f32_e32 v45, v40, v37
	v_cndmask_b32_e64 v40, v38, v40, s[26:27]
	v_cndmask_b32_e64 v38, v37, v45, s[26:27]
	v_sub_f32_e32 v37, v41, v118
	v_mul_f32_e32 v41, 0x3fb8aa3b, v37
	v_fma_f32 v45, v37, s56, -v41
	v_rndne_f32_e32 v48, v41
	v_fmac_f32_e32 v45, 0x32a5705f, v37
	v_sub_f32_e32 v41, v41, v48
	v_add_f32_e32 v41, v41, v45
	v_exp_f32_e32 v41, v41
	v_cvt_i32_f32_e32 v45, v48
	v_cmp_ngt_f32_e32 vcc, s57, v37
	v_ldexp_f32 v41, v41, v45
	s_nop 0
	v_cndmask_b32_e32 v41, 0, v41, vcc
	v_cmp_nlt_f32_e32 vcc, s58, v37
	v_mov_b32_e32 v37, s55
	s_nop 0
	v_cndmask_b32_e32 v41, v226, v41, vcc
	v_add_f32_e32 v45, v41, v38
	v_cndmask_b32_e64 v41, v37, v41, s[28:29]
	v_cndmask_b32_e64 v37, v38, v45, s[28:29]
	v_sub_f32_e32 v38, v42, v118
	v_mul_f32_e32 v42, 0x3fb8aa3b, v38
	v_fma_f32 v45, v38, s56, -v42
	v_rndne_f32_e32 v48, v42
	v_fmac_f32_e32 v45, 0x32a5705f, v38
	v_sub_f32_e32 v42, v42, v48
	v_add_f32_e32 v42, v42, v45
	v_exp_f32_e32 v42, v42
	v_cvt_i32_f32_e32 v45, v48
	v_cmp_ngt_f32_e32 vcc, s57, v38
	v_ldexp_f32 v42, v42, v45
	s_nop 0
	;; [unrolled: 20-line block ×3, first 2 shown]
	v_cndmask_b32_e32 v43, 0, v43, vcc
	v_cmp_nlt_f32_e32 vcc, s58, v37
	v_mov_b32_e32 v37, s55
	s_nop 0
	v_cndmask_b32_e32 v43, v226, v43, vcc
	v_add_f32_e32 v45, v43, v38
	v_cndmask_b32_e64 v45, v38, v45, s[34:35]
	v_sub_f32_e32 v38, v120, v118
	v_cndmask_b32_e64 v37, v37, v43, s[34:35]
	v_mul_f32_e32 v43, 0x3fb8aa3b, v38
	v_fma_f32 v48, v38, s56, -v43
	v_rndne_f32_e32 v113, v43
	v_fmac_f32_e32 v48, 0x32a5705f, v38
	v_sub_f32_e32 v43, v43, v113
	v_add_f32_e32 v43, v43, v48
	v_exp_f32_e32 v43, v43
	v_cvt_i32_f32_e32 v48, v113
	v_cmp_ngt_f32_e32 vcc, s57, v38
	v_cvt_f16_f32_e32 v37, v37
	v_ldexp_f32 v43, v43, v48
	v_cndmask_b32_e32 v43, 0, v43, vcc
	v_cmp_nlt_f32_e32 vcc, s58, v38
	s_nop 1
	v_cndmask_b32_e32 v43, v226, v43, vcc
	v_cmp_le_f32_e32 vcc, s59, v38
	s_nop 1
	v_cndmask_b32_e32 v38, 0, v43, vcc
	v_fmac_f32_e32 v45, v119, v38
	v_cvt_f16_f32_e32 v38, v38
	v_cmp_lt_i32_e32 vcc, s52, v125
	s_and_b64 vcc, exec, vcc
	v_pk_mul_f16 v120, v38, v105 op_sel_hi:[0,1]
	v_pk_mul_f16 v119, v38, v104 op_sel_hi:[0,1]
	;; [unrolled: 1-line block ×32, first 2 shown]
	v_cvt_f16_f32_e32 v38, v49
	v_pack_b32_f16 v38, v36, v38
	v_cvt_f16_f32_e32 v36, v112
	v_pack_b32_f16 v39, v36, v39
	v_cvt_f16_f32_e32 v36, v40
	v_cvt_f16_f32_e32 v40, v41
	v_pack_b32_f16 v36, v36, v40
	v_cvt_f16_f32_e32 v40, v42
	v_pack_b32_f16 v37, v40, v37
	v_lshl_add_u64 v[40:41], v[84:85], 2, s[36:37]
	v_lshl_add_u64 v[40:41], v[40:41], 0, v[102:103]
	v_cndmask_b32_e64 v127, v128, v41, s[38:39]
	v_cndmask_b32_e64 v126, v129, v40, s[38:39]
	v_lshl_add_u64 v[40:41], v[86:87], 2, s[36:37]
	v_lshl_add_u64 v[40:41], v[40:41], 0, v[102:103]
	v_cndmask_b32_e64 v117, v128, v41, s[4:5]
	v_cndmask_b32_e64 v116, v129, v40, s[4:5]
	;; [unrolled: 4-line block ×8, first 2 shown]
	flat_load_dwordx4 v[126:129], v[126:127]
	s_waitcnt vmcnt(0) lgkmcnt(0)
	ds_write_b128 v135, v[126:129]
	flat_load_dwordx4 v[126:129], v[116:117]
	s_waitcnt vmcnt(0) lgkmcnt(0)
	ds_write_b128 v136, v[126:129]
	;; [unrolled: 3-line block ×8, first 2 shown]
	s_waitcnt lgkmcnt(0)
	s_barrier
	ds_read_u16 v33, v146 offset:528
	ds_read_u16 v34, v146 offset:1056
	ds_read_u16 v35, v147
	ds_read_u16 v48, v147 offset:32
	v_cvt_f32_f16_e32 v40, v120
	v_cvt_f32_f16_sdwa v41, v120 dst_sel:DWORD dst_unused:UNUSED_PAD src0_sel:WORD_1
	v_cvt_f32_f16_e32 v42, v119
	s_waitcnt lgkmcnt(1)
	v_perm_b32 v35, v35, v34, s60
	ds_read_u16 v34, v145
	ds_read_u16 v49, v145 offset:32
	v_cvt_f32_f16_sdwa v43, v119 dst_sel:DWORD dst_unused:UNUSED_PAD src0_sel:WORD_1
	v_accvgpr_write_b32 a0, v40
	v_accvgpr_write_b32 a1, v41
	s_waitcnt lgkmcnt(1)
	v_perm_b32 v34, v33, v34, s60
	v_accvgpr_write_b32 a2, v42
	v_accvgpr_write_b32 a3, v43
	ds_read_u16 v103, v145 offset:16896
	ds_read_u16 v104, v148 offset:528
	;; [unrolled: 1-line block ×4, first 2 shown]
	v_mfma_f32_16x16x16_f16 a[0:3], v[34:35], v[38:39], a[0:3]
	s_nop 6
	v_accvgpr_read_b32 v33, a0
	v_cvt_f16_f32_e32 v33, v33
	v_accvgpr_read_b32 v34, a1
	v_accvgpr_read_b32 v35, a2
	;; [unrolled: 1-line block ×3, first 2 shown]
	v_cvt_f16_f32_e32 v34, v34
	v_cvt_f16_f32_e32 v35, v35
	;; [unrolled: 1-line block ×3, first 2 shown]
	v_cvt_f32_f16_e32 v40, v33
	v_cvt_f32_f16_e32 v41, v34
	;; [unrolled: 1-line block ×4, first 2 shown]
	s_waitcnt lgkmcnt(0)
	v_perm_b32 v35, v112, v105, s60
	v_perm_b32 v34, v104, v103, s60
	v_accvgpr_write_b32 a0, v40
	v_accvgpr_write_b32 a1, v41
	;; [unrolled: 1-line block ×4, first 2 shown]
	v_cvt_f32_f16_sdwa v41, v228 dst_sel:DWORD dst_unused:UNUSED_PAD src0_sel:WORD_1
	v_cvt_f32_f16_e32 v42, v227
	v_mfma_f32_16x16x16_f16 a[0:3], v[34:35], v[36:37], a[0:3]
	v_cvt_f32_f16_sdwa v43, v227 dst_sel:DWORD dst_unused:UNUSED_PAD src0_sel:WORD_1
	s_nop 5
	v_accvgpr_read_b32 v33, a0
	v_accvgpr_read_b32 v34, a1
	v_cvt_f16_f32_e32 v33, v33
	v_cvt_f16_f32_e32 v34, v34
	v_accvgpr_read_b32 v35, a2
	v_accvgpr_read_b32 v40, a3
	v_cvt_f16_f32_e32 v35, v35
	v_cvt_f16_f32_e32 v40, v40
	v_pack_b32_f16 v105, v33, v34
	ds_read_u16 v33, v149 offset:528
	ds_read_u16 v34, v149 offset:1056
	v_pack_b32_f16 v104, v35, v40
	v_cvt_f32_f16_e32 v40, v228
	s_waitcnt lgkmcnt(0)
	v_perm_b32 v35, v48, v34, s60
	v_perm_b32 v34, v33, v49, s60
	v_accvgpr_write_b32 a0, v40
	v_accvgpr_write_b32 a1, v41
	v_accvgpr_write_b32 a2, v42
	v_accvgpr_write_b32 a3, v43
	ds_read_u16 v48, v150 offset:16896
	ds_read_u16 v49, v151 offset:528
	ds_read_u16 v103, v152 offset:1056
	ds_read_u16 v112, v153 offset:16896
	v_mfma_f32_16x16x16_f16 a[0:3], v[34:35], v[38:39], a[0:3]
	s_nop 6
	v_accvgpr_read_b32 v33, a0
	v_cvt_f16_f32_e32 v33, v33
	v_accvgpr_read_b32 v34, a1
	v_accvgpr_read_b32 v35, a2
	v_accvgpr_read_b32 v40, a3
	v_cvt_f16_f32_e32 v34, v34
	v_cvt_f16_f32_e32 v35, v35
	v_cvt_f16_f32_e32 v43, v40
	v_cvt_f32_f16_e32 v40, v33
	v_cvt_f32_f16_e32 v41, v34
	v_cvt_f32_f16_e32 v42, v35
	v_cvt_f32_f16_e32 v43, v43
	s_waitcnt lgkmcnt(0)
	v_perm_b32 v35, v112, v103, s60
	v_perm_b32 v34, v49, v48, s60
	v_accvgpr_write_b32 a0, v40
	v_accvgpr_write_b32 a1, v41
	v_accvgpr_write_b32 a2, v42
	v_accvgpr_write_b32 a3, v43
	v_cvt_f32_f16_sdwa v41, v230 dst_sel:DWORD dst_unused:UNUSED_PAD src0_sel:WORD_1
	v_cvt_f32_f16_e32 v42, v229
	v_mfma_f32_16x16x16_f16 a[0:3], v[34:35], v[36:37], a[0:3]
	v_cvt_f32_f16_sdwa v43, v229 dst_sel:DWORD dst_unused:UNUSED_PAD src0_sel:WORD_1
	s_nop 5
	v_accvgpr_read_b32 v33, a0
	v_accvgpr_read_b32 v34, a1
	v_accvgpr_read_b32 v35, a2
	v_accvgpr_read_b32 v40, a3
	v_cvt_f16_f32_e32 v33, v33
	v_cvt_f16_f32_e32 v34, v34
	v_cvt_f16_f32_e32 v35, v35
	v_cvt_f16_f32_e32 v40, v40
	v_pack_b32_f16 v228, v33, v34
	v_pack_b32_f16 v227, v35, v40
	ds_read_u16 v33, v145 offset:64
	ds_read_u16 v34, v154 offset:528
	ds_read_u16 v35, v154 offset:1056
	ds_read_u16 v48, v147 offset:64
	v_cvt_f32_f16_e32 v40, v230
	s_waitcnt lgkmcnt(2)
	v_perm_b32 v34, v34, v33, s60
	s_waitcnt lgkmcnt(0)
	v_perm_b32 v35, v48, v35, s60
	v_accvgpr_write_b32 a0, v40
	v_accvgpr_write_b32 a1, v41
	v_accvgpr_write_b32 a2, v42
	v_accvgpr_write_b32 a3, v43
	ds_read_u16 v48, v155 offset:16896
	ds_read_u16 v49, v156 offset:528
	ds_read_u16 v103, v157 offset:1056
	ds_read_u16 v112, v158 offset:16896
	v_mfma_f32_16x16x16_f16 a[0:3], v[34:35], v[38:39], a[0:3]
	s_nop 6
	v_accvgpr_read_b32 v33, a0
	v_cvt_f16_f32_e32 v33, v33
	v_accvgpr_read_b32 v34, a1
	v_accvgpr_read_b32 v35, a2
	v_accvgpr_read_b32 v40, a3
	v_cvt_f16_f32_e32 v34, v34
	v_cvt_f16_f32_e32 v35, v35
	v_cvt_f16_f32_e32 v43, v40
	v_cvt_f32_f16_e32 v40, v33
	v_cvt_f32_f16_e32 v41, v34
	v_cvt_f32_f16_e32 v42, v35
	v_cvt_f32_f16_e32 v43, v43
	s_waitcnt lgkmcnt(0)
	v_perm_b32 v35, v112, v103, s60
	v_perm_b32 v34, v49, v48, s60
	v_accvgpr_write_b32 a0, v40
	v_accvgpr_write_b32 a1, v41
	v_accvgpr_write_b32 a2, v42
	v_accvgpr_write_b32 a3, v43
	v_cvt_f32_f16_sdwa v41, v232 dst_sel:DWORD dst_unused:UNUSED_PAD src0_sel:WORD_1
	v_cvt_f32_f16_e32 v42, v231
	v_mfma_f32_16x16x16_f16 a[0:3], v[34:35], v[36:37], a[0:3]
	v_cvt_f32_f16_sdwa v43, v231 dst_sel:DWORD dst_unused:UNUSED_PAD src0_sel:WORD_1
	s_nop 5
	v_accvgpr_read_b32 v33, a0
	v_accvgpr_read_b32 v34, a1
	v_accvgpr_read_b32 v35, a2
	v_accvgpr_read_b32 v40, a3
	v_cvt_f16_f32_e32 v33, v33
	v_cvt_f16_f32_e32 v34, v34
	v_cvt_f16_f32_e32 v35, v35
	v_cvt_f16_f32_e32 v40, v40
	v_pack_b32_f16 v230, v33, v34
	v_pack_b32_f16 v229, v35, v40
	ds_read_u16 v33, v145 offset:96
	ds_read_u16 v34, v159 offset:528
	ds_read_u16 v35, v159 offset:1056
	ds_read_u16 v48, v147 offset:96
	v_cvt_f32_f16_e32 v40, v232
	s_waitcnt lgkmcnt(2)
	v_perm_b32 v34, v34, v33, s60
	s_waitcnt lgkmcnt(0)
	;; [unrolled: 53-line block ×14, first 2 shown]
	v_perm_b32 v35, v48, v35, s60
	v_accvgpr_write_b32 a0, v40
	v_accvgpr_write_b32 a1, v41
	;; [unrolled: 1-line block ×4, first 2 shown]
	s_nop 1
	v_mfma_f32_16x16x16_f16 a[0:3], v[34:35], v[38:39], a[0:3]
	ds_read_u16 v39, v220 offset:16896
	ds_read_u16 v48, v221 offset:528
	ds_read_u16 v49, v222 offset:1056
	ds_read_u16 v103, v223 offset:16896
	s_waitcnt lgkmcnt(0)
	s_barrier
	s_nop 0
	v_accvgpr_read_b32 v33, a0
	v_cvt_f16_f32_e32 v33, v33
	v_accvgpr_read_b32 v34, a1
	v_accvgpr_read_b32 v35, a2
	;; [unrolled: 1-line block ×3, first 2 shown]
	v_cvt_f16_f32_e32 v34, v34
	v_cvt_f16_f32_e32 v35, v35
	;; [unrolled: 1-line block ×3, first 2 shown]
	v_cvt_f32_f16_e32 v40, v33
	v_cvt_f32_f16_e32 v41, v34
	v_cvt_f32_f16_e32 v42, v35
	v_cvt_f32_f16_e32 v43, v38
	v_perm_b32 v35, v103, v49, s60
	v_perm_b32 v34, v48, v39, s60
	v_accvgpr_write_b32 a0, v40
	v_accvgpr_write_b32 a1, v41
	;; [unrolled: 1-line block ×4, first 2 shown]
	s_nop 1
	v_mfma_f32_16x16x16_f16 a[0:3], v[34:35], v[36:37], a[0:3]
	s_nop 6
	v_accvgpr_read_b32 v33, a0
	v_accvgpr_read_b32 v34, a1
	;; [unrolled: 1-line block ×4, first 2 shown]
	v_cvt_f16_f32_e32 v33, v33
	v_cvt_f16_f32_e32 v34, v34
	;; [unrolled: 1-line block ×4, first 2 shown]
	v_pack_b32_f16 v252, v33, v34
	v_pack_b32_f16 v251, v35, v36
	s_cbranch_vccz .LBB29_372
; %bb.369:                              ;   in Loop: Header=BB29_360 Depth=1
	v_mov_b32_e32 v119, v45
	v_mov_b32_e32 v120, v118
	s_branch .LBB29_360
.LBB29_370:
                                        ; implicit-def: $vgpr144_vgpr145
	s_load_dwordx2 s[2:3], s[0:1], 0x5c
	s_branch .LBB29_7
.LBB29_371:
	v_mov_b32_e32 v45, 0
	v_mov_b32_e32 v118, 0xfeffffff
	;; [unrolled: 1-line block ×33, first 2 shown]
	s_branch .LBB29_373
.LBB29_372:
	v_accvgpr_read_b32 v180, a8
	v_accvgpr_read_b32 v126, a9
	;; [unrolled: 1-line block ×20, first 2 shown]
.LBB29_373:
	s_lshl_b32 s16, s52, 6
	v_readlane_b32 s0, v254, 4
	s_sub_i32 s22, s0, s16
	s_cmp_lg_u64 s[42:43], 0
	s_cselect_b64 s[20:21], -1, 0
	s_ashr_i32 s17, s16, 31
	s_cmp_eq_u64 s[42:43], 0
	v_readlane_b32 s1, v254, 5
	s_cbranch_scc1 .LBB29_391
; %bb.374:
	s_lshl_b64 s[0:1], s[16:17], 1
	s_add_u32 s0, s42, s0
	s_addc_u32 s1, s43, s1
	v_mov_b32_e32 v47, 0
	v_cmp_gt_i32_e32 vcc, s22, v64
	v_lshl_add_u64 v[32:33], s[0:1], 0, v[46:47]
	v_mov_b32_e32 v35, 0
	s_and_saveexec_b64 s[0:1], vcc
	s_cbranch_execz .LBB29_376
; %bb.375:
	v_mul_hi_u32 v34, s2, v36
	v_add_u32_e32 v34, v36, v34
	v_lshrrev_b32_e32 v34, s3, v34
	v_mul_lo_u32 v34, v34, s96
	v_sub_u32_e32 v34, v36, v34
	v_mad_i64_i32 v[34:35], s[4:5], v34, s40, 0
	v_lshl_add_u64 v[34:35], v[34:35], 1, v[32:33]
	flat_load_ushort v35, v[34:35]
.LBB29_376:
	s_or_b64 exec, exec, s[0:1]
	s_movk_i32 s0, 0x90
	v_mad_u32_u24 v34, v180, s0, 0
	v_lshl_add_u32 v36, v64, 1, v34
	s_waitcnt vmcnt(0) lgkmcnt(0)
	ds_write_b16 v36, v35 offset:33792
	s_and_saveexec_b64 s[0:1], vcc
	s_cbranch_execz .LBB29_378
; %bb.377:
	v_mul_hi_u32 v35, s2, v37
	v_add_u32_e32 v35, v37, v35
	v_lshrrev_b32_e32 v35, s3, v35
	v_mul_lo_u32 v35, v35, s96
	v_sub_u32_e32 v35, v37, v35
	v_mad_i64_i32 v[36:37], s[4:5], v35, s40, 0
	v_lshl_add_u64 v[36:37], v[36:37], 1, v[32:33]
	flat_load_ushort v47, v[36:37]
.LBB29_378:
	s_or_b64 exec, exec, s[0:1]
	v_add_u32_e32 v35, 0x240, v34
	v_lshl_add_u32 v34, v64, 1, v35
	s_waitcnt vmcnt(0) lgkmcnt(0)
	ds_write_b16 v34, v47 offset:33792
	v_mov_b32_e32 v34, 0
	v_mov_b32_e32 v36, 0
	s_and_saveexec_b64 s[0:1], vcc
	s_cbranch_execz .LBB29_380
; %bb.379:
	v_mul_hi_u32 v36, s2, v38
	v_add_u32_e32 v36, v38, v36
	v_lshrrev_b32_e32 v36, s3, v36
	v_mul_lo_u32 v36, v36, s96
	v_sub_u32_e32 v36, v38, v36
	v_mad_i64_i32 v[36:37], s[4:5], v36, s40, 0
	v_lshl_add_u64 v[36:37], v[36:37], 1, v[32:33]
	flat_load_ushort v36, v[36:37]
.LBB29_380:
	s_or_b64 exec, exec, s[0:1]
	v_add_u32_e32 v35, 0x240, v35
	v_lshl_add_u32 v37, v64, 1, v35
	s_waitcnt vmcnt(0) lgkmcnt(0)
	ds_write_b16 v37, v36 offset:33792
	s_and_saveexec_b64 s[0:1], vcc
	s_cbranch_execz .LBB29_382
; %bb.381:
	v_mul_hi_u32 v34, s2, v39
	v_add_u32_e32 v34, v39, v34
	v_lshrrev_b32_e32 v34, s3, v34
	v_mul_lo_u32 v34, v34, s96
	v_sub_u32_e32 v34, v39, v34
	v_mad_i64_i32 v[36:37], s[4:5], v34, s40, 0
	v_lshl_add_u64 v[36:37], v[36:37], 1, v[32:33]
	flat_load_ushort v34, v[36:37]
.LBB29_382:
	s_or_b64 exec, exec, s[0:1]
	v_add_u32_e32 v35, 0x240, v35
	v_lshl_add_u32 v36, v64, 1, v35
	s_waitcnt vmcnt(0) lgkmcnt(0)
	ds_write_b16 v36, v34 offset:33792
	v_mov_b32_e32 v34, 0
	v_mov_b32_e32 v36, 0
	s_and_saveexec_b64 s[0:1], vcc
	s_cbranch_execz .LBB29_384
; %bb.383:
	v_mul_hi_u32 v36, s2, v40
	v_add_u32_e32 v36, v40, v36
	v_lshrrev_b32_e32 v36, s3, v36
	v_mul_lo_u32 v36, v36, s96
	v_sub_u32_e32 v36, v40, v36
	v_mad_i64_i32 v[36:37], s[4:5], v36, s40, 0
	v_lshl_add_u64 v[36:37], v[36:37], 1, v[32:33]
	flat_load_ushort v36, v[36:37]
.LBB29_384:
	s_or_b64 exec, exec, s[0:1]
	v_add_u32_e32 v35, 0x240, v35
	;; [unrolled: 36-line block ×3, first 2 shown]
	v_lshl_add_u32 v35, v64, 1, v35
	s_waitcnt vmcnt(0) lgkmcnt(0)
	ds_write_b16 v35, v36 offset:33792
	s_and_saveexec_b64 s[0:1], vcc
	s_cbranch_execz .LBB29_390
; %bb.389:
	v_mul_hi_u32 v34, s2, v43
	v_add_u32_e32 v34, v43, v34
	v_lshrrev_b32_e32 v34, s3, v34
	v_mul_lo_u32 v34, v34, s96
	v_sub_u32_e32 v34, v43, v34
	v_mad_i64_i32 v[36:37], s[2:3], v34, s40, 0
	v_lshl_add_u64 v[32:33], v[36:37], 1, v[32:33]
	flat_load_ushort v34, v[32:33]
.LBB29_390:
	s_or_b64 exec, exec, s[0:1]
	s_waitcnt vmcnt(0) lgkmcnt(0)
	ds_write_b16 v35, v34 offset:34368
.LBB29_391:
	s_mul_hi_i32 s1, s16, s78
	s_mul_i32 s0, s16, s78
	s_lshl_b64 s[0:1], s[0:1], 2
	v_lshl_add_u32 v34, v180, 1, v48
	s_add_u32 s2, s53, s0
	v_mov_b32_e32 v36, 0
	v_mul_lo_u32 v42, s78, v34
	s_addc_u32 s3, s54, s1
	v_mov_b32_e32 v37, v36
	v_mov_b32_e32 v38, v36
	;; [unrolled: 1-line block ×3, first 2 shown]
	v_and_b32_e32 v32, 0x7c, v106
	v_ashrrev_i32_e32 v43, 31, v42
	s_mov_b64 s[0:1], src_private_base
	scratch_store_dwordx4 off, v[36:39], off
	v_lshlrev_b32_e32 v32, 2, v32
	v_mov_b32_e32 v33, v36
	v_lshl_add_u64 v[38:39], v[42:43], 2, s[2:3]
	v_lshl_add_u64 v[36:37], v[38:39], 0, v[32:33]
	v_mov_b32_e32 v35, s1
	v_cmp_gt_i32_e64 s[14:15], s22, v34
	v_mov_b32_e32 v41, 0
	s_lshl_b32 s4, s78, 3
	v_cndmask_b32_e64 v37, v35, v37, s[14:15]
	v_cndmask_b32_e64 v36, v41, v36, s[14:15]
	flat_load_dwordx4 v[36:39], v[36:37]
	v_add_u32_e32 v42, s4, v42
	v_ashrrev_i32_e32 v43, 31, v42
	v_mul_u32_u24_e32 v40, 0x210, v34
	v_add_u32_e32 v48, 8, v34
	v_lshl_add_u64 v[46:47], v[42:43], 2, s[2:3]
	v_add3_u32 v40, 0, v40, v32
	v_lshl_add_u64 v[46:47], v[46:47], 0, v[32:33]
	v_cmp_gt_i32_e64 s[8:9], s22, v48
	v_add_u32_e32 v42, s4, v42
	v_ashrrev_i32_e32 v43, 31, v42
	v_cndmask_b32_e64 v47, v35, v47, s[8:9]
	v_cndmask_b32_e64 v46, v41, v46, s[8:9]
	v_add_u32_e32 v48, 16, v34
	v_cmp_gt_i32_e64 s[10:11], s22, v48
	v_add_u32_e32 v48, 24, v34
	v_cmp_gt_i32_e64 s[12:13], s22, v48
	;; [unrolled: 2-line block ×5, first 2 shown]
	s_and_b64 vcc, exec, s[20:21]
	s_waitcnt vmcnt(0) lgkmcnt(0)
	ds_write_b128 v40, v[36:39]
	flat_load_dwordx4 v[36:39], v[46:47]
	v_lshl_add_u64 v[46:47], v[42:43], 2, s[2:3]
	v_lshl_add_u64 v[46:47], v[46:47], 0, v[32:33]
	v_cndmask_b32_e64 v47, v35, v47, s[10:11]
	v_cndmask_b32_e64 v46, v41, v46, s[10:11]
	v_add_u32_e32 v42, s4, v42
	v_ashrrev_i32_e32 v43, 31, v42
	s_waitcnt vmcnt(0) lgkmcnt(0)
	ds_write_b128 v40, v[36:39] offset:4224
	flat_load_dwordx4 v[36:39], v[46:47]
	v_lshl_add_u64 v[46:47], v[42:43], 2, s[2:3]
	v_lshl_add_u64 v[46:47], v[46:47], 0, v[32:33]
	v_cndmask_b32_e64 v47, v35, v47, s[12:13]
	v_cndmask_b32_e64 v46, v41, v46, s[12:13]
	v_add_u32_e32 v42, s4, v42
	v_ashrrev_i32_e32 v43, 31, v42
	s_waitcnt vmcnt(0) lgkmcnt(0)
	ds_write_b128 v40, v[36:39] offset:8448
	;; [unrolled: 9-line block ×4, first 2 shown]
	flat_load_dwordx4 v[36:39], v[46:47]
	v_lshl_add_u64 v[46:47], v[42:43], 2, s[2:3]
	v_lshl_add_u64 v[46:47], v[46:47], 0, v[32:33]
	v_cndmask_b32_e64 v47, v35, v47, s[0:1]
	v_cndmask_b32_e64 v46, v41, v46, s[0:1]
	v_add_u32_e32 v42, s4, v42
	v_ashrrev_i32_e32 v43, 31, v42
	v_lshl_add_u64 v[42:43], v[42:43], 2, s[2:3]
	v_lshl_add_u64 v[42:43], v[42:43], 0, v[32:33]
	v_and_b32_e32 v33, 16, v126
	s_waitcnt vmcnt(0) lgkmcnt(0)
	ds_write_b128 v40, v[36:39] offset:21120
	flat_load_dwordx4 v[36:39], v[46:47]
	v_add_u32_e32 v46, 56, v34
	v_cmp_gt_i32_e64 s[4:5], s22, v46
	s_waitcnt vmcnt(0) lgkmcnt(0)
	ds_write_b128 v40, v[36:39] offset:25344
	v_cndmask_b32_e64 v43, v35, v43, s[4:5]
	v_cndmask_b32_e64 v42, v41, v42, s[4:5]
	flat_load_dwordx4 v[36:39], v[42:43]
	v_add_u32_e32 v35, 0, v49
	v_mul_u32_u24_e32 v41, 0x210, v33
	v_add3_u32 v35, v35, v85, v41
	v_add_u32_e32 v41, 0x4000, v35
	s_waitcnt vmcnt(0) lgkmcnt(0)
	ds_write_b128 v40, v[36:39] offset:29568
	s_waitcnt lgkmcnt(0)
	s_barrier
	ds_read2_b64 v[36:39], v35 offset1:4
	ds_read2_b64 v[46:49], v41 offset0:64 offset1:68
	s_waitcnt lgkmcnt(1)
	v_mfma_f32_16x16x16_f16 a[0:3], v[36:37], v[28:29], 0
	s_waitcnt lgkmcnt(0)
	v_mfma_f32_16x16x16_f16 a[4:7], v[46:47], v[28:29], 0
	v_mfma_f32_16x16x16_f16 a[0:3], v[38:39], v[30:31], a[0:3]
	ds_read2_b64 v[36:39], v41 offset0:72 offset1:76
	v_mfma_f32_16x16x16_f16 a[4:7], v[48:49], v[30:31], a[4:7]
	ds_read2_b64 v[28:31], v35 offset0:8 offset1:12
	s_waitcnt lgkmcnt(0)
	v_mfma_f32_16x16x16_f16 a[0:3], v[28:29], v[24:25], a[0:3]
	v_mfma_f32_16x16x16_f16 a[4:7], v[36:37], v[24:25], a[4:7]
	v_mfma_f32_16x16x16_f16 a[0:3], v[30:31], v[26:27], a[0:3]
	ds_read2_b64 v[28:31], v41 offset0:80 offset1:84
	v_mfma_f32_16x16x16_f16 a[4:7], v[38:39], v[26:27], a[4:7]
	ds_read2_b64 v[24:27], v35 offset0:16 offset1:20
	s_waitcnt lgkmcnt(0)
	v_mfma_f32_16x16x16_f16 a[0:3], v[24:25], v[20:21], a[0:3]
	;; [unrolled: 7-line block ×5, first 2 shown]
	v_mfma_f32_16x16x16_f16 a[4:7], v[16:17], v[8:9], a[4:7]
	v_and_b32_e32 v17, 0xfc, v100
	v_add_u32_e32 v29, v33, v17
	v_mfma_f32_16x16x16_f16 a[0:3], v[14:15], v[10:11], a[0:3]
	ds_read2_b64 v[12:15], v41 offset0:112 offset1:116
	v_mfma_f32_16x16x16_f16 a[4:7], v[18:19], v[10:11], a[4:7]
	ds_read2_b64 v[8:11], v35 offset0:48 offset1:52
	v_add_u32_e32 v18, 32, v29
	v_add_u32_e32 v19, 34, v29
	s_waitcnt lgkmcnt(0)
	v_mfma_f32_16x16x16_f16 a[0:3], v[8:9], v[4:5], a[0:3]
	v_mfma_f32_16x16x16_f16 a[4:7], v[12:13], v[4:5], a[4:7]
	;; [unrolled: 1-line block ×3, first 2 shown]
	ds_read2_b64 v[8:11], v41 offset0:120 offset1:124
	v_mfma_f32_16x16x16_f16 a[4:7], v[14:15], v[6:7], a[4:7]
	ds_read2_b64 v[4:7], v35 offset0:56 offset1:60
	s_waitcnt lgkmcnt(0)
	s_barrier
	v_mfma_f32_16x16x16_f16 a[0:3], v[4:5], v[0:1], a[0:3]
	v_mfma_f32_16x16x16_f16 a[4:7], v[8:9], v[0:1], a[4:7]
	;; [unrolled: 1-line block ×4, first 2 shown]
	s_cbranch_vccz .LBB29_393
; %bb.392:
	s_movk_i32 s2, 0x90
	v_mad_u32_u24 v10, v84, s2, 0
	v_lshlrev_b32_e32 v8, 1, v29
	s_mov_b32 s2, 0x8400
	v_add_u32_e32 v38, 32, v29
	v_add3_u32 v8, v10, v8, s2
	v_lshl_add_u32 v11, v38, 1, v10
	v_add_u32_e32 v37, 34, v29
	ds_read2_b32 v[8:9], v8 offset1:1
	v_lshl_add_u32 v10, v37, 1, v10
	ds_read_b32 v12, v11 offset:33792
	ds_read_b32 v13, v10 offset:33792
	v_accvgpr_read_b32 v7, a3
	v_accvgpr_read_b32 v0, a4
	s_waitcnt lgkmcnt(2)
	v_cvt_f32_f16_e32 v10, v8
	v_cvt_f32_f16_sdwa v11, v8 dst_sel:DWORD dst_unused:UNUSED_PAD src0_sel:WORD_1
	v_cvt_f32_f16_e32 v8, v9
	v_cvt_f32_f16_sdwa v9, v9 dst_sel:DWORD dst_unused:UNUSED_PAD src0_sel:WORD_1
	s_waitcnt lgkmcnt(1)
	v_cvt_f32_f16_e32 v20, v12
	s_waitcnt lgkmcnt(0)
	v_cvt_f32_f16_e32 v22, v13
	v_cvt_f32_f16_sdwa v23, v13 dst_sel:DWORD dst_unused:UNUSED_PAD src0_sel:WORD_1
	v_cvt_f32_f16_sdwa v21, v12 dst_sel:DWORD dst_unused:UNUSED_PAD src0_sel:WORD_1
	v_accvgpr_read_b32 v6, a2
	v_accvgpr_read_b32 v5, a1
	;; [unrolled: 1-line block ×6, first 2 shown]
	v_pk_fma_f32 v[14:15], v[44:45], v[8:9], v[6:7] op_sel_hi:[0,1,1]
	v_pk_fma_f32 v[12:13], v[44:45], v[10:11], v[4:5] op_sel_hi:[0,1,1]
	;; [unrolled: 1-line block ×4, first 2 shown]
	s_mov_b64 s[2:3], 0
	s_branch .LBB29_394
.LBB29_393:
	s_mov_b64 s[2:3], -1
                                        ; implicit-def: $vgpr12_vgpr13_vgpr14_vgpr15
                                        ; implicit-def: $vgpr8_vgpr9_vgpr10_vgpr11
                                        ; implicit-def: $vgpr38
                                        ; implicit-def: $vgpr37
.LBB29_394:
	v_add_u32_e32 v1, 0x1080, v40
	v_add_u32_e32 v0, 0x2100, v40
	;; [unrolled: 1-line block ×6, first 2 shown]
	s_andn2_b64 vcc, exec, s[2:3]
	v_add_u32_e32 v31, 0x7380, v40
	s_cbranch_vccnz .LBB29_396
; %bb.395:
	v_accvgpr_read_b32 v11, a7
	v_accvgpr_read_b32 v15, a3
	v_mov_b32_e32 v37, v19
	v_mov_b32_e32 v38, v18
	v_accvgpr_read_b32 v10, a6
	v_accvgpr_read_b32 v9, a5
	;; [unrolled: 1-line block ×6, first 2 shown]
.LBB29_396:
	s_mul_hi_i32 s3, s16, s98
	s_mul_i32 s2, s16, s98
	s_lshl_b64 s[2:3], s[2:3], 2
	s_add_u32 s2, s33, s2
	v_mul_lo_u32 v2, s98, v34
	s_addc_u32 s3, s41, s3
	v_ashrrev_i32_e32 v3, 31, v2
	s_mov_b64 s[16:17], src_private_base
	v_lshl_add_u64 v[4:5], v[2:3], 2, s[2:3]
	v_mov_b32_e32 v33, 0
	v_lshl_add_u64 v[4:5], v[4:5], 0, v[32:33]
	v_mov_b32_e32 v44, s17
	v_mov_b32_e32 v41, 0
	v_cndmask_b32_e64 v5, v44, v5, s[14:15]
	v_cndmask_b32_e64 v4, v41, v4, s[14:15]
	s_lshl_b32 s14, s98, 3
	v_add_u32_e32 v2, s14, v2
	v_ashrrev_i32_e32 v3, 31, v2
	v_lshl_add_u64 v[18:19], v[2:3], 2, s[2:3]
	v_add_u32_e32 v2, s14, v2
	v_ashrrev_i32_e32 v3, 31, v2
	v_lshl_add_u64 v[20:21], v[2:3], 2, s[2:3]
	;; [unrolled: 3-line block ×3, first 2 shown]
	v_lshl_add_u64 v[20:21], v[2:3], 2, s[2:3]
	v_add_u32_e32 v2, s14, v2
	v_ashrrev_i32_e32 v3, 31, v2
	v_lshl_add_u64 v[42:43], v[20:21], 0, v[32:33]
	v_lshl_add_u64 v[20:21], v[2:3], 2, s[2:3]
	v_add_u32_e32 v2, s14, v2
	v_ashrrev_i32_e32 v3, 31, v2
	v_lshl_add_u64 v[52:53], v[20:21], 0, v[32:33]
	;; [unrolled: 4-line block ×4, first 2 shown]
	v_lshl_add_u64 v[18:19], v[18:19], 0, v[32:33]
	v_lshl_add_u64 v[20:21], v[20:21], 0, v[32:33]
	;; [unrolled: 1-line block ×3, first 2 shown]
	v_mov_b32_e32 v32, v33
	v_mov_b32_e32 v34, v33
	;; [unrolled: 1-line block ×3, first 2 shown]
	scratch_store_dwordx4 off, v[32:35], off
	flat_load_dwordx4 v[2:5], v[4:5]
	v_cndmask_b32_e64 v19, v44, v19, s[8:9]
	v_cndmask_b32_e64 v18, v41, v18, s[8:9]
	v_mul_u32_u24_e32 v28, 0x420, v109
	v_add_f32_e32 v32, 0x40051340, v12
	v_add3_u32 v69, 0, 32, v28
	v_add3_u32 v70, 0, 64, v28
	v_or_b32_e32 v54, 1, v29
	v_add_f32_e32 v59, 0x40051340, v13
	v_cmp_gt_u32_e64 s[14:15], s22, v54
	v_or_b32_e32 v55, 2, v29
	v_add_f32_e32 v60, 0x40051340, v14
	v_cndmask_b32_e64 v54, v14, v14, s[14:15]
	v_cmp_gt_u32_e64 s[16:17], s22, v55
	v_mbcnt_hi_u32_b32 v30, -1, v68
	s_movk_i32 s3, 0x420
	v_or_b32_e32 v56, 3, v29
	v_add_f32_e32 v61, 0x40051340, v15
	v_and_b32_e32 v33, 64, v30
	v_mad_u32_u24 v68, v109, s3, 0
	v_add_u32_e32 v71, 64, v33
	v_xor_b32_e32 v47, 32, v30
	v_xor_b32_e32 v67, 16, v30
	v_cmp_lt_i32_e32 vcc, v47, v71
	v_add_u32_e32 v57, 33, v29
	v_add_u32_e32 v58, 35, v29
	s_mov_b32 s8, 0
	v_add_f32_e32 v62, 0x40051340, v8
	v_mov_b32_e32 v7, s8
	s_add_i32 s9, 0, 0x80
	v_add_f32_e32 v63, 0x40051340, v9
	v_add_f32_e32 v65, 0x40051340, v10
	;; [unrolled: 1-line block ×3, first 2 shown]
	s_mov_b32 s24, 0x3fb8aa3b
	v_cndmask_b32_e64 v21, v44, v21, s[0:1]
	v_cndmask_b32_e64 v20, v41, v20, s[0:1]
	v_cndmask_b32_e64 v22, v41, v22, s[4:5]
	v_cndmask_b32_e64 v23, v44, v23, s[4:5]
	s_mov_b32 s23, 0xc2ce8ed0
	s_mov_b32 s21, 0x42b17218
	v_mov_b32_e32 v35, 0x7f800000
	s_mov_b32 s20, 0xc1a00000
	s_mov_b32 s2, 0x5040100
	s_movk_i32 s4, 0x210
	s_waitcnt vmcnt(0) lgkmcnt(0)
	ds_write_b128 v40, v[2:5]
	flat_load_dwordx4 v[2:5], v[18:19]
	v_cndmask_b32_e64 v19, v44, v27, s[10:11]
	v_cndmask_b32_e64 v18, v41, v26, s[10:11]
	v_mul_u32_u24_e32 v26, 0x210, v17
	v_add3_u32 v33, v68, v26, v108
	s_add_i32 s10, 0, 0xa0
	s_add_i32 s11, 0, 0xc0
	v_add3_u32 v40, v69, v26, v108
	s_waitcnt vmcnt(0) lgkmcnt(0)
	ds_write_b128 v1, v[2:5]
	flat_load_dwordx4 v[2:5], v[18:19]
	v_cndmask_b32_e64 v19, v44, v43, s[12:13]
	v_cndmask_b32_e64 v18, v41, v42, s[12:13]
	s_add_i32 s12, 0, 0xe0
	v_mov_b32_e32 v1, s8
	v_add3_u32 v43, v70, v26, v108
	s_waitcnt vmcnt(0) lgkmcnt(0)
	ds_write_b128 v0, v[2:5]
	flat_load_dwordx4 v[48:51], v[18:19]
	v_mul_u32_u24_e32 v19, 0x108, v17
	v_max_f32_e32 v18, v118, v118
	v_or_b32_e32 v19, v19, v127
	v_or_b32_e32 v17, 3, v100
	v_max_f32_e32 v32, v18, v32
	v_lshlrev_b32_e32 v28, 1, v19
	v_cndmask_b32_e64 v19, v44, v53, s[6:7]
	v_cndmask_b32_e64 v18, v41, v52, s[6:7]
	v_mul_u32_u24_e32 v27, 0x210, v17
	v_cmp_gt_u32_e64 s[6:7], s22, v29
	v_add3_u32 v34, v68, v27, v108
	v_cndmask_b32_e32 v29, v30, v47, vcc
	v_cmp_lt_i32_e32 vcc, v67, v71
	v_mov_b32_e32 v2, s8
	v_mov_b32_e32 v3, s8
	;; [unrolled: 1-line block ×5, first 2 shown]
	s_add_i32 s8, 0, 0x60
	v_mov_b32_e32 v52, s9
	v_mov_b32_e32 v53, s10
	v_mad_u32_u24 v53, v109, s3, v53
	v_add_u32_e32 v88, v53, v28
	v_add3_u32 v89, v53, v26, v108
	v_add3_u32 v90, v53, v27, v108
	v_mad_u32_u24 v52, v109, s3, v52
	v_add3_u32 v42, v69, v27, v108
	v_add_u32_e32 v85, v52, v28
	v_add3_u32 v86, v52, v26, v108
	v_add3_u32 v87, v52, v27, v108
	;; [unrolled: 1-line block ×3, first 2 shown]
	v_add_u32_e32 v47, v70, v28
	s_waitcnt vmcnt(0) lgkmcnt(0)
	ds_write_b128 v16, v[48:51]
	flat_load_dwordx4 v[16:19], v[18:19]
	v_cndmask_b32_e64 v49, v118, v32, s[6:7]
	v_max_f32_e32 v51, v49, v49
	v_max_f32_e32 v51, v51, v59
	v_cndmask_b32_e64 v49, v49, v51, s[14:15]
	v_max_f32_e32 v14, v49, v49
	v_max_f32_e32 v14, v14, v60
	v_cndmask_b32_e64 v14, v49, v14, s[16:17]
	v_cndmask_b32_e64 v51, v15, v15, s[14:15]
	v_max_f32_e32 v15, v14, v14
	v_add_u32_e32 v32, v68, v28
	v_mov_b32_e32 v68, s12
	v_max_f32_e32 v15, v15, v61
	v_cmp_gt_u32_e64 s[12:13], s22, v56
	v_cndmask_b32_e32 v50, v30, v67, vcc
	v_lshlrev_b32_e32 v30, 2, v29
	v_cndmask_b32_e64 v49, v14, v15, s[12:13]
	v_cndmask_b32_e64 v15, v44, v25, s[18:19]
	;; [unrolled: 1-line block ×3, first 2 shown]
	v_max_f32_e32 v24, v49, v49
	v_lshlrev_b32_e32 v29, 2, v50
	v_mov_b32_e32 v50, s8
	v_max_f32_e32 v24, v24, v62
	v_cmp_gt_u32_e64 s[8:9], s22, v38
	v_mov_b32_e32 v67, s11
	v_cmp_gt_u32_e64 s[10:11], s22, v57
	v_cndmask_b32_e64 v24, v49, v24, s[8:9]
	v_max_f32_e32 v25, v24, v24
	v_max_f32_e32 v25, v25, v63
	v_cndmask_b32_e64 v24, v24, v25, s[10:11]
	v_max_f32_e32 v25, v24, v24
	v_max_f32_e32 v25, v25, v65
	v_cmp_gt_u32_e64 s[18:19], s22, v37
	v_cmp_gt_u32_e32 vcc, s22, v58
	v_mad_u32_u24 v59, v109, s3, v67
	v_cndmask_b32_e64 v24, v24, v25, s[18:19]
	v_max_f32_e32 v25, v24, v24
	v_max_f32_e32 v25, v25, v66
	v_cndmask_b32_e32 v24, v24, v25, vcc
	ds_bpermute_b32 v25, v30, v24
	v_max_f32_e32 v24, v24, v24
	v_add_u32_e32 v91, v59, v28
	v_add3_u32 v92, v59, v26, v108
	v_add3_u32 v93, v59, v27, v108
	s_waitcnt lgkmcnt(0)
	v_max_f32_e32 v25, v25, v25
	v_max_f32_e32 v24, v24, v25
	v_cndmask_b32_e64 v10, v10, v10, s[8:9]
	v_mad_u32_u24 v50, v109, s3, v50
	v_cndmask_b32_e64 v11, v11, v11, s[8:9]
	v_mad_u32_u24 v67, v109, s3, v68
	v_add_u32_e32 v82, v50, v28
	v_add3_u32 v83, v50, v26, v108
	v_add3_u32 v84, v50, v27, v108
	v_add_u32_e32 v94, v67, v28
	v_add3_u32 v95, v67, v26, v108
	v_add3_u32 v96, v67, v27, v108
	v_add_u32_e32 v48, v69, v28
	s_waitcnt vmcnt(0)
	ds_write_b128 v39, v[16:19]
	flat_load_dwordx4 v[14:17], v[14:15]
	ds_bpermute_b32 v18, v29, v24
	v_cndmask_b32_e64 v19, v9, v9, s[8:9]
	s_waitcnt lgkmcnt(0)
	v_max_f32_e32 v9, v18, v18
	v_max_f32_e32 v9, v24, v9
	v_sub_f32_e32 v18, v12, v9
	v_sub_f32_e32 v24, v13, v9
	v_mul_f32_e32 v12, 0x3fb8aa3b, v18
	v_mul_f32_e32 v13, 0x3fb8aa3b, v24
	v_sub_f32_e32 v25, v54, v9
	v_fma_f32 v53, v18, s24, -v12
	v_rndne_f32_e32 v54, v12
	v_fma_f32 v55, v24, s24, -v13
	v_rndne_f32_e32 v56, v13
	v_fmac_f32_e32 v53, 0x32a5705f, v18
	v_sub_f32_e32 v12, v12, v54
	v_fmac_f32_e32 v55, 0x32a5705f, v24
	v_sub_f32_e32 v13, v13, v56
	v_add_f32_e32 v53, v12, v53
	v_add_f32_e32 v55, v13, v55
	v_sub_f32_e32 v37, v51, v9
	v_mul_f32_e32 v39, 0x3fb8aa3b, v25
	v_sub_f32_e32 v8, v8, v9
	v_mul_f32_e32 v41, 0x3fb8aa3b, v37
	v_fma_f32 v57, v25, s24, -v39
	v_rndne_f32_e32 v58, v39
	v_sub_f32_e32 v19, v19, v9
	v_mul_f32_e32 v44, 0x3fb8aa3b, v8
	v_fma_f32 v59, v37, s24, -v41
	v_rndne_f32_e32 v60, v41
	v_cvt_i32_f32_e32 v54, v54
	v_fmac_f32_e32 v57, 0x32a5705f, v25
	v_sub_f32_e32 v39, v39, v58
	v_sub_f32_e32 v10, v10, v9
	v_mul_f32_e32 v49, 0x3fb8aa3b, v19
	v_fma_f32 v61, v8, s24, -v44
	v_rndne_f32_e32 v62, v44
	v_cvt_i32_f32_e32 v56, v56
	v_fmac_f32_e32 v59, 0x32a5705f, v37
	v_sub_f32_e32 v41, v41, v60
	v_add_f32_e32 v39, v39, v57
	v_sub_f32_e32 v11, v11, v9
	v_mul_f32_e32 v50, 0x3fb8aa3b, v10
	v_fma_f32 v63, v19, s24, -v49
	v_rndne_f32_e32 v65, v49
	v_cvt_i32_f32_e32 v58, v58
	v_fmac_f32_e32 v61, 0x32a5705f, v8
	v_sub_f32_e32 v44, v44, v62
	v_add_f32_e32 v41, v41, v59
	;; [unrolled: 8-line block ×3, first 2 shown]
	v_mul_f32_e32 v52, 0x3fb8aa3b, v38
	v_fma_f32 v68, v11, s24, -v51
	v_rndne_f32_e32 v69, v51
	v_cvt_i32_f32_e32 v62, v62
	v_fmac_f32_e32 v66, 0x32a5705f, v10
	v_sub_f32_e32 v50, v50, v67
	v_add_f32_e32 v49, v49, v63
	v_cmp_ngt_f32_e64 s[0:1], s23, v18
	v_fma_f32 v70, v38, s24, -v52
	v_rndne_f32_e32 v71, v52
	v_cvt_i32_f32_e32 v65, v65
	v_fmac_f32_e32 v68, 0x32a5705f, v11
	v_sub_f32_e32 v51, v51, v69
	v_add_f32_e32 v50, v50, v66
	v_cvt_i32_f32_e32 v67, v67
	v_fmac_f32_e32 v70, 0x32a5705f, v38
	v_sub_f32_e32 v52, v52, v71
	v_add_f32_e32 v51, v51, v68
	v_cvt_i32_f32_e32 v69, v69
	v_add_f32_e32 v52, v52, v70
	s_waitcnt vmcnt(0)
	ds_write_b128 v36, v[14:17]
	flat_load_dwordx4 v[12:15], v[20:21]
	v_exp_f32_e32 v16, v53
	v_exp_f32_e32 v17, v55
	;; [unrolled: 1-line block ×5, first 2 shown]
	v_ldexp_f32 v16, v16, v54
	v_exp_f32_e32 v39, v49
	v_ldexp_f32 v17, v17, v56
	v_cndmask_b32_e64 v16, 0, v16, s[0:1]
	v_cmp_ngt_f32_e64 s[0:1], s23, v24
	v_exp_f32_e32 v41, v50
	v_ldexp_f32 v20, v20, v58
	v_cndmask_b32_e64 v17, 0, v17, s[0:1]
	v_cmp_ngt_f32_e64 s[0:1], s23, v25
	;; [unrolled: 4-line block ×3, first 2 shown]
	v_cvt_i32_f32_e32 v71, v71
	v_exp_f32_e32 v49, v52
	v_ldexp_f32 v36, v36, v62
	v_cndmask_b32_e64 v21, 0, v21, s[0:1]
	v_cmp_ngt_f32_e64 s[0:1], s23, v8
	v_ldexp_f32 v39, v39, v65
	v_ldexp_f32 v41, v41, v67
	v_cndmask_b32_e64 v36, 0, v36, s[0:1]
	v_cmp_ngt_f32_e64 s[0:1], s23, v19
	v_ldexp_f32 v44, v44, v69
	v_ldexp_f32 v49, v49, v71
	v_cndmask_b32_e64 v39, 0, v39, s[0:1]
	v_cmp_ngt_f32_e64 s[0:1], s23, v10
	s_waitcnt vmcnt(0) lgkmcnt(0)
	ds_write_b128 v6, v[12:15]
	v_cndmask_b32_e64 v41, 0, v41, s[0:1]
	v_cmp_ngt_f32_e64 s[0:1], s23, v11
	s_nop 1
	v_cndmask_b32_e64 v44, 0, v44, s[0:1]
	v_cmp_ngt_f32_e64 s[0:1], s23, v38
	s_nop 1
	v_cndmask_b32_e64 v49, 0, v49, s[0:1]
	v_cmp_nlt_f32_e64 s[0:1], s21, v18
	s_nop 1
	v_cndmask_b32_e64 v16, v35, v16, s[0:1]
	v_cmp_nlt_f32_e64 s[0:1], s21, v24
	v_cndmask_b32_e64 v16, 0, v16, s[6:7]
	s_nop 0
	v_cndmask_b32_e64 v17, v35, v17, s[0:1]
	v_cmp_nlt_f32_e64 s[0:1], s21, v25
	v_cndmask_b32_e64 v7, v7, v17, s[14:15]
	v_cvt_f16_f32_e32 v7, v7
	v_cndmask_b32_e64 v18, v35, v20, s[0:1]
	v_cmp_nlt_f32_e64 s[0:1], s21, v37
	v_cndmask_b32_e64 v2, v2, v18, s[16:17]
	v_cvt_f16_f32_e32 v2, v2
	;; [unrolled: 4-line block ×5, first 2 shown]
	v_cndmask_b32_e64 v25, v35, v41, s[0:1]
	v_cmp_nlt_f32_e64 s[0:1], s21, v11
	v_cndmask_b32_e64 v4, v4, v25, s[18:19]
	v_add_f32_e32 v11, v17, v16
	v_cvt_f16_f32_e32 v36, v4
	v_cndmask_b32_e64 v4, v16, v11, s[14:15]
	v_add_f32_e32 v11, v4, v18
	v_cndmask_b32_e64 v11, v4, v11, s[16:17]
	v_add_f32_e32 v37, v11, v20
	flat_load_dwordx4 v[20:23], v[22:23]
	v_cndmask_b32_e64 v41, v35, v44, s[0:1]
	v_cmp_nlt_f32_e64 s[0:1], s21, v38
	v_cndmask_b32_e32 v5, v5, v41, vcc
	v_cvt_f16_f32_e32 v5, v5
	v_cndmask_b32_e64 v8, v35, v49, s[0:1]
	v_cmp_le_f32_e64 s[0:1], s20, v38
	v_cndmask_b32_e64 v11, v11, v37, s[12:13]
	v_pack_b32_f16 v5, v36, v5
	v_cndmask_b32_e64 v8, 0, v8, s[0:1]
	v_cvt_f16_f32_e32 v10, v8
	v_cvt_f16_f32_e32 v35, v16
	v_pack_b32_f16 v4, v0, v1
	s_add_i32 s0, 0, 0x100
	v_pk_mul_f16 v38, v10, v105 op_sel_hi:[0,1]
	v_pk_mul_f16 v12, v10, v104 op_sel_hi:[0,1]
	;; [unrolled: 1-line block ×9, first 2 shown]
	v_cvt_f32_f16_e32 v36, v38
	v_cvt_f32_f16_sdwa v37, v38 dst_sel:DWORD dst_unused:UNUSED_PAD src0_sel:WORD_1
	v_cvt_f32_f16_e32 v38, v12
	v_cvt_f32_f16_sdwa v39, v12 dst_sel:DWORD dst_unused:UNUSED_PAD src0_sel:WORD_1
	v_add_f32_e32 v12, v24, v11
	v_pk_mul_f16 v49, v10, v227 op_sel_hi:[0,1]
	v_pk_mul_f16 v57, v10, v229 op_sel_hi:[0,1]
	;; [unrolled: 1-line block ×7, first 2 shown]
	v_cvt_f32_f16_e32 v50, v44
	v_cvt_f32_f16_e32 v54, v55
	;; [unrolled: 1-line block ×7, first 2 shown]
	v_cndmask_b32_e64 v11, v11, v12, s[8:9]
	v_cvt_f32_f16_sdwa v51, v44 dst_sel:DWORD dst_unused:UNUSED_PAD src0_sel:WORD_1
	v_cvt_f32_f16_e32 v52, v49
	v_cvt_f32_f16_sdwa v53, v49 dst_sel:DWORD dst_unused:UNUSED_PAD src0_sel:WORD_1
	v_cvt_f32_f16_sdwa v55, v55 dst_sel:DWORD dst_unused:UNUSED_PAD src0_sel:WORD_1
	v_cvt_f32_f16_e32 v56, v57
	v_cvt_f32_f16_sdwa v57, v57 dst_sel:DWORD dst_unused:UNUSED_PAD src0_sel:WORD_1
	;; [unrolled: 3-line block ×7, first 2 shown]
	v_add_f32_e32 v12, v19, v11
	v_cndmask_b32_e64 v11, v11, v12, s[10:11]
	v_add_f32_e32 v12, v25, v11
	v_pk_mul_f16 v97, v10, v242 op_sel_hi:[0,1]
	v_pk_mul_f16 v98, v10, v241 op_sel_hi:[0,1]
	v_accvgpr_write_b32 a28, v36
	v_accvgpr_write_b32 a24, v50
	;; [unrolled: 1-line block ×8, first 2 shown]
	v_cndmask_b32_e64 v11, v11, v12, s[18:19]
	v_pk_mul_f16 v16, v10, v114 op_sel_hi:[0,1]
	v_pk_mul_f16 v14, v10, v111 op_sel_hi:[0,1]
	;; [unrolled: 1-line block ×3, first 2 shown]
	v_pack_b32_f16 v6, v35, v7
	v_pack_b32_f16 v7, v2, v3
	v_cvt_f32_f16_e32 v0, v97
	v_cvt_f32_f16_sdwa v1, v97 dst_sel:DWORD dst_unused:UNUSED_PAD src0_sel:WORD_1
	v_cvt_f32_f16_e32 v2, v98
	v_cvt_f32_f16_sdwa v3, v98 dst_sel:DWORD dst_unused:UNUSED_PAD src0_sel:WORD_1
	v_accvgpr_write_b32 a29, v37
	v_accvgpr_write_b32 a30, v38
	;; [unrolled: 1-line block ×24, first 2 shown]
	v_add_f32_e32 v12, v41, v11
	s_waitcnt vmcnt(0) lgkmcnt(0)
	ds_write_b128 v31, v[20:23]
	s_waitcnt lgkmcnt(0)
	s_barrier
	ds_read_u16 v22, v33 offset:560
	ds_read_u16 v31, v33 offset:592
	;; [unrolled: 1-line block ×12, first 2 shown]
	ds_read_u16 v21, v34
	ds_read_u16 v24, v33 offset:17952
	ds_read_u16 v25, v34 offset:16896
	;; [unrolled: 1-line block ×28, first 2 shown]
	ds_read_u16 v59, v32
	ds_read_u16 v61, v32 offset:32
	ds_read_u16 v73, v32 offset:64
	;; [unrolled: 1-line block ×46, first 2 shown]
	s_waitcnt lgkmcnt(4)
	v_perm_b32 v21, v21, v115, s2
	v_perm_b32 v20, v20, v59, s2
	;; [unrolled: 1-line block ×3, first 2 shown]
	s_waitcnt lgkmcnt(2)
	v_perm_b32 v24, v117, v23, s2
	v_mfma_f32_16x16x16_f16 a[28:31], v[20:21], v[6:7], a[28:31]
	v_perm_b32 v21, v44, v60, s2
	v_perm_b32 v20, v36, v74, s2
	;; [unrolled: 1-line block ×4, first 2 shown]
	v_mfma_f32_16x16x16_f16 a[16:19], v[20:21], v[6:7], a[16:19]
	v_perm_b32 v21, v87, v71, s2
	v_perm_b32 v20, v38, v76, s2
	v_perm_b32 v35, v41, v58, s2
	v_mfma_f32_16x16x16_f16 a[24:27], v[22:23], v[6:7], a[24:27]
	v_perm_b32 v23, v49, v70, s2
	v_perm_b32 v22, v37, v75, s2
	v_perm_b32 v34, v31, v73, s2
	;; [unrolled: 4-line block ×3, first 2 shown]
	v_mfma_f32_16x16x16_f16 a[12:15], v[22:23], v[6:7], a[12:15]
	v_perm_b32 v23, v88, v72, s2
	v_perm_b32 v22, v39, v77, s2
	v_accvgpr_read_b32 v31, a24
	v_mfma_f32_16x16x16_f16 a[20:23], v[34:35], v[6:7], a[20:23]
	v_accvgpr_read_b32 v34, a25
	v_accvgpr_read_b32 v35, a26
	v_accvgpr_read_b32 v36, a27
	v_mfma_f32_16x16x16_f16 a[0:3], v[20:21], v[6:7], a[0:3]
	v_cvt_f16_f32_e32 v31, v31
	v_perm_b32 v68, v80, v79, s2
	v_cvt_f16_f32_e32 v77, v34
	v_cvt_f16_f32_e32 v78, v35
	v_cvt_f16_f32_e32 v79, v36
	v_accvgpr_read_b32 v20, a28
	v_mfma_f32_16x16x16_f16 a[4:7], v[22:23], v[6:7], a[4:7]
	v_accvgpr_read_b32 v21, a29
	v_accvgpr_read_b32 v22, a30
	;; [unrolled: 1-line block ×5, first 2 shown]
	v_cvt_f16_f32_e32 v20, v20
	v_cvt_f32_f16_e32 v34, v31
	v_perm_b32 v43, v42, v40, s2
	v_accvgpr_read_b32 v38, a21
	v_accvgpr_read_b32 v39, a22
	;; [unrolled: 1-line block ×6, first 2 shown]
	v_cvt_f16_f32_e32 v21, v21
	v_cvt_f16_f32_e32 v22, v22
	;; [unrolled: 1-line block ×5, first 2 shown]
	v_cvt_f32_f16_e32 v35, v77
	v_cvt_f32_f16_e32 v36, v78
	;; [unrolled: 1-line block ×3, first 2 shown]
	v_perm_b32 v67, v69, v67, s2
	v_perm_b32 v69, v82, v81, s2
	;; [unrolled: 1-line block ×3, first 2 shown]
	v_cvt_f16_f32_e32 v81, v38
	v_cvt_f16_f32_e32 v82, v39
	;; [unrolled: 1-line block ×6, first 2 shown]
	v_perm_b32 v61, v56, v55, s2
	v_perm_b32 v63, v65, v63, s2
	;; [unrolled: 1-line block ×3, first 2 shown]
	v_accvgpr_read_b32 v56, a4
	v_accvgpr_read_b32 v57, a5
	v_accvgpr_read_b32 v65, a6
	v_accvgpr_read_b32 v72, a7
	v_cvt_f32_f16_e32 v20, v20
	v_accvgpr_write_b32 a4, v34
	v_accvgpr_read_b32 v41, a16
	v_cvt_f32_f16_e32 v21, v21
	v_cvt_f32_f16_e32 v22, v22
	;; [unrolled: 1-line block ×4, first 2 shown]
	v_accvgpr_write_b32 a5, v35
	v_accvgpr_write_b32 a6, v36
	;; [unrolled: 1-line block ×3, first 2 shown]
	v_cvt_f32_f16_e32 v34, v73
	v_cvt_f16_f32_e32 v84, v41
	v_cvt_f32_f16_e32 v39, v81
	v_cvt_f32_f16_e32 v40, v82
	;; [unrolled: 1-line block ×6, first 2 shown]
	v_accvgpr_write_b32 a0, v20
	v_perm_b32 v59, v46, v52, s2
	v_perm_b32 v60, v54, v53, s2
	v_accvgpr_read_b32 v52, a8
	v_accvgpr_read_b32 v53, a9
	;; [unrolled: 1-line block ×4, first 2 shown]
	v_accvgpr_write_b32 a1, v21
	v_accvgpr_write_b32 a2, v22
	v_accvgpr_write_b32 a3, v23
	v_accvgpr_write_b32 a8, v38
	v_accvgpr_write_b32 a28, v34
	v_cvt_f16_f32_e32 v72, v72
	v_mfma_f32_16x16x16_f16 a[0:3], v[24:25], v[4:5], a[0:3]
	v_accvgpr_write_b32 a9, v39
	v_accvgpr_write_b32 a10, v40
	;; [unrolled: 1-line block ×3, first 2 shown]
	v_perm_b32 v25, v19, v103, s2
	v_accvgpr_write_b32 a29, v35
	v_accvgpr_write_b32 a30, v36
	;; [unrolled: 1-line block ×3, first 2 shown]
	ds_read_u16 v19, v32 offset:256
	ds_read_u16 v31, v32 offset:288
	;; [unrolled: 1-line block ×8, first 2 shown]
	s_waitcnt lgkmcnt(7)
	v_perm_b32 v24, v95, v19, s2
	v_cvt_f16_f32_e32 v120, v56
	v_cvt_f16_f32_e32 v121, v57
	;; [unrolled: 1-line block ×3, first 2 shown]
	v_accvgpr_write_b32 a35, v3
	v_cvt_f32_f16_e32 v23, v72
	v_accvgpr_write_b32 a34, v2
	v_accvgpr_write_b32 a33, v1
	;; [unrolled: 1-line block ×3, first 2 shown]
	v_cvt_f32_f16_e32 v20, v120
	v_cvt_f32_f16_e32 v21, v121
	v_cvt_f32_f16_e32 v22, v65
	v_mfma_f32_16x16x16_f16 a[32:35], v[24:25], v[6:7], a[32:35]
	v_pk_mul_f16 v17, v10, v243 op_sel_hi:[0,1]
	v_accvgpr_write_b32 a27, v23
	v_mov_b32_e32 v19, s0
	v_pk_mul_f16 v18, v10, v244 op_sel_hi:[0,1]
	v_accvgpr_write_b32 a26, v22
	v_accvgpr_write_b32 a25, v21
	;; [unrolled: 1-line block ×3, first 2 shown]
	v_accvgpr_read_b32 v3, a35
	v_mad_u32_u24 v19, v109, s3, v19
	v_cvt_f32_f16_sdwa v23, v17 dst_sel:DWORD dst_unused:UNUSED_PAD src0_sel:WORD_1
	v_accvgpr_read_b32 v0, a32
	v_accvgpr_read_b32 v1, a33
	;; [unrolled: 1-line block ×3, first 2 shown]
	v_cvt_f16_f32_e32 v3, v3
	v_add_u32_e32 v24, v19, v28
	v_add3_u32 v25, v19, v26, v108
	v_add3_u32 v41, v19, v27, v108
	v_cvt_f32_f16_e32 v20, v18
	v_cvt_f32_f16_sdwa v21, v18 dst_sel:DWORD dst_unused:UNUSED_PAD src0_sel:WORD_1
	v_cvt_f32_f16_e32 v22, v17
	v_perm_b32 v19, v90, v104, s2
	s_waitcnt lgkmcnt(6)
	v_perm_b32 v18, v96, v31, s2
	v_cvt_f16_f32_e32 v0, v0
	v_cvt_f16_f32_e32 v1, v1
	;; [unrolled: 1-line block ×3, first 2 shown]
	v_accvgpr_write_b32 a39, v23
	v_cvt_f32_f16_e32 v3, v3
	v_accvgpr_write_b32 a38, v22
	v_accvgpr_write_b32 a37, v21
	;; [unrolled: 1-line block ×3, first 2 shown]
	v_cvt_f32_f16_e32 v0, v0
	v_cvt_f32_f16_e32 v1, v1
	;; [unrolled: 1-line block ×3, first 2 shown]
	v_mfma_f32_16x16x16_f16 a[36:39], v[18:19], v[6:7], a[36:39]
	v_accvgpr_write_b32 a35, v3
	v_perm_b32 v42, v50, v48, s2
	v_accvgpr_write_b32 a34, v2
	v_accvgpr_write_b32 a33, v1
	;; [unrolled: 1-line block ×3, first 2 shown]
	v_accvgpr_read_b32 v44, a17
	v_cvt_f16_f32_e32 v44, v44
	v_accvgpr_read_b32 v3, a39
	v_accvgpr_read_b32 v0, a36
	;; [unrolled: 1-line block ×4, first 2 shown]
	v_cvt_f16_f32_e32 v3, v3
	s_add_i32 s0, 0, 0x120
	v_cvt_f16_f32_e32 v0, v0
	v_cvt_f16_f32_e32 v1, v1
	;; [unrolled: 1-line block ×3, first 2 shown]
	v_mov_b32_e32 v17, s0
	v_mad_u32_u24 v17, v109, s3, v17
	v_perm_b32 v58, v51, v47, s2
	v_accvgpr_read_b32 v47, a19
	v_mfma_f32_16x16x16_f16 a[4:7], v[42:43], v[4:5], a[4:7]
	v_add_u32_e32 v31, v17, v28
	v_add3_u32 v42, v17, v26, v108
	v_add3_u32 v17, v17, v27, v108
	v_cvt_f32_f16_e32 v3, v3
	v_perm_b32 v71, v86, v85, s2
	v_cvt_f16_f32_e32 v86, v47
	v_cvt_f32_f16_e32 v47, v44
	ds_read_u16 v24, v24 offset:16896
	ds_read_u16 v43, v25 offset:17424
	;; [unrolled: 1-line block ×8, first 2 shown]
	v_cvt_f32_f16_e32 v0, v0
	v_cvt_f32_f16_e32 v1, v1
	;; [unrolled: 1-line block ×3, first 2 shown]
	v_pk_mul_f16 v15, v10, v253 op_sel_hi:[0,1]
	v_accvgpr_write_b32 a39, v3
	v_accvgpr_write_b32 a37, v1
	;; [unrolled: 1-line block ×4, first 2 shown]
	v_cvt_f32_f16_sdwa v3, v15 dst_sel:DWORD dst_unused:UNUSED_PAD src0_sel:WORD_1
	s_waitcnt lgkmcnt(0)
	v_perm_b32 v19, v17, v42, s2
	v_cvt_f32_f16_e32 v0, v16
	v_cvt_f32_f16_sdwa v1, v16 dst_sel:DWORD dst_unused:UNUSED_PAD src0_sel:WORD_1
	v_cvt_f32_f16_e32 v2, v15
	v_perm_b32 v17, v91, v105, s2
	v_perm_b32 v16, v97, v34, s2
	v_accvgpr_write_b32 a43, v3
	v_perm_b32 v18, v44, v31, s2
	v_accvgpr_write_b32 a42, v2
	v_accvgpr_write_b32 a41, v1
	;; [unrolled: 1-line block ×3, first 2 shown]
	v_perm_b32 v25, v41, v25, s2
	v_perm_b32 v24, v43, v24, s2
	v_mfma_f32_16x16x16_f16 a[40:43], v[16:17], v[6:7], a[40:43]
	s_add_i32 s0, 0, 0x140
	v_mov_b32_e32 v15, s0
	v_mad_u32_u24 v15, v109, s3, v15
	v_mfma_f32_16x16x16_f16 a[36:39], v[18:19], v[4:5], a[36:39]
	v_cvt_f32_f16_sdwa v19, v13 dst_sel:DWORD dst_unused:UNUSED_PAD src0_sel:WORD_1
	v_add_u32_e32 v20, v15, v28
	v_add3_u32 v21, v15, v26, v108
	v_accvgpr_read_b32 v3, a43
	v_mfma_f32_16x16x16_f16 a[32:35], v[24:25], v[4:5], a[32:35]
	v_accvgpr_read_b32 v0, a40
	v_accvgpr_read_b32 v1, a41
	;; [unrolled: 1-line block ×3, first 2 shown]
	v_cvt_f16_f32_e32 v3, v3
	v_add3_u32 v24, v15, v27, v108
	v_cvt_f32_f16_e32 v16, v14
	v_cvt_f32_f16_sdwa v17, v14 dst_sel:DWORD dst_unused:UNUSED_PAD src0_sel:WORD_1
	v_cvt_f32_f16_e32 v18, v13
	v_perm_b32 v15, v92, v107, s2
	v_perm_b32 v14, v98, v35, s2
	v_cvt_f16_f32_e32 v0, v0
	v_cvt_f16_f32_e32 v1, v1
	;; [unrolled: 1-line block ×3, first 2 shown]
	v_accvgpr_write_b32 a47, v19
	v_cvt_f32_f16_e32 v3, v3
	v_accvgpr_write_b32 a46, v18
	v_accvgpr_write_b32 a45, v17
	;; [unrolled: 1-line block ×3, first 2 shown]
	v_cvt_f32_f16_e32 v0, v0
	v_cvt_f32_f16_e32 v1, v1
	;; [unrolled: 1-line block ×3, first 2 shown]
	v_mfma_f32_16x16x16_f16 a[44:47], v[14:15], v[6:7], a[44:47]
	v_accvgpr_write_b32 a43, v3
	v_accvgpr_write_b32 a41, v1
	;; [unrolled: 1-line block ×4, first 2 shown]
	s_add_i32 s0, 0, 0x160
	v_mov_b32_e32 v13, s0
	v_mad_u32_u24 v13, v109, s3, v13
	v_accvgpr_read_b32 v3, a47
	v_accvgpr_read_b32 v0, a44
	;; [unrolled: 1-line block ×4, first 2 shown]
	v_cvt_f16_f32_e32 v3, v3
	v_cvt_f16_f32_e32 v0, v0
	;; [unrolled: 1-line block ×4, first 2 shown]
	v_cvt_f32_f16_e32 v3, v3
	v_cvt_f32_f16_e32 v0, v0
	;; [unrolled: 1-line block ×4, first 2 shown]
	v_add_u32_e32 v25, v13, v28
	v_add3_u32 v31, v13, v26, v108
	v_add3_u32 v13, v13, v27, v108
	v_pk_mul_f16 v40, v10, v245 op_sel_hi:[0,1]
	ds_read_u16 v20, v20 offset:16896
	ds_read_u16 v34, v21 offset:17424
	;; [unrolled: 1-line block ×8, first 2 shown]
	v_accvgpr_write_b32 a47, v3
	v_pk_mul_f16 v39, v10, v246 op_sel_hi:[0,1]
	v_accvgpr_write_b32 a46, v2
	v_accvgpr_write_b32 a45, v1
	;; [unrolled: 1-line block ×3, first 2 shown]
	v_cvt_f32_f16_sdwa v3, v40 dst_sel:DWORD dst_unused:UNUSED_PAD src0_sel:WORD_1
	v_cvt_f32_f16_e32 v0, v39
	v_cvt_f32_f16_sdwa v1, v39 dst_sel:DWORD dst_unused:UNUSED_PAD src0_sel:WORD_1
	v_cvt_f32_f16_e32 v2, v40
	v_perm_b32 v17, v93, v110, s2
	v_perm_b32 v16, v99, v36, s2
	s_waitcnt lgkmcnt(0)
	v_perm_b32 v15, v13, v31, s2
	v_perm_b32 v14, v35, v25, s2
	v_accvgpr_write_b32 a51, v3
	v_accvgpr_write_b32 a50, v2
	;; [unrolled: 1-line block ×4, first 2 shown]
	v_perm_b32 v21, v24, v21, s2
	v_perm_b32 v20, v34, v20, s2
	v_mfma_f32_16x16x16_f16 a[48:51], v[16:17], v[6:7], a[48:51]
	s_add_i32 s0, 0, 0x180
	v_pk_mul_f16 v23, v10, v247 op_sel_hi:[0,1]
	v_pk_mul_f16 v22, v10, v248 op_sel_hi:[0,1]
	v_mfma_f32_16x16x16_f16 a[44:47], v[14:15], v[4:5], a[44:47]
	v_mov_b32_e32 v14, s0
	v_mad_u32_u24 v14, v109, s3, v14
	v_cvt_f32_f16_sdwa v17, v23 dst_sel:DWORD dst_unused:UNUSED_PAD src0_sel:WORD_1
	v_accvgpr_read_b32 v3, a51
	v_mfma_f32_16x16x16_f16 a[40:43], v[20:21], v[4:5], a[40:43]
	v_accvgpr_read_b32 v0, a48
	v_accvgpr_read_b32 v1, a49
	;; [unrolled: 1-line block ×3, first 2 shown]
	v_cvt_f16_f32_e32 v3, v3
	v_add_u32_e32 v20, v14, v28
	v_add3_u32 v21, v14, v26, v108
	v_add3_u32 v25, v14, v27, v108
	v_cvt_f32_f16_e32 v14, v22
	v_cvt_f32_f16_sdwa v15, v22 dst_sel:DWORD dst_unused:UNUSED_PAD src0_sel:WORD_1
	v_cvt_f32_f16_e32 v16, v23
	v_perm_b32 v19, v113, v111, s2
	v_perm_b32 v18, v100, v37, s2
	v_cvt_f16_f32_e32 v0, v0
	v_cvt_f16_f32_e32 v1, v1
	v_cvt_f16_f32_e32 v2, v2
	v_accvgpr_write_b32 a55, v17
	v_cvt_f32_f16_e32 v3, v3
	v_accvgpr_write_b32 a54, v16
	v_accvgpr_write_b32 a53, v15
	;; [unrolled: 1-line block ×3, first 2 shown]
	v_cvt_f32_f16_e32 v0, v0
	v_cvt_f32_f16_e32 v1, v1
	;; [unrolled: 1-line block ×3, first 2 shown]
	v_mfma_f32_16x16x16_f16 a[52:55], v[18:19], v[6:7], a[52:55]
	v_accvgpr_write_b32 a51, v3
	v_accvgpr_write_b32 a49, v1
	;; [unrolled: 1-line block ×4, first 2 shown]
	v_pk_mul_f16 v24, v10, v249 op_sel_hi:[0,1]
	v_pk_mul_f16 v13, v10, v250 op_sel_hi:[0,1]
	v_perm_b32 v17, v114, v112, s2
	v_accvgpr_read_b32 v3, a55
	v_accvgpr_read_b32 v0, a52
	v_accvgpr_read_b32 v1, a53
	v_accvgpr_read_b32 v2, a54
	v_cvt_f16_f32_e32 v3, v3
	v_cvt_f16_f32_e32 v0, v0
	;; [unrolled: 1-line block ×4, first 2 shown]
	v_cvt_f32_f16_e32 v3, v3
	v_cvt_f32_f16_e32 v0, v0
	;; [unrolled: 1-line block ×4, first 2 shown]
	v_accvgpr_write_b32 a55, v3
	v_accvgpr_write_b32 a52, v0
	;; [unrolled: 1-line block ×4, first 2 shown]
	v_cvt_f32_f16_sdwa v3, v24 dst_sel:DWORD dst_unused:UNUSED_PAD src0_sel:WORD_1
	v_cvt_f32_f16_e32 v0, v13
	v_cvt_f32_f16_sdwa v1, v13 dst_sel:DWORD dst_unused:UNUSED_PAD src0_sel:WORD_1
	v_cvt_f32_f16_e32 v2, v24
	v_perm_b32 v16, v101, v38, s2
	s_add_i32 s0, 0, 0x1a0
	v_mov_b32_e32 v22, s0
	v_accvgpr_write_b32 a59, v3
	v_mad_u32_u24 v22, v109, s3, v22
	v_accvgpr_write_b32 a58, v2
	v_accvgpr_write_b32 a57, v1
	;; [unrolled: 1-line block ×3, first 2 shown]
	v_add_u32_e32 v23, v22, v28
	v_add3_u32 v31, v22, v26, v108
	v_add3_u32 v22, v22, v27, v108
	v_mfma_f32_16x16x16_f16 a[56:59], v[16:17], v[6:7], a[56:59]
	ds_read_u16 v20, v20 offset:16896
	ds_read_u16 v34, v21 offset:17424
	;; [unrolled: 1-line block ×8, first 2 shown]
	s_waitcnt lgkmcnt(4)
	v_perm_b32 v21, v25, v21, s2
	v_perm_b32 v20, v34, v20, s2
	v_accvgpr_read_b32 v3, a59
	v_accvgpr_read_b32 v0, a56
	;; [unrolled: 1-line block ×4, first 2 shown]
	v_cvt_f16_f32_e32 v3, v3
	s_waitcnt lgkmcnt(0)
	v_perm_b32 v15, v22, v31, s2
	v_perm_b32 v14, v35, v23, s2
	v_cvt_f16_f32_e32 v0, v0
	v_cvt_f16_f32_e32 v1, v1
	;; [unrolled: 1-line block ×3, first 2 shown]
	v_cvt_f32_f16_e32 v3, v3
	s_add_i32 s0, 0, 0x1c0
	v_cvt_f32_f16_e32 v0, v0
	v_cvt_f32_f16_e32 v1, v1
	;; [unrolled: 1-line block ×3, first 2 shown]
	v_mfma_f32_16x16x16_f16 a[52:55], v[14:15], v[4:5], a[52:55]
	v_mov_b32_e32 v14, s0
	s_add_i32 s0, 0, 0x1e0
	v_mov_b32_e32 v17, s0
	v_pk_mul_f16 v13, v10, v252 op_sel_hi:[0,1]
	v_pk_mul_f16 v10, v10, v251 op_sel_hi:[0,1]
	v_mad_u32_u24 v14, v109, s3, v14
	v_mad_u32_u24 v17, v109, s3, v17
	v_accvgpr_write_b32 a59, v3
	v_add_u32_e32 v15, v14, v28
	v_add3_u32 v16, v14, v26, v108
	v_add3_u32 v14, v14, v27, v108
	v_add_u32_e32 v18, v17, v28
	v_add3_u32 v19, v17, v26, v108
	v_add3_u32 v17, v17, v27, v108
	v_accvgpr_write_b32 a58, v2
	v_accvgpr_write_b32 a57, v1
	;; [unrolled: 1-line block ×3, first 2 shown]
	v_cvt_f32_f16_sdwa v3, v10 dst_sel:DWORD dst_unused:UNUSED_PAD src0_sel:WORD_1
	v_mfma_f32_16x16x16_f16 a[48:51], v[20:21], v[4:5], a[48:51]
	ds_read_u16 v20, v15 offset:16896
	ds_read_u16 v21, v16 offset:17424
	;; [unrolled: 1-line block ×8, first 2 shown]
	v_cvt_f32_f16_e32 v0, v13
	v_cvt_f32_f16_sdwa v1, v13 dst_sel:DWORD dst_unused:UNUSED_PAD src0_sel:WORD_1
	v_cvt_f32_f16_e32 v2, v10
	v_perm_b32 v17, v118, v33, s2
	v_perm_b32 v16, v116, v32, s2
	v_accvgpr_write_b32 a63, v3
	v_accvgpr_write_b32 a62, v2
	;; [unrolled: 1-line block ×4, first 2 shown]
	v_accvgpr_read_b32 v48, a12
	v_accvgpr_read_b32 v46, a18
	v_mfma_f32_16x16x16_f16 a[60:63], v[16:17], v[6:7], a[60:63]
	v_accvgpr_read_b32 v49, a13
	v_accvgpr_read_b32 v50, a14
	;; [unrolled: 1-line block ×3, first 2 shown]
	v_cvt_f16_f32_e32 v87, v48
	v_cvt_f16_f32_e32 v102, v52
	;; [unrolled: 1-line block ×4, first 2 shown]
	v_accvgpr_read_b32 v3, a63
	v_accvgpr_read_b32 v0, a60
	;; [unrolled: 1-line block ×4, first 2 shown]
	v_cvt_f16_f32_e32 v3, v3
	v_cvt_f16_f32_e32 v0, v0
	;; [unrolled: 1-line block ×9, first 2 shown]
	v_cndmask_b32_e32 v12, v11, v12, vcc
	v_fmac_f32_e32 v12, v45, v8
	v_cvt_f32_f16_e32 v3, v3
	ds_bpermute_b32 v7, v30, v12
	v_cvt_f32_f16_e32 v46, v84
	v_cvt_f32_f16_e32 v50, v87
	v_cvt_f32_f16_e32 v54, v102
	v_cvt_f32_f16_e32 v0, v0
	v_cvt_f32_f16_e32 v1, v1
	v_cvt_f32_f16_e32 v2, v2
	v_cvt_f32_f16_e32 v48, v85
	v_cvt_f32_f16_e32 v49, v86
	v_cvt_f32_f16_e32 v51, v88
	v_cvt_f32_f16_e32 v52, v89
	v_cvt_f32_f16_e32 v53, v94
	v_cvt_f32_f16_e32 v55, v115
	v_cvt_f32_f16_e32 v56, v117
	v_cvt_f32_f16_e32 v57, v119
	s_waitcnt lgkmcnt(5)
	v_perm_b32 v15, v14, v15, s2
	v_perm_b32 v14, v21, v20, s2
	s_waitcnt lgkmcnt(1)
	v_perm_b32 v11, v23, v19, s2
	v_perm_b32 v10, v22, v18, s2
	v_accvgpr_write_b32 a63, v3
	v_accvgpr_write_b32 a12, v46
	;; [unrolled: 1-line block ×7, first 2 shown]
	s_waitcnt lgkmcnt(0)
	v_add_f32_e32 v0, v12, v7
	v_accvgpr_write_b32 a13, v47
	v_accvgpr_write_b32 a14, v48
	;; [unrolled: 1-line block ×9, first 2 shown]
	ds_bpermute_b32 v1, v29, v0
	v_mfma_f32_16x16x16_f16 a[8:11], v[58:59], v[4:5], a[8:11]
	v_cmp_gt_u32_e64 s[0:1], 16, v64
	s_waitcnt lgkmcnt(0)
	s_barrier
	v_mfma_f32_16x16x16_f16 a[12:15], v[60:61], v[4:5], a[12:15]
	v_mfma_f32_16x16x16_f16 a[16:19], v[62:63], v[4:5], a[16:19]
	;; [unrolled: 1-line block ×7, first 2 shown]
	s_and_saveexec_b64 s[2:3], s[0:1]
	s_cbranch_execz .LBB29_398
; %bb.397:
	v_add_f32_e32 v0, v0, v1
	v_or_b32_e32 v1, v126, v64
	v_mad_u32_u24 v1, v1, s4, 0
	ds_write2_b32 v1, v9, v0 offset0:128 offset1:129
.LBB29_398:
	s_or_b64 exec, exec, s[2:3]
	v_cmp_eq_u32_e32 vcc, 0, v122
	v_cmp_eq_u32_e64 s[4:5], 1, v122
	s_waitcnt lgkmcnt(0)
	s_barrier
	s_and_saveexec_b64 s[2:3], s[4:5]
	v_readlane_b32 s8, v254, 22
	v_readlane_b32 s14, v254, 28
	;; [unrolled: 1-line block ×5, first 2 shown]
	s_xor_b64 s[2:3], exec, s[2:3]
	s_mov_b64 s[14:15], s[22:23]
	v_readlane_b32 s9, v254, 23
	v_readlane_b32 s10, v254, 24
	;; [unrolled: 1-line block ×11, first 2 shown]
	s_cbranch_execz .LBB29_400
; %bb.399:
	s_barrier
	s_waitcnt lgkmcnt(0)
                                        ; implicit-def: $vgpr124
                                        ; implicit-def: $vgpr29
.LBB29_400:
	s_andn2_saveexec_b64 s[2:3], s[2:3]
	s_cbranch_execz .LBB29_406
; %bb.401:
	v_and_or_b32 v1, v64, 31, v126
	s_movk_i32 s4, 0x210
	v_mad_u32_u24 v0, v1, s4, 0
	ds_read_b64 v[4:5], v0 offset:512
	s_mov_b32 s4, 0x3fb8aa3b
	s_mov_b32 s6, 0x42b17218
	s_waitcnt lgkmcnt(0)
	s_barrier
	ds_bpermute_b32 v0, v29, v4
	v_max_f32_e32 v2, v4, v4
	s_waitcnt lgkmcnt(0)
	v_max_f32_e32 v0, v0, v0
	v_max_f32_e32 v0, v2, v0
	v_sub_f32_e32 v2, v4, v0
	v_mul_f32_e32 v3, 0x3fb8aa3b, v2
	v_fma_f32 v4, v2, s4, -v3
	v_rndne_f32_e32 v6, v3
	v_fmamk_f32 v4, v2, 0x32a5705f, v4
	v_sub_f32_e32 v3, v3, v6
	v_add_f32_e32 v3, v3, v4
	v_cvt_i32_f32_e32 v6, v6
	v_exp_f32_e32 v3, v3
	s_mov_b32 s4, 0xc2ce8ed0
	v_cmp_ngt_f32_e64 s[4:5], s4, v2
	v_mov_b32_e32 v4, 0x7f800000
	v_ldexp_f32 v3, v3, v6
	v_cndmask_b32_e64 v3, 0, v3, s[4:5]
	v_cmp_nlt_f32_e64 s[4:5], s6, v2
	s_nop 1
	v_cndmask_b32_e64 v2, v4, v3, s[4:5]
	v_mul_f32_e32 v3, v5, v2
	ds_bpermute_b32 v3, v29, v3
	v_cmp_gt_u32_e64 s[4:5], 32, v64
	s_waitcnt lgkmcnt(0)
	v_fmac_f32_e32 v3, v5, v2
	s_and_saveexec_b64 s[6:7], s[4:5]
	s_cbranch_execz .LBB29_403
; %bb.402:
	v_mul_u32_u24_e32 v1, 0x210, v1
	v_add_u32_e32 v1, 0, v1
	ds_write_b64 v1, v[2:3] offset:512
.LBB29_403:
	s_or_b64 exec, exec, s[6:7]
	s_and_saveexec_b64 s[4:5], s[0:1]
	s_cbranch_execz .LBB29_405
; %bb.404:
	s_add_i32 s0, s65, s72
	s_lshl_b32 s0, s0, 5
	s_mov_b32 s1, 0
	s_lshl_b64 s[0:1], s[0:1], 3
	s_add_u32 s0, s14, s0
	v_or_b32_e32 v1, v124, v64
	s_addc_u32 s1, s15, s1
	v_lshlrev_b32_e32 v2, 3, v1
	v_mov_b32_e32 v1, v3
	global_store_dwordx2 v2, v[0:1], s[0:1]
.LBB29_405:
	s_or_b64 exec, exec, s[4:5]
.LBB29_406:
	s_or_b64 exec, exec, s[2:3]
	v_accvgpr_read_b32 v0, a60
	v_accvgpr_read_b32 v1, a61
	;; [unrolled: 1-line block ×3, first 2 shown]
	v_cvt_f16_f32_e32 v0, v0
	v_cvt_f16_f32_e32 v1, v1
	v_accvgpr_read_b32 v62, a2
	v_accvgpr_read_b32 v61, a1
	;; [unrolled: 1-line block ×61, first 2 shown]
	v_cvt_f16_f32_e32 v60, v60
	v_cvt_f16_f32_e32 v61, v61
	;; [unrolled: 1-line block ×62, first 2 shown]
	v_pack_b32_f16 v0, v0, v1
	v_or_b32_e32 v1, v126, v127
	s_movk_i32 s0, 0x84
	v_mad_u32_u24 v1, v1, s0, v128
	v_pack_b32_f16 v62, v62, v63
	v_pack_b32_f16 v60, v60, v61
	s_mov_b32 s3, 0
	v_lshl_add_u32 v1, v1, 2, 0
	v_pack_b32_f16 v58, v58, v59
	v_pack_b32_f16 v56, v56, v57
	;; [unrolled: 1-line block ×29, first 2 shown]
	ds_write2_b32 v1, v60, v62 offset1:1
	ds_write2_b32 v1, v56, v58 offset0:8 offset1:9
	ds_write2_b32 v1, v52, v54 offset0:16 offset1:17
	;; [unrolled: 1-line block ×15, first 2 shown]
	s_waitcnt lgkmcnt(0)
	s_barrier
	s_and_saveexec_b64 s[0:1], vcc
	s_cbranch_execz .LBB29_408
; %bb.407:
	s_lshl_b32 s2, s65, 6
	s_lshl_b64 s[4:5], s[2:3], 3
	s_add_u32 s4, s14, s4
	s_addc_u32 s5, s15, s5
	s_lshl_b32 s2, s72, 12
	s_lshl_b64 s[2:3], s[2:3], 3
	s_add_u32 s2, s4, s2
	v_bfe_u32 v1, v180, 1, 4
	s_movk_i32 s4, 0x3e0
	v_and_or_b32 v0, v180, s4, v1
	s_movk_i32 s4, 0x210
	v_mad_u32_u24 v6, v0, s4, 0
	v_add_u32_e32 v0, v6, v106
	ds_read2st64_b32 v[2:3], v0 offset1:1
	ds_read2st64_b32 v[4:5], v0 offset0:33 offset1:34
	ds_read2st64_b32 v[6:7], v6 offset0:2 offset1:35
	v_lshrrev_b32_e32 v0, 1, v180
	s_addc_u32 s3, s5, s3
	s_waitcnt lgkmcnt(2)
	v_cvt_f32_f16_e32 v8, v2
	v_cvt_f32_f16_sdwa v9, v2 dst_sel:DWORD dst_unused:UNUSED_PAD src0_sel:WORD_1
	s_waitcnt lgkmcnt(1)
	v_cvt_f32_f16_e32 v10, v4
	v_cvt_f32_f16_sdwa v11, v4 dst_sel:DWORD dst_unused:UNUSED_PAD src0_sel:WORD_1
	s_waitcnt lgkmcnt(0)
	v_mov_b32_e32 v2, v7
	v_pk_fma_f32 v[8:9], v[6:7], v[8:9], 0 op_sel_hi:[0,1,0]
	v_lshlrev_b32_e32 v4, 6, v180
	v_pk_fma_f32 v[8:9], v[2:3], v[10:11], v[8:9] op_sel_hi:[0,1,1]
	v_cvt_f32_f16_e32 v10, v3
	v_cvt_f32_f16_sdwa v11, v3 dst_sel:DWORD dst_unused:UNUSED_PAD src0_sel:WORD_1
	v_add_lshl_u32 v12, v64, v4, 3
	v_cvt_f32_f16_e32 v4, v5
	v_cvt_f32_f16_sdwa v5, v5 dst_sel:DWORD dst_unused:UNUSED_PAD src0_sel:WORD_1
	v_pk_fma_f32 v[6:7], v[6:7], v[10:11], 0 op_sel_hi:[0,1,0]
	s_movk_i32 s5, 0x7e0
	global_store_dwordx2 v12, v[8:9], s[2:3]
	v_pk_fma_f32 v[2:3], v[2:3], v[4:5], v[6:7] op_sel_hi:[0,1,1]
	v_add_u32_e32 v6, 2, v0
	v_lshlrev_b32_e32 v4, 1, v6
	v_and_b32_e32 v5, 15, v6
	v_and_or_b32 v4, v4, s5, v5
	v_mad_u32_u24 v7, v4, s4, 0
	v_add_u32_e32 v8, v7, v106
	ds_read2st64_b32 v[4:5], v8 offset1:1
	global_store_dwordx2 v12, v[2:3], s[2:3] offset:512
	ds_read2st64_b32 v[2:3], v8 offset0:33 offset1:34
	ds_read2st64_b32 v[8:9], v7 offset0:2 offset1:35
	v_lshlrev_b32_e32 v6, 7, v6
	s_waitcnt lgkmcnt(2)
	v_cvt_f32_f16_e32 v10, v4
	v_cvt_f32_f16_sdwa v11, v4 dst_sel:DWORD dst_unused:UNUSED_PAD src0_sel:WORD_1
	s_waitcnt lgkmcnt(1)
	v_cvt_f32_f16_e32 v12, v2
	v_cvt_f32_f16_sdwa v13, v2 dst_sel:DWORD dst_unused:UNUSED_PAD src0_sel:WORD_1
	s_waitcnt lgkmcnt(0)
	v_mov_b32_e32 v2, v9
	v_pk_fma_f32 v[10:11], v[8:9], v[10:11], 0 op_sel_hi:[0,1,0]
	v_add_lshl_u32 v4, v64, v6, 3
	v_pk_fma_f32 v[10:11], v[2:3], v[12:13], v[10:11] op_sel_hi:[0,1,1]
	global_store_dwordx2 v4, v[10:11], s[2:3]
	v_cvt_f32_f16_e32 v4, v5
	v_cvt_f32_f16_sdwa v5, v5 dst_sel:DWORD dst_unused:UNUSED_PAD src0_sel:WORD_1
	v_cvt_f32_f16_e32 v10, v3
	v_cvt_f32_f16_sdwa v11, v3 dst_sel:DWORD dst_unused:UNUSED_PAD src0_sel:WORD_1
	v_mov_b32_e32 v65, 0
	v_pk_fma_f32 v[4:5], v[8:9], v[4:5], 0 op_sel_hi:[0,1,0]
	v_add_u32_e32 v8, 4, v0
	v_pk_fma_f32 v[2:3], v[2:3], v[10:11], v[4:5] op_sel_hi:[0,1,1]
	v_lshlrev_b32_e32 v4, 1, v8
	v_and_b32_e32 v5, 15, v8
	v_and_or_b32 v4, v4, s5, v5
	v_mov_b32_e32 v7, v65
	v_mad_u32_u24 v9, v4, s4, 0
	v_lshl_add_u64 v[6:7], v[64:65], 0, v[6:7]
	v_add_u32_e32 v10, v9, v106
	v_lshl_add_u64 v[6:7], v[6:7], 3, s[2:3]
	ds_read2st64_b32 v[4:5], v10 offset1:1
	global_store_dwordx2 v[6:7], v[2:3], off offset:512
	ds_read2st64_b32 v[2:3], v10 offset0:33 offset1:34
	v_lshlrev_b32_e32 v6, 7, v8
	ds_read2st64_b32 v[8:9], v9 offset0:2 offset1:35
	s_waitcnt lgkmcnt(2)
	v_cvt_f32_f16_e32 v10, v4
	v_cvt_f32_f16_sdwa v11, v4 dst_sel:DWORD dst_unused:UNUSED_PAD src0_sel:WORD_1
	s_waitcnt lgkmcnt(1)
	v_cvt_f32_f16_e32 v12, v2
	v_cvt_f32_f16_sdwa v13, v2 dst_sel:DWORD dst_unused:UNUSED_PAD src0_sel:WORD_1
	s_waitcnt lgkmcnt(0)
	v_mov_b32_e32 v2, v9
	v_pk_fma_f32 v[10:11], v[8:9], v[10:11], 0 op_sel_hi:[0,1,0]
	v_add_lshl_u32 v4, v64, v6, 3
	v_pk_fma_f32 v[10:11], v[2:3], v[12:13], v[10:11] op_sel_hi:[0,1,1]
	global_store_dwordx2 v4, v[10:11], s[2:3]
	v_cvt_f32_f16_e32 v4, v5
	v_cvt_f32_f16_sdwa v5, v5 dst_sel:DWORD dst_unused:UNUSED_PAD src0_sel:WORD_1
	v_cvt_f32_f16_e32 v10, v3
	v_cvt_f32_f16_sdwa v11, v3 dst_sel:DWORD dst_unused:UNUSED_PAD src0_sel:WORD_1
	v_mov_b32_e32 v7, v65
	v_pk_fma_f32 v[4:5], v[8:9], v[4:5], 0 op_sel_hi:[0,1,0]
	v_add_u32_e32 v8, 6, v0
	v_pk_fma_f32 v[2:3], v[2:3], v[10:11], v[4:5] op_sel_hi:[0,1,1]
	v_lshlrev_b32_e32 v4, 1, v8
	v_and_b32_e32 v5, 15, v8
	v_and_or_b32 v4, v4, s5, v5
	v_mad_u32_u24 v9, v4, s4, 0
	v_lshl_add_u64 v[6:7], v[64:65], 0, v[6:7]
	v_add_u32_e32 v10, v9, v106
	v_lshl_add_u64 v[6:7], v[6:7], 3, s[2:3]
	ds_read2st64_b32 v[4:5], v10 offset1:1
	global_store_dwordx2 v[6:7], v[2:3], off offset:512
	ds_read2st64_b32 v[2:3], v10 offset0:33 offset1:34
	v_lshlrev_b32_e32 v6, 7, v8
	ds_read2st64_b32 v[8:9], v9 offset0:2 offset1:35
	s_waitcnt lgkmcnt(2)
	v_cvt_f32_f16_e32 v10, v4
	v_cvt_f32_f16_sdwa v11, v4 dst_sel:DWORD dst_unused:UNUSED_PAD src0_sel:WORD_1
	s_waitcnt lgkmcnt(1)
	v_cvt_f32_f16_e32 v12, v2
	v_cvt_f32_f16_sdwa v13, v2 dst_sel:DWORD dst_unused:UNUSED_PAD src0_sel:WORD_1
	s_waitcnt lgkmcnt(0)
	v_mov_b32_e32 v2, v9
	v_pk_fma_f32 v[10:11], v[8:9], v[10:11], 0 op_sel_hi:[0,1,0]
	v_add_lshl_u32 v4, v64, v6, 3
	v_pk_fma_f32 v[10:11], v[2:3], v[12:13], v[10:11] op_sel_hi:[0,1,1]
	global_store_dwordx2 v4, v[10:11], s[2:3]
	v_cvt_f32_f16_e32 v4, v5
	v_cvt_f32_f16_sdwa v5, v5 dst_sel:DWORD dst_unused:UNUSED_PAD src0_sel:WORD_1
	v_cvt_f32_f16_e32 v10, v3
	v_cvt_f32_f16_sdwa v11, v3 dst_sel:DWORD dst_unused:UNUSED_PAD src0_sel:WORD_1
	v_mov_b32_e32 v7, v65
	v_pk_fma_f32 v[4:5], v[8:9], v[4:5], 0 op_sel_hi:[0,1,0]
	v_add_u32_e32 v8, 8, v0
	v_pk_fma_f32 v[2:3], v[2:3], v[10:11], v[4:5] op_sel_hi:[0,1,1]
	v_lshlrev_b32_e32 v4, 1, v8
	v_and_b32_e32 v5, 15, v8
	v_and_or_b32 v4, v4, s5, v5
	v_mad_u32_u24 v9, v4, s4, 0
	v_lshl_add_u64 v[6:7], v[64:65], 0, v[6:7]
	v_add_u32_e32 v10, v9, v106
	v_lshl_add_u64 v[6:7], v[6:7], 3, s[2:3]
	ds_read2st64_b32 v[4:5], v10 offset1:1
	global_store_dwordx2 v[6:7], v[2:3], off offset:512
	ds_read2st64_b32 v[2:3], v10 offset0:33 offset1:34
	v_lshlrev_b32_e32 v6, 7, v8
	ds_read2st64_b32 v[8:9], v9 offset0:2 offset1:35
	s_waitcnt lgkmcnt(2)
	v_cvt_f32_f16_e32 v10, v4
	v_cvt_f32_f16_sdwa v11, v4 dst_sel:DWORD dst_unused:UNUSED_PAD src0_sel:WORD_1
	s_waitcnt lgkmcnt(1)
	v_cvt_f32_f16_e32 v12, v2
	v_cvt_f32_f16_sdwa v13, v2 dst_sel:DWORD dst_unused:UNUSED_PAD src0_sel:WORD_1
	s_waitcnt lgkmcnt(0)
	v_mov_b32_e32 v2, v9
	v_pk_fma_f32 v[10:11], v[8:9], v[10:11], 0 op_sel_hi:[0,1,0]
	v_add_lshl_u32 v4, v64, v6, 3
	v_pk_fma_f32 v[10:11], v[2:3], v[12:13], v[10:11] op_sel_hi:[0,1,1]
	global_store_dwordx2 v4, v[10:11], s[2:3]
	v_cvt_f32_f16_e32 v4, v5
	v_cvt_f32_f16_sdwa v5, v5 dst_sel:DWORD dst_unused:UNUSED_PAD src0_sel:WORD_1
	v_cvt_f32_f16_e32 v10, v3
	v_cvt_f32_f16_sdwa v11, v3 dst_sel:DWORD dst_unused:UNUSED_PAD src0_sel:WORD_1
	v_mov_b32_e32 v7, v65
	v_pk_fma_f32 v[4:5], v[8:9], v[4:5], 0 op_sel_hi:[0,1,0]
	v_add_u32_e32 v8, 10, v0
	v_pk_fma_f32 v[2:3], v[2:3], v[10:11], v[4:5] op_sel_hi:[0,1,1]
	v_lshlrev_b32_e32 v4, 1, v8
	v_and_b32_e32 v5, 15, v8
	v_and_or_b32 v4, v4, s5, v5
	v_mad_u32_u24 v9, v4, s4, 0
	v_lshl_add_u64 v[6:7], v[64:65], 0, v[6:7]
	v_add_u32_e32 v10, v9, v106
	v_lshl_add_u64 v[6:7], v[6:7], 3, s[2:3]
	ds_read2st64_b32 v[4:5], v10 offset1:1
	global_store_dwordx2 v[6:7], v[2:3], off offset:512
	ds_read2st64_b32 v[2:3], v10 offset0:33 offset1:34
	v_lshlrev_b32_e32 v6, 7, v8
	ds_read2st64_b32 v[8:9], v9 offset0:2 offset1:35
	s_waitcnt lgkmcnt(2)
	v_cvt_f32_f16_e32 v10, v4
	v_cvt_f32_f16_sdwa v11, v4 dst_sel:DWORD dst_unused:UNUSED_PAD src0_sel:WORD_1
	s_waitcnt lgkmcnt(1)
	v_cvt_f32_f16_e32 v12, v2
	v_cvt_f32_f16_sdwa v13, v2 dst_sel:DWORD dst_unused:UNUSED_PAD src0_sel:WORD_1
	s_waitcnt lgkmcnt(0)
	v_mov_b32_e32 v2, v9
	v_pk_fma_f32 v[10:11], v[8:9], v[10:11], 0 op_sel_hi:[0,1,0]
	v_add_lshl_u32 v4, v64, v6, 3
	v_pk_fma_f32 v[10:11], v[2:3], v[12:13], v[10:11] op_sel_hi:[0,1,1]
	global_store_dwordx2 v4, v[10:11], s[2:3]
	v_cvt_f32_f16_e32 v4, v5
	v_cvt_f32_f16_sdwa v5, v5 dst_sel:DWORD dst_unused:UNUSED_PAD src0_sel:WORD_1
	v_cvt_f32_f16_e32 v10, v3
	v_cvt_f32_f16_sdwa v11, v3 dst_sel:DWORD dst_unused:UNUSED_PAD src0_sel:WORD_1
	v_mov_b32_e32 v7, v65
	v_pk_fma_f32 v[4:5], v[8:9], v[4:5], 0 op_sel_hi:[0,1,0]
	v_add_u32_e32 v8, 12, v0
	v_pk_fma_f32 v[2:3], v[2:3], v[10:11], v[4:5] op_sel_hi:[0,1,1]
	v_lshlrev_b32_e32 v4, 1, v8
	v_and_b32_e32 v5, 15, v8
	v_and_or_b32 v4, v4, s5, v5
	v_mad_u32_u24 v9, v4, s4, 0
	v_lshl_add_u64 v[6:7], v[64:65], 0, v[6:7]
	v_add_u32_e32 v10, v9, v106
	v_lshl_add_u64 v[6:7], v[6:7], 3, s[2:3]
	ds_read2st64_b32 v[4:5], v10 offset1:1
	global_store_dwordx2 v[6:7], v[2:3], off offset:512
	ds_read2st64_b32 v[2:3], v10 offset0:33 offset1:34
	v_lshlrev_b32_e32 v6, 7, v8
	ds_read2st64_b32 v[8:9], v9 offset0:2 offset1:35
	s_waitcnt lgkmcnt(2)
	v_cvt_f32_f16_e32 v10, v4
	v_cvt_f32_f16_sdwa v11, v4 dst_sel:DWORD dst_unused:UNUSED_PAD src0_sel:WORD_1
	s_waitcnt lgkmcnt(1)
	v_cvt_f32_f16_e32 v12, v2
	v_cvt_f32_f16_sdwa v13, v2 dst_sel:DWORD dst_unused:UNUSED_PAD src0_sel:WORD_1
	s_waitcnt lgkmcnt(0)
	v_mov_b32_e32 v2, v9
	v_pk_fma_f32 v[10:11], v[8:9], v[10:11], 0 op_sel_hi:[0,1,0]
	v_add_lshl_u32 v4, v64, v6, 3
	v_pk_fma_f32 v[10:11], v[2:3], v[12:13], v[10:11] op_sel_hi:[0,1,1]
	global_store_dwordx2 v4, v[10:11], s[2:3]
	v_cvt_f32_f16_e32 v4, v5
	v_cvt_f32_f16_sdwa v5, v5 dst_sel:DWORD dst_unused:UNUSED_PAD src0_sel:WORD_1
	v_cvt_f32_f16_e32 v10, v3
	v_cvt_f32_f16_sdwa v11, v3 dst_sel:DWORD dst_unused:UNUSED_PAD src0_sel:WORD_1
	v_mov_b32_e32 v7, v65
	v_pk_fma_f32 v[4:5], v[8:9], v[4:5], 0 op_sel_hi:[0,1,0]
	v_add_u32_e32 v8, 14, v0
	v_pk_fma_f32 v[2:3], v[2:3], v[10:11], v[4:5] op_sel_hi:[0,1,1]
	v_lshlrev_b32_e32 v4, 1, v8
	v_and_b32_e32 v5, 15, v8
	v_and_or_b32 v4, v4, s5, v5
	v_mad_u32_u24 v9, v4, s4, 0
	v_lshl_add_u64 v[6:7], v[64:65], 0, v[6:7]
	v_add_u32_e32 v10, v9, v106
	v_lshl_add_u64 v[6:7], v[6:7], 3, s[2:3]
	ds_read2st64_b32 v[4:5], v10 offset1:1
	global_store_dwordx2 v[6:7], v[2:3], off offset:512
	ds_read2st64_b32 v[2:3], v10 offset0:33 offset1:34
	v_lshlrev_b32_e32 v6, 7, v8
	ds_read2st64_b32 v[8:9], v9 offset0:2 offset1:35
	s_waitcnt lgkmcnt(2)
	v_cvt_f32_f16_e32 v10, v4
	v_cvt_f32_f16_sdwa v11, v4 dst_sel:DWORD dst_unused:UNUSED_PAD src0_sel:WORD_1
	s_waitcnt lgkmcnt(1)
	v_cvt_f32_f16_e32 v12, v2
	v_cvt_f32_f16_sdwa v13, v2 dst_sel:DWORD dst_unused:UNUSED_PAD src0_sel:WORD_1
	s_waitcnt lgkmcnt(0)
	v_mov_b32_e32 v2, v9
	v_pk_fma_f32 v[10:11], v[8:9], v[10:11], 0 op_sel_hi:[0,1,0]
	v_add_lshl_u32 v4, v64, v6, 3
	v_pk_fma_f32 v[10:11], v[2:3], v[12:13], v[10:11] op_sel_hi:[0,1,1]
	global_store_dwordx2 v4, v[10:11], s[2:3]
	v_cvt_f32_f16_e32 v4, v5
	v_cvt_f32_f16_sdwa v5, v5 dst_sel:DWORD dst_unused:UNUSED_PAD src0_sel:WORD_1
	v_cvt_f32_f16_e32 v10, v3
	v_cvt_f32_f16_sdwa v11, v3 dst_sel:DWORD dst_unused:UNUSED_PAD src0_sel:WORD_1
	v_mov_b32_e32 v7, v65
	v_pk_fma_f32 v[4:5], v[8:9], v[4:5], 0 op_sel_hi:[0,1,0]
	v_add_u32_e32 v8, 16, v0
	v_pk_fma_f32 v[2:3], v[2:3], v[10:11], v[4:5] op_sel_hi:[0,1,1]
	v_lshlrev_b32_e32 v4, 1, v8
	v_and_or_b32 v1, v4, s5, v1
	v_mad_u32_u24 v1, v1, s4, 0
	v_lshl_add_u64 v[6:7], v[64:65], 0, v[6:7]
	v_add_u32_e32 v9, v1, v106
	v_lshl_add_u64 v[6:7], v[6:7], 3, s[2:3]
	ds_read2st64_b32 v[4:5], v9 offset1:1
	global_store_dwordx2 v[6:7], v[2:3], off offset:512
	ds_read2st64_b32 v[2:3], v9 offset0:33 offset1:34
	v_lshlrev_b32_e32 v6, 7, v8
	ds_read2st64_b32 v[8:9], v1 offset0:2 offset1:35
	s_waitcnt lgkmcnt(2)
	v_cvt_f32_f16_e32 v10, v4
	v_cvt_f32_f16_sdwa v11, v4 dst_sel:DWORD dst_unused:UNUSED_PAD src0_sel:WORD_1
	s_waitcnt lgkmcnt(1)
	v_cvt_f32_f16_e32 v12, v2
	v_cvt_f32_f16_sdwa v13, v2 dst_sel:DWORD dst_unused:UNUSED_PAD src0_sel:WORD_1
	s_waitcnt lgkmcnt(0)
	v_mov_b32_e32 v2, v9
	v_pk_fma_f32 v[10:11], v[8:9], v[10:11], 0 op_sel_hi:[0,1,0]
	v_add_lshl_u32 v1, v64, v6, 3
	v_pk_fma_f32 v[10:11], v[2:3], v[12:13], v[10:11] op_sel_hi:[0,1,1]
	v_cvt_f32_f16_e32 v4, v5
	v_cvt_f32_f16_sdwa v5, v5 dst_sel:DWORD dst_unused:UNUSED_PAD src0_sel:WORD_1
	global_store_dwordx2 v1, v[10:11], s[2:3]
	v_cvt_f32_f16_e32 v10, v3
	v_cvt_f32_f16_sdwa v11, v3 dst_sel:DWORD dst_unused:UNUSED_PAD src0_sel:WORD_1
	v_pk_fma_f32 v[4:5], v[8:9], v[4:5], 0 op_sel_hi:[0,1,0]
	v_add_u32_e32 v1, 18, v0
	v_mov_b32_e32 v7, v65
	v_pk_fma_f32 v[2:3], v[2:3], v[10:11], v[4:5] op_sel_hi:[0,1,1]
	v_lshlrev_b32_e32 v4, 1, v1
	v_and_b32_e32 v5, 15, v1
	v_and_or_b32 v4, v4, s5, v5
	v_mad_u32_u24 v8, v4, s4, 0
	v_lshl_add_u64 v[6:7], v[64:65], 0, v[6:7]
	v_add_u32_e32 v9, v8, v106
	v_lshl_add_u64 v[6:7], v[6:7], 3, s[2:3]
	ds_read2st64_b32 v[4:5], v9 offset1:1
	global_store_dwordx2 v[6:7], v[2:3], off offset:512
	ds_read2st64_b32 v[2:3], v9 offset0:33 offset1:34
	ds_read2st64_b32 v[8:9], v8 offset0:2 offset1:35
	v_lshlrev_b32_e32 v6, 7, v1
	s_waitcnt lgkmcnt(2)
	v_cvt_f32_f16_e32 v10, v4
	v_cvt_f32_f16_sdwa v11, v4 dst_sel:DWORD dst_unused:UNUSED_PAD src0_sel:WORD_1
	s_waitcnt lgkmcnt(1)
	v_cvt_f32_f16_e32 v12, v2
	v_cvt_f32_f16_sdwa v13, v2 dst_sel:DWORD dst_unused:UNUSED_PAD src0_sel:WORD_1
	s_waitcnt lgkmcnt(0)
	v_mov_b32_e32 v2, v9
	v_pk_fma_f32 v[10:11], v[8:9], v[10:11], 0 op_sel_hi:[0,1,0]
	v_add_lshl_u32 v1, v64, v6, 3
	v_pk_fma_f32 v[10:11], v[2:3], v[12:13], v[10:11] op_sel_hi:[0,1,1]
	v_cvt_f32_f16_e32 v4, v5
	v_cvt_f32_f16_sdwa v5, v5 dst_sel:DWORD dst_unused:UNUSED_PAD src0_sel:WORD_1
	global_store_dwordx2 v1, v[10:11], s[2:3]
	v_cvt_f32_f16_e32 v10, v3
	v_cvt_f32_f16_sdwa v11, v3 dst_sel:DWORD dst_unused:UNUSED_PAD src0_sel:WORD_1
	v_pk_fma_f32 v[4:5], v[8:9], v[4:5], 0 op_sel_hi:[0,1,0]
	v_add_u32_e32 v1, 20, v0
	v_mov_b32_e32 v7, v65
	v_pk_fma_f32 v[2:3], v[2:3], v[10:11], v[4:5] op_sel_hi:[0,1,1]
	v_lshlrev_b32_e32 v4, 1, v1
	v_and_b32_e32 v5, 15, v1
	v_and_or_b32 v4, v4, s5, v5
	v_mad_u32_u24 v8, v4, s4, 0
	v_lshl_add_u64 v[6:7], v[64:65], 0, v[6:7]
	v_add_u32_e32 v9, v8, v106
	v_lshl_add_u64 v[6:7], v[6:7], 3, s[2:3]
	ds_read2st64_b32 v[4:5], v9 offset1:1
	global_store_dwordx2 v[6:7], v[2:3], off offset:512
	ds_read2st64_b32 v[2:3], v9 offset0:33 offset1:34
	ds_read2st64_b32 v[8:9], v8 offset0:2 offset1:35
	v_lshlrev_b32_e32 v6, 7, v1
	;; [unrolled: 32-line block ×6, first 2 shown]
	s_waitcnt lgkmcnt(2)
	v_cvt_f32_f16_e32 v10, v4
	v_cvt_f32_f16_sdwa v11, v4 dst_sel:DWORD dst_unused:UNUSED_PAD src0_sel:WORD_1
	s_waitcnt lgkmcnt(1)
	v_cvt_f32_f16_e32 v12, v2
	v_cvt_f32_f16_sdwa v13, v2 dst_sel:DWORD dst_unused:UNUSED_PAD src0_sel:WORD_1
	s_waitcnt lgkmcnt(0)
	v_mov_b32_e32 v2, v9
	v_pk_fma_f32 v[10:11], v[8:9], v[10:11], 0 op_sel_hi:[0,1,0]
	v_add_lshl_u32 v1, v64, v6, 3
	v_pk_fma_f32 v[10:11], v[2:3], v[12:13], v[10:11] op_sel_hi:[0,1,1]
	v_cvt_f32_f16_e32 v4, v5
	v_cvt_f32_f16_sdwa v5, v5 dst_sel:DWORD dst_unused:UNUSED_PAD src0_sel:WORD_1
	global_store_dwordx2 v1, v[10:11], s[2:3]
	v_cvt_f32_f16_e32 v10, v3
	v_cvt_f32_f16_sdwa v11, v3 dst_sel:DWORD dst_unused:UNUSED_PAD src0_sel:WORD_1
	v_pk_fma_f32 v[4:5], v[8:9], v[4:5], 0 op_sel_hi:[0,1,0]
	v_mov_b32_e32 v7, v65
	v_lshl_add_u64 v[6:7], v[64:65], 0, v[6:7]
	v_pk_fma_f32 v[2:3], v[2:3], v[10:11], v[4:5] op_sel_hi:[0,1,1]
	v_add_u32_e32 v4, 30, v0
	v_lshlrev_b32_e32 v0, 1, v4
	v_and_b32_e32 v1, 15, v4
	v_and_or_b32 v0, v0, s5, v1
	v_mad_u32_u24 v5, v0, s4, 0
	v_add_u32_e32 v8, v5, v106
	v_lshl_add_u64 v[6:7], v[6:7], 3, s[2:3]
	ds_read2st64_b32 v[0:1], v8 offset1:1
	global_store_dwordx2 v[6:7], v[2:3], off offset:512
	ds_read2st64_b32 v[2:3], v8 offset0:33 offset1:34
	ds_read2st64_b32 v[6:7], v5 offset0:2 offset1:35
	v_lshlrev_b32_e32 v4, 7, v4
	s_waitcnt lgkmcnt(2)
	v_cvt_f32_f16_e32 v8, v0
	v_cvt_f32_f16_sdwa v9, v0 dst_sel:DWORD dst_unused:UNUSED_PAD src0_sel:WORD_1
	s_waitcnt lgkmcnt(1)
	v_cvt_f32_f16_e32 v10, v2
	v_cvt_f32_f16_sdwa v11, v2 dst_sel:DWORD dst_unused:UNUSED_PAD src0_sel:WORD_1
	s_waitcnt lgkmcnt(0)
	v_mov_b32_e32 v0, v7
	v_pk_fma_f32 v[8:9], v[6:7], v[8:9], 0 op_sel_hi:[0,1,0]
	v_add_lshl_u32 v2, v64, v4, 3
	v_pk_fma_f32 v[8:9], v[0:1], v[10:11], v[8:9] op_sel_hi:[0,1,1]
	global_store_dwordx2 v2, v[8:9], s[2:3]
	v_cvt_f32_f16_e32 v8, v1
	v_cvt_f32_f16_sdwa v9, v1 dst_sel:DWORD dst_unused:UNUSED_PAD src0_sel:WORD_1
	v_cvt_f32_f16_e32 v2, v3
	v_cvt_f32_f16_sdwa v3, v3 dst_sel:DWORD dst_unused:UNUSED_PAD src0_sel:WORD_1
	v_mov_b32_e32 v5, v65
	v_lshl_add_u64 v[4:5], v[64:65], 0, v[4:5]
	v_pk_fma_f32 v[6:7], v[6:7], v[8:9], 0 op_sel_hi:[0,1,0]
	v_lshl_add_u64 v[4:5], v[4:5], 3, s[2:3]
	v_pk_fma_f32 v[0:1], v[0:1], v[2:3], v[6:7] op_sel_hi:[0,1,1]
	global_store_dwordx2 v[4:5], v[0:1], off offset:512
.LBB29_408:
	s_or_b64 exec, exec, s[0:1]
	s_barrier
	s_endpgm
	.section	.rodata,"a",@progbits
	.p2align	6, 0x0
	.amdhsa_kernel _ZL18flash_attn_ext_f16ILi256ELi256ELi32ELi1ELb0ELb0EEvPKcS1_S1_S1_S1_PKiPfP15HIP_vector_typeIfLj2EEffffjfiS5_IjLj3EEiiiiiiiiiiiliiliiiiil
		.amdhsa_group_segment_fixed_size 0
		.amdhsa_private_segment_fixed_size 32
		.amdhsa_kernarg_size 464
		.amdhsa_user_sgpr_count 2
		.amdhsa_user_sgpr_dispatch_ptr 0
		.amdhsa_user_sgpr_queue_ptr 0
		.amdhsa_user_sgpr_kernarg_segment_ptr 1
		.amdhsa_user_sgpr_dispatch_id 0
		.amdhsa_user_sgpr_kernarg_preload_length 0
		.amdhsa_user_sgpr_kernarg_preload_offset 0
		.amdhsa_user_sgpr_private_segment_size 0
		.amdhsa_uses_dynamic_stack 0
		.amdhsa_enable_private_segment 1
		.amdhsa_system_sgpr_workgroup_id_x 1
		.amdhsa_system_sgpr_workgroup_id_y 0
		.amdhsa_system_sgpr_workgroup_id_z 0
		.amdhsa_system_sgpr_workgroup_info 0
		.amdhsa_system_vgpr_workitem_id 1
		.amdhsa_next_free_vgpr 454
		.amdhsa_next_free_sgpr 100
		.amdhsa_accum_offset 256
		.amdhsa_reserve_vcc 1
		.amdhsa_float_round_mode_32 0
		.amdhsa_float_round_mode_16_64 0
		.amdhsa_float_denorm_mode_32 3
		.amdhsa_float_denorm_mode_16_64 3
		.amdhsa_dx10_clamp 1
		.amdhsa_ieee_mode 1
		.amdhsa_fp16_overflow 0
		.amdhsa_tg_split 0
		.amdhsa_exception_fp_ieee_invalid_op 0
		.amdhsa_exception_fp_denorm_src 0
		.amdhsa_exception_fp_ieee_div_zero 0
		.amdhsa_exception_fp_ieee_overflow 0
		.amdhsa_exception_fp_ieee_underflow 0
		.amdhsa_exception_fp_ieee_inexact 0
		.amdhsa_exception_int_div_zero 0
	.end_amdhsa_kernel
	.section	.text._ZL18flash_attn_ext_f16ILi256ELi256ELi32ELi1ELb0ELb0EEvPKcS1_S1_S1_S1_PKiPfP15HIP_vector_typeIfLj2EEffffjfiS5_IjLj3EEiiiiiiiiiiiliiliiiiil,"axG",@progbits,_ZL18flash_attn_ext_f16ILi256ELi256ELi32ELi1ELb0ELb0EEvPKcS1_S1_S1_S1_PKiPfP15HIP_vector_typeIfLj2EEffffjfiS5_IjLj3EEiiiiiiiiiiiliiliiiiil,comdat
.Lfunc_end29:
	.size	_ZL18flash_attn_ext_f16ILi256ELi256ELi32ELi1ELb0ELb0EEvPKcS1_S1_S1_S1_PKiPfP15HIP_vector_typeIfLj2EEffffjfiS5_IjLj3EEiiiiiiiiiiiliiliiiiil, .Lfunc_end29-_ZL18flash_attn_ext_f16ILi256ELi256ELi32ELi1ELb0ELb0EEvPKcS1_S1_S1_S1_PKiPfP15HIP_vector_typeIfLj2EEffffjfiS5_IjLj3EEiiiiiiiiiiiliiliiiiil
                                        ; -- End function
	.section	.AMDGPU.csdata,"",@progbits
; Kernel info:
; codeLenInByte = 100560
; NumSgprs: 106
; NumVgprs: 256
; NumAgprs: 198
; TotalNumVgprs: 454
; ScratchSize: 32
; MemoryBound: 0
; FloatMode: 240
; IeeeMode: 1
; LDSByteSize: 0 bytes/workgroup (compile time only)
; SGPRBlocks: 13
; VGPRBlocks: 56
; NumSGPRsForWavesPerEU: 106
; NumVGPRsForWavesPerEU: 454
; AccumOffset: 256
; Occupancy: 1
; WaveLimiterHint : 1
; COMPUTE_PGM_RSRC2:SCRATCH_EN: 1
; COMPUTE_PGM_RSRC2:USER_SGPR: 2
; COMPUTE_PGM_RSRC2:TRAP_HANDLER: 0
; COMPUTE_PGM_RSRC2:TGID_X_EN: 1
; COMPUTE_PGM_RSRC2:TGID_Y_EN: 0
; COMPUTE_PGM_RSRC2:TGID_Z_EN: 0
; COMPUTE_PGM_RSRC2:TIDIG_COMP_CNT: 1
; COMPUTE_PGM_RSRC3_GFX90A:ACCUM_OFFSET: 63
; COMPUTE_PGM_RSRC3_GFX90A:TG_SPLIT: 0
	.section	.text._ZL18flash_attn_ext_f16ILi256ELi256ELi32ELi1ELb1ELb0EEvPKcS1_S1_S1_S1_PKiPfP15HIP_vector_typeIfLj2EEffffjfiS5_IjLj3EEiiiiiiiiiiiliiliiiiil,"axG",@progbits,_ZL18flash_attn_ext_f16ILi256ELi256ELi32ELi1ELb1ELb0EEvPKcS1_S1_S1_S1_PKiPfP15HIP_vector_typeIfLj2EEffffjfiS5_IjLj3EEiiiiiiiiiiiliiliiiiil,comdat
	.globl	_ZL18flash_attn_ext_f16ILi256ELi256ELi32ELi1ELb1ELb0EEvPKcS1_S1_S1_S1_PKiPfP15HIP_vector_typeIfLj2EEffffjfiS5_IjLj3EEiiiiiiiiiiiliiliiiiil ; -- Begin function _ZL18flash_attn_ext_f16ILi256ELi256ELi32ELi1ELb1ELb0EEvPKcS1_S1_S1_S1_PKiPfP15HIP_vector_typeIfLj2EEffffjfiS5_IjLj3EEiiiiiiiiiiiliiliiiiil
	.p2align	8
	.type	_ZL18flash_attn_ext_f16ILi256ELi256ELi32ELi1ELb1ELb0EEvPKcS1_S1_S1_S1_PKiPfP15HIP_vector_typeIfLj2EEffffjfiS5_IjLj3EEiiiiiiiiiiiliiliiiiil,@function
_ZL18flash_attn_ext_f16ILi256ELi256ELi32ELi1ELb1ELb0EEvPKcS1_S1_S1_S1_PKiPfP15HIP_vector_typeIfLj2EEffffjfiS5_IjLj3EEiiiiiiiiiiiliiliiiiil: ; @_ZL18flash_attn_ext_f16ILi256ELi256ELi32ELi1ELb1ELb0EEvPKcS1_S1_S1_S1_PKiPfP15HIP_vector_typeIfLj2EEffffjfiS5_IjLj3EEiiiiiiiiiiiliiliiiiil
; %bb.0:
	s_load_dwordx2 s[10:11], s[0:1], 0x80
	s_load_dwordx4 s[96:99], s[0:1], 0x64
	s_mov_b32 s38, s2
	v_mov_b32_e32 v19, v0
                                        ; implicit-def: $vgpr254 : SGPR spill to VGPR lane
	s_load_dword s67, s[0:1], 0xd0
	s_waitcnt lgkmcnt(0)
	s_abs_i32 s2, s11
	v_cvt_f32_u32_e32 v0, s2
	s_sub_i32 s6, 0, s2
	s_abs_i32 s5, s97
	s_xor_b32 s3, s97, s11
	v_rcp_iflag_f32_e32 v0, v0
	s_ashr_i32 s3, s3, 31
	v_cvt_f32_u32_e32 v1, s67
	s_mov_b32 s4, 0
	v_mul_f32_e32 v0, 0x4f7ffffe, v0
	v_cvt_u32_f32_e32 v0, v0
	v_cvt_f32_ubyte0_e32 v2, 0
	v_readfirstlane_b32 s7, v0
	s_mul_i32 s6, s6, s7
	s_mul_hi_u32 s6, s7, s6
	s_add_i32 s7, s7, s6
	s_mul_hi_u32 s6, s5, s7
	s_mul_i32 s7, s6, s2
	s_sub_i32 s5, s5, s7
	s_add_i32 s8, s6, 1
	s_sub_i32 s7, s5, s2
	s_cmp_ge_u32 s5, s2
	s_cselect_b32 s6, s8, s6
	s_cselect_b32 s5, s7, s5
	s_add_i32 s7, s6, 1
	s_cmp_ge_u32 s5, s2
	s_cselect_b32 s2, s7, s6
	s_add_i32 s5, s10, 63
	s_xor_b32 s2, s2, s3
	s_ashr_i32 s6, s5, 31
	s_sub_i32 s3, s2, s3
	s_lshr_b32 s2, s6, 26
	s_add_i32 s5, s5, s2
	s_add_i32 s2, s96, 31
	s_lshr_b32 s2, s2, 5
	s_ashr_i32 s5, s5, 6
	v_writelane_b32 v254, s2, 0
	v_writelane_b32 v254, s5, 1
	s_mul_i32 s2, s2, s5
	v_writelane_b32 v254, s3, 2
	v_writelane_b32 v254, s2, 3
	s_mul_i32 s3, s2, s3
	s_mov_b32 s2, s10
	v_writelane_b32 v254, s2, 4
	s_nop 1
	v_writelane_b32 v254, s3, 5
	s_mul_i32 s2, s3, s11
	s_mul_i32 s6, s2, s98
	v_writelane_b32 v254, s3, 6
	s_ashr_i32 s7, s6, 31
	v_writelane_b32 v254, s2, 7
	s_mul_i32 s2, s7, s38
	s_mul_hi_u32 s3, s6, s38
	s_add_i32 s5, s3, s2
	s_mul_i32 s8, s6, s38
	s_cmp_lg_u64 s[4:5], 0
	s_cbranch_scc0 .LBB30_2
; %bb.1:
	v_fmamk_f32 v0, v2, 0x4f800000, v1
	v_rcp_f32_e32 v0, v0
	s_sub_u32 s4, 0, s67
	s_subb_u32 s9, 0, 0
	s_mov_b64 s[2:3], 0
	v_mul_f32_e32 v0, 0x5f7ffffc, v0
	v_mul_f32_e32 v3, 0x2f800000, v0
	v_trunc_f32_e32 v3, v3
	v_fmamk_f32 v0, v3, 0xcf800000, v0
	v_cvt_u32_f32_e32 v3, v3
	v_cvt_u32_f32_e32 v0, v0
	v_readfirstlane_b32 s10, v3
	v_readfirstlane_b32 s11, v0
	s_mul_hi_u32 s13, s4, s11
	s_mul_i32 s14, s4, s10
	s_mul_i32 s12, s9, s11
	s_add_i32 s13, s13, s14
	s_add_i32 s13, s13, s12
	s_mul_i32 s15, s4, s11
	s_mul_hi_u32 s12, s11, s13
	s_mul_i32 s14, s11, s13
	s_mul_hi_u32 s11, s11, s15
	s_add_u32 s11, s11, s14
	s_addc_u32 s12, 0, s12
	s_mul_hi_u32 s16, s10, s15
	s_mul_i32 s15, s10, s15
	s_add_u32 s11, s11, s15
	s_mul_hi_u32 s14, s10, s13
	s_addc_u32 s11, s12, s16
	s_addc_u32 s12, s14, 0
	s_mul_i32 s13, s10, s13
	s_add_u32 s11, s11, s13
	s_addc_u32 s12, 0, s12
	v_add_co_u32_e32 v0, vcc, s11, v0
	s_cmp_lg_u64 vcc, 0
	s_addc_u32 s10, s10, s12
	v_readfirstlane_b32 s12, v0
	s_mul_i32 s11, s4, s10
	s_mul_hi_u32 s13, s4, s12
	s_add_i32 s11, s13, s11
	s_mul_i32 s9, s9, s12
	s_add_i32 s11, s11, s9
	s_mul_i32 s4, s4, s12
	s_mul_hi_u32 s13, s10, s4
	s_mul_i32 s14, s10, s4
	s_mul_i32 s16, s12, s11
	s_mul_hi_u32 s4, s12, s4
	s_mul_hi_u32 s15, s12, s11
	s_add_u32 s4, s4, s16
	s_addc_u32 s12, 0, s15
	s_add_u32 s4, s4, s14
	s_mul_hi_u32 s9, s10, s11
	s_addc_u32 s4, s12, s13
	s_addc_u32 s9, s9, 0
	s_mul_i32 s11, s10, s11
	s_add_u32 s4, s4, s11
	s_addc_u32 s9, 0, s9
	v_add_co_u32_e32 v0, vcc, s4, v0
	s_cmp_lg_u64 vcc, 0
	s_addc_u32 s9, s10, s9
	s_ashr_i32 s10, s5, 31
	s_add_u32 s4, s8, s10
	s_mov_b32 s11, s10
	s_addc_u32 s5, s5, s10
	s_xor_b64 s[4:5], s[4:5], s[10:11]
	v_readfirstlane_b32 s14, v0
	s_mul_i32 s13, s4, s9
	s_mul_hi_u32 s15, s4, s14
	s_mul_hi_u32 s12, s4, s9
	s_add_u32 s13, s15, s13
	s_addc_u32 s12, 0, s12
	s_mul_hi_u32 s16, s5, s14
	s_mul_i32 s14, s5, s14
	s_add_u32 s13, s13, s14
	s_mul_hi_u32 s15, s5, s9
	s_addc_u32 s12, s12, s16
	s_addc_u32 s13, s15, 0
	s_mul_i32 s9, s5, s9
	s_add_u32 s9, s12, s9
	s_addc_u32 s12, 0, s13
	s_add_u32 s13, s9, 1
	s_addc_u32 s14, s12, 0
	s_add_u32 s15, s9, 2
	s_mul_i32 s17, s67, s12
	s_mul_hi_u32 s18, s67, s9
	s_addc_u32 s16, s12, 0
	s_add_i32 s18, s18, s17
	s_mul_i32 s17, s67, s9
	v_mov_b32_e32 v0, s17
	v_sub_co_u32_e32 v0, vcc, s4, v0
	s_cmp_lg_u64 vcc, 0
	s_subb_u32 s4, s5, s18
	v_subrev_co_u32_e32 v3, vcc, s67, v0
	s_cmp_lg_u64 vcc, 0
	s_subb_u32 s5, s4, 0
	v_readfirstlane_b32 s17, v3
	s_cmp_ge_u32 s17, s67
	s_cselect_b32 s17, -1, 0
	s_cmp_eq_u32 s5, 0
	s_cselect_b32 s5, s17, -1
	s_cmp_lg_u32 s5, 0
	s_cselect_b32 s5, s16, s14
	v_readfirstlane_b32 s14, v0
	s_cselect_b32 s13, s15, s13
	s_cmp_ge_u32 s14, s67
	s_cselect_b32 s14, -1, 0
	s_cmp_eq_u32 s4, 0
	s_cselect_b32 s4, s14, -1
	s_cmp_lg_u32 s4, 0
	s_cselect_b32 s5, s5, s12
	s_cselect_b32 s4, s13, s9
	s_xor_b64 s[4:5], s[4:5], s[10:11]
	s_sub_u32 s42, s4, s10
	s_branch .LBB30_3
.LBB30_2:
	s_mov_b64 s[2:3], -1
                                        ; implicit-def: $sgpr42_sgpr43
.LBB30_3:
	s_load_dwordx2 s[4:5], s[0:1], 0x74
	v_cvt_f32_u32_e32 v0, s67
	s_andn2_b64 vcc, exec, s[2:3]
	s_waitcnt lgkmcnt(0)
	v_writelane_b32 v254, s4, 8
	s_nop 1
	v_writelane_b32 v254, s5, 9
	s_cbranch_vccnz .LBB30_5
; %bb.4:
	v_rcp_iflag_f32_e32 v3, v0
	s_sub_i32 s2, 0, s67
	v_mul_f32_e32 v3, 0x4f7ffffe, v3
	v_cvt_u32_f32_e32 v3, v3
	s_nop 0
	v_readfirstlane_b32 s3, v3
	s_mul_i32 s2, s2, s3
	s_mul_hi_u32 s2, s3, s2
	s_add_i32 s3, s3, s2
	s_mul_hi_u32 s2, s8, s3
	s_mul_i32 s4, s2, s67
	s_sub_i32 s4, s8, s4
	s_add_i32 s3, s2, 1
	s_sub_i32 s5, s4, s67
	s_cmp_ge_u32 s4, s67
	s_cselect_b32 s2, s3, s2
	s_cselect_b32 s4, s5, s4
	s_add_i32 s3, s2, 1
	s_cmp_ge_u32 s4, s67
	s_cselect_b32 s42, s3, s2
.LBB30_5:
	s_add_i32 s2, s38, 1
	s_mul_i32 s3, s7, s2
	s_mul_hi_u32 s4, s6, s2
	s_add_i32 s5, s4, s3
	s_mov_b32 s4, 0
	s_cmp_lg_u64 s[4:5], 0
	s_mul_i32 s4, s6, s2
	s_cbranch_scc0 .LBB30_7
; %bb.6:
	v_fmamk_f32 v1, v2, 0x4f800000, v1
	v_rcp_f32_e32 v1, v1
	s_sub_u32 s6, 0, s67
	s_subb_u32 s7, 0, 0
	v_mov_b32_e32 v5, 0
	v_mul_f32_e32 v1, 0x5f7ffffc, v1
	v_mul_f32_e32 v2, 0x2f800000, v1
	v_trunc_f32_e32 v2, v2
	v_fmamk_f32 v1, v2, 0xcf800000, v1
	v_cvt_u32_f32_e32 v6, v2
	v_cvt_u32_f32_e32 v1, v1
	s_mov_b64 s[2:3], 0
	v_mul_lo_u32 v2, s6, v6
	v_mul_hi_u32 v4, s6, v1
	v_mul_lo_u32 v3, s7, v1
	v_add_u32_e32 v2, v4, v2
	v_add_u32_e32 v7, v2, v3
	v_mul_lo_u32 v8, s6, v1
	v_mul_hi_u32 v3, v1, v7
	v_mul_lo_u32 v2, v1, v7
	v_mul_hi_u32 v4, v1, v8
	v_lshl_add_u64 v[2:3], v[4:5], 0, v[2:3]
	v_mul_hi_u32 v4, v6, v8
	v_mul_lo_u32 v8, v6, v8
	v_add_co_u32_e32 v2, vcc, v2, v8
	v_mul_hi_u32 v9, v6, v7
	s_nop 0
	v_addc_co_u32_e32 v4, vcc, v3, v4, vcc
	v_mul_lo_u32 v2, v6, v7
	s_nop 0
	v_addc_co_u32_e32 v3, vcc, 0, v9, vcc
	v_lshl_add_u64 v[2:3], v[4:5], 0, v[2:3]
	v_add_co_u32_e32 v1, vcc, v1, v2
	v_mul_lo_u32 v4, s6, v1
	s_nop 0
	v_addc_co_u32_e32 v6, vcc, v6, v3, vcc
	v_mul_lo_u32 v2, s6, v6
	v_mul_hi_u32 v3, s6, v1
	v_add_u32_e32 v2, v3, v2
	v_mul_lo_u32 v3, s7, v1
	v_add_u32_e32 v7, v2, v3
	v_mul_hi_u32 v9, v6, v4
	v_mul_lo_u32 v10, v6, v4
	v_mul_hi_u32 v3, v1, v7
	v_mul_lo_u32 v2, v1, v7
	v_mul_hi_u32 v4, v1, v4
	v_lshl_add_u64 v[2:3], v[4:5], 0, v[2:3]
	v_add_co_u32_e32 v2, vcc, v2, v10
	v_mul_hi_u32 v8, v6, v7
	s_nop 0
	v_addc_co_u32_e32 v4, vcc, v3, v9, vcc
	v_mul_lo_u32 v2, v6, v7
	s_nop 0
	v_addc_co_u32_e32 v3, vcc, 0, v8, vcc
	s_ashr_i32 s6, s5, 31
	v_lshl_add_u64 v[2:3], v[4:5], 0, v[2:3]
	s_add_u32 s8, s4, s6
	v_add_co_u32_e32 v1, vcc, v1, v2
	s_mov_b32 s7, s6
	s_addc_u32 s9, s5, s6
	v_addc_co_u32_e32 v6, vcc, v6, v3, vcc
	s_xor_b64 s[8:9], s[8:9], s[6:7]
	v_mul_hi_u32 v3, s8, v6
	v_mul_lo_u32 v2, s8, v6
	v_mul_hi_u32 v4, s8, v1
	v_lshl_add_u64 v[2:3], v[4:5], 0, v[2:3]
	v_mul_hi_u32 v4, s9, v1
	v_mul_lo_u32 v1, s9, v1
	v_add_co_u32_e32 v1, vcc, v2, v1
	v_mul_hi_u32 v7, s9, v6
	s_nop 0
	v_addc_co_u32_e32 v4, vcc, v3, v4, vcc
	v_mul_lo_u32 v2, s9, v6
	s_nop 0
	v_addc_co_u32_e32 v3, vcc, 0, v7, vcc
	v_lshl_add_u64 v[2:3], v[4:5], 0, v[2:3]
	v_lshl_add_u64 v[4:5], v[2:3], 0, 1
	;; [unrolled: 1-line block ×3, first 2 shown]
	v_mul_lo_u32 v1, s67, v3
	v_mul_hi_u32 v3, s67, v2
	v_add_u32_e32 v1, v3, v1
	v_mul_lo_u32 v3, s67, v2
	v_mov_b32_e32 v5, s9
	v_sub_co_u32_e32 v3, vcc, s8, v3
	s_nop 1
	v_subb_co_u32_e32 v1, vcc, v5, v1, vcc
	v_subrev_co_u32_e32 v5, vcc, s67, v3
	s_nop 1
	v_subbrev_co_u32_e32 v7, vcc, 0, v1, vcc
	v_cmp_le_u32_e32 vcc, s67, v5
	s_nop 1
	v_cndmask_b32_e64 v5, 0, -1, vcc
	v_cmp_eq_u32_e32 vcc, 0, v7
	s_nop 1
	v_cndmask_b32_e32 v5, -1, v5, vcc
	v_cmp_ne_u32_e32 vcc, 0, v5
	s_nop 1
	v_cndmask_b32_e32 v4, v4, v6, vcc
	v_cmp_le_u32_e32 vcc, s67, v3
	s_nop 1
	v_cndmask_b32_e64 v3, 0, -1, vcc
	v_cmp_eq_u32_e32 vcc, 0, v1
	s_nop 1
	v_cndmask_b32_e32 v1, -1, v3, vcc
	v_cmp_ne_u32_e32 vcc, 0, v1
	s_nop 1
	v_cndmask_b32_e32 v1, v2, v4, vcc
	v_xor_b32_e32 v1, s6, v1
	v_subrev_co_u32_e32 v156, vcc, s6, v1
	s_branch .LBB30_8
.LBB30_7:
	s_mov_b64 s[2:3], -1
                                        ; implicit-def: $vgpr156_vgpr157
.LBB30_8:
	s_load_dwordx2 s[6:7], s[0:1], 0x5c
	s_andn2_b64 vcc, exec, s[2:3]
	s_waitcnt lgkmcnt(0)
	v_writelane_b32 v254, s6, 10
	s_nop 1
	v_writelane_b32 v254, s7, 11
	s_cbranch_vccnz .LBB30_10
; %bb.9:
	v_rcp_iflag_f32_e32 v0, v0
	s_sub_i32 s2, 0, s67
	v_mul_f32_e32 v0, 0x4f7ffffe, v0
	v_cvt_u32_f32_e32 v0, v0
	v_mul_lo_u32 v1, s2, v0
	v_mul_hi_u32 v1, v0, v1
	v_add_u32_e32 v0, v0, v1
	v_mul_hi_u32 v0, s4, v0
	v_mul_lo_u32 v2, v0, s67
	v_sub_u32_e32 v2, s4, v2
	v_add_u32_e32 v1, 1, v0
	v_subrev_u32_e32 v3, s67, v2
	v_cmp_le_u32_e32 vcc, s67, v2
	s_nop 1
	v_cndmask_b32_e32 v2, v2, v3, vcc
	v_cndmask_b32_e32 v0, v0, v1, vcc
	v_add_u32_e32 v1, 1, v0
	v_cmp_le_u32_e32 vcc, s67, v2
	s_nop 1
	v_cndmask_b32_e32 v156, v0, v1, vcc
.LBB30_10:
	s_load_dwordx16 s[16:31], s[0:1], 0x0
	s_load_dwordx4 s[48:51], s[0:1], 0x40
	s_load_dwordx2 s[2:3], s[0:1], 0x50
	s_load_dwordx2 s[4:5], s[0:1], 0x8c
	s_load_dwordx4 s[8:11], s[0:1], 0x98
	s_load_dwordx2 s[6:7], s[0:1], 0xa8
	s_load_dwordx2 s[14:15], s[0:1], 0xb8
	s_nop 0
	s_load_dwordx2 s[0:1], s[0:1], 0xc8
	s_ashr_i32 s93, s99, 3
	s_waitcnt lgkmcnt(0)
	s_ashr_i32 s78, s4, 2
	s_ashr_i32 s98, s10, 2
	v_writelane_b32 v254, s6, 12
	s_ashr_i32 s40, s15, 1
	v_cmp_ge_i32_e32 vcc, s42, v156
	v_writelane_b32 v254, s7, 13
	v_writelane_b32 v254, s0, 14
	s_mov_b32 s7, s11
	v_bfe_u32 v194, v19, 10, 10
	v_writelane_b32 v254, s1, 15
	s_mov_b32 s1, s5
	v_readlane_b32 s6, v254, 1
	s_abs_i32 s92, s6
	v_cvt_f32_u32_e32 v0, s92
	v_writelane_b32 v254, s0, 16
	s_mov_b64 s[4:5], s[8:9]
	s_mov_b32 s37, 0
	v_rcp_iflag_f32_e32 v0, v0
	v_writelane_b32 v254, s1, 17
	v_writelane_b32 v254, s4, 18
	s_ashr_i32 s1, s6, 31
	v_mul_f32_e32 v0, 0x4f7ffffe, v0
	v_cvt_u32_f32_e32 v0, v0
	v_writelane_b32 v254, s5, 19
	v_writelane_b32 v254, s6, 20
	;; [unrolled: 1-line block ×3, first 2 shown]
	s_sub_i32 s4, 0, s92
	v_readfirstlane_b32 s5, v0
	s_mul_i32 s4, s4, s5
	s_mul_hi_u32 s4, s5, s4
	v_writelane_b32 v254, s1, 22
	s_abs_i32 s1, s42
	s_add_i32 s90, s5, s4
	s_mul_hi_u32 s4, s1, s90
	s_mul_i32 s4, s4, s92
	v_writelane_b32 v254, s16, 23
	s_sub_i32 s1, s1, s4
	s_ashr_i32 s0, s42, 31
	v_writelane_b32 v254, s17, 24
	s_sub_i32 s4, s1, s92
	v_writelane_b32 v254, s18, 25
	s_cmp_ge_u32 s1, s92
	v_writelane_b32 v254, s19, 26
	s_cselect_b32 s1, s4, s1
	v_writelane_b32 v254, s20, 27
	s_sub_i32 s4, s1, s92
	v_writelane_b32 v254, s21, 28
	s_cmp_ge_u32 s1, s92
	v_writelane_b32 v254, s22, 29
	s_cselect_b32 s1, s4, s1
	v_writelane_b32 v254, s23, 30
	s_xor_b32 s1, s1, s0
	v_writelane_b32 v254, s24, 31
	s_sub_i32 s52, s1, s0
	v_subrev_u32_e32 v0, s42, v156
	v_writelane_b32 v254, s25, 32
	v_add_u32_e32 v0, s52, v0
	v_writelane_b32 v254, s26, 33
	v_min_i32_e32 v77, s6, v0
	v_cmp_gt_i32_e64 s[0:1], s6, v0
	v_cvt_f16_f32_e32 v0, s48
	v_writelane_b32 v254, s27, 34
	v_writelane_b32 v254, s28, 35
	;; [unrolled: 1-line block ×3, first 2 shown]
	s_or_b64 s[0:1], s[0:1], vcc
	v_writelane_b32 v254, s30, 37
	v_cmp_lt_i32_e64 s[44:45], s42, v156
	s_and_b64 vcc, exec, s[0:1]
	v_pack_b32_f16 v196, v0, v0
	v_lshlrev_b32_e32 v138, 3, v194
	v_add_u32_e32 v154, 4, v194
	v_add_u32_e32 v153, 8, v194
	;; [unrolled: 1-line block ×7, first 2 shown]
	v_lshlrev_b32_e32 v137, 4, v194
	v_and_b32_e32 v139, 1, v194
	v_writelane_b32 v254, s31, 38
	v_accvgpr_write_b32 a8, v194
	s_cbranch_vccz .LBB30_13
; %bb.11:
	s_andn2_b64 vcc, exec, s[44:45]
	s_cbranch_vccz .LBB30_458
.LBB30_12:
	s_endpgm
.LBB30_13:
	s_cmp_lg_u64 s[22:23], 0
	v_writelane_b32 v254, s67, 39
	s_cselect_b64 s[0:1], -1, 0
	v_writelane_b32 v254, s0, 40
	s_cmp_eq_u64 s[24:25], 0
	v_and_b32_e32 v158, 0x3ff, v19
	v_writelane_b32 v254, s1, 41
	s_cselect_b64 s[0:1], -1, 0
	v_writelane_b32 v254, s0, 42
	s_cmp_lg_u64 s[26:27], 0
	v_lshrrev_b32_e32 v2, 3, v158
	v_writelane_b32 v254, s1, 43
	s_cselect_b64 s[0:1], -1, 0
	v_writelane_b32 v254, s0, 44
	v_and_b32_e32 v1, 15, v158
	v_and_b32_e32 v2, 30, v2
	v_writelane_b32 v254, s1, 45
	s_add_i32 s1, 0, 0x60
	v_mov_b32_e32 v10, s1
	s_add_i32 s1, 0, 0x80
	v_mov_b32_e32 v12, s1
	;; [unrolled: 2-line block ×7, first 2 shown]
	s_add_i32 s1, 0, 0x140
	v_mul_u32_u24_e32 v0, 0x210, v1
	v_lshlrev_b32_e32 v3, 2, v2
	v_mov_b32_e32 v24, s1
	s_add_i32 s1, 0, 0x160
	v_add3_u32 v0, 0, v0, v3
	v_lshrrev_b32_e32 v3, 5, v158
	v_lshlrev_b32_e32 v4, 2, v158
	v_mov_b32_e32 v26, s1
	s_add_i32 s1, 0, 0x180
	v_lshl_add_u32 v155, v194, 1, v3
	v_and_b32_e32 v4, 0x7c, v4
	v_mov_b32_e32 v28, s1
	s_add_i32 s1, 0, 0x1a0
	v_mul_u32_u24_e32 v3, 0x210, v155
	v_accvgpr_write_b32 a26, v4
	v_lshlrev_b32_e32 v4, 2, v4
	v_mov_b32_e32 v30, s1
	s_add_i32 s1, 0, 0x1c0
	v_add3_u32 v202, 0, v3, v4
	v_and_b32_e32 v3, 8, v138
	v_mov_b32_e32 v32, s1
	s_add_i32 s1, 0, 0x1e0
	s_movk_i32 s0, 0x420
	v_mul_u32_u24_e32 v4, 0x420, v3
	v_mov_b32_e32 v34, s1
	v_mad_u32_u24 v5, v3, s0, 0
	v_add3_u32 v7, 0, 32, v4
	v_add3_u32 v4, 0, 64, v4
	v_mad_u32_u24 v10, v3, s0, v10
	v_mad_u32_u24 v12, v3, s0, v12
	;; [unrolled: 1-line block ×13, first 2 shown]
	v_accvgpr_write_b32 a12, v19
	v_lshlrev_b32_e32 v6, 1, v1
	v_add_u32_e32 v8, 0x4200, v7
	v_add_u32_e32 v9, 0x4200, v4
	;; [unrolled: 1-line block ×31, first 2 shown]
	v_lshrrev_b32_e32 v6, 2, v158
	v_and_b32_e32 v35, 60, v6
	v_mul_u32_u24_e32 v36, 0x108, v35
	v_or_b32_e32 v37, v36, v1
	v_lshlrev_b32_e32 v37, 1, v37
	v_add_u32_e32 v236, v22, v37
	s_mov_b64 s[70:71], s[30:31]
	v_lshrrev_b32_e32 v22, 1, v194
	v_add_u32_e32 v222, v4, v37
	v_add_u32_e32 v248, v3, v37
	s_mov_b64 s[68:69], s[28:29]
	s_mov_b64 s[66:67], s[26:27]
	s_mov_b64 s[64:65], s[24:25]
	s_mov_b64 s[62:63], s[22:23]
	s_mov_b64 s[60:61], s[20:21]
	s_mov_b64 s[58:59], s[18:19]
	s_mov_b64 s[56:57], s[16:17]
	s_movk_i32 s26, 0x84
	v_or_b32_e32 v3, v137, v1
	v_add_u32_e32 v4, 2, v22
	v_add_u32_e32 v219, v5, v37
	v_mad_u32_u24 v3, v3, s26, v2
	s_movk_i32 s27, 0x1e0
	v_lshlrev_b32_e32 v2, 1, v4
	v_accvgpr_write_b32 a33, v4
	v_and_b32_e32 v4, 15, v4
	v_add_u32_e32 v5, 4, v22
	v_add_u32_e32 v220, v7, v37
	v_and_or_b32 v4, v2, s27, v4
	v_lshlrev_b32_e32 v2, 1, v5
	v_accvgpr_write_b32 a34, v5
	v_and_b32_e32 v5, 15, v5
	v_add_u32_e32 v7, 6, v22
	v_add_u32_e32 v221, v8, v37
	v_and_or_b32 v5, v2, s27, v5
	;; [unrolled: 6-line block ×8, first 2 shown]
	v_lshlrev_b32_e32 v2, 1, v13
	v_accvgpr_write_b32 a41, v13
	v_and_b32_e32 v13, 15, v13
	v_add_u32_e32 v14, 22, v22
	s_lshl_b32 s36, s38, 5
	v_add_u32_e32 v229, v15, v37
	v_and_or_b32 v13, v2, s27, v13
	v_lshlrev_b32_e32 v2, 1, v14
	v_accvgpr_write_b32 a42, v14
	v_and_b32_e32 v14, 15, v14
	v_add_u32_e32 v15, 24, v22
	s_ashr_i32 s41, s40, 31
	s_ashr_i32 s79, s78, 31
	;; [unrolled: 1-line block ×3, first 2 shown]
	s_lshl_b32 s18, s78, 3
	s_lshl_b32 s19, s98, 3
	v_writelane_b32 v254, s38, 46
	s_lshl_b64 s[0:1], s[36:37], 3
	v_add_u32_e32 v230, v16, v37
	v_and_or_b32 v14, v2, s27, v14
	v_lshlrev_b32_e32 v2, 1, v15
	v_accvgpr_write_b32 a43, v15
	v_and_b32_e32 v15, 15, v15
	v_add_u32_e32 v16, 26, v22
	s_add_u32 s24, s70, s0
	v_readlane_b32 s33, v254, 7
	v_and_or_b32 v15, v2, s27, v15
	v_lshlrev_b32_e32 v2, 1, v16
	v_accvgpr_write_b32 a44, v16
	v_and_b32_e32 v16, 15, v16
	s_addc_u32 s25, s71, s1
	s_abs_i32 s0, s33
	v_and_or_b32 v16, v2, s27, v16
	v_cvt_f32_u32_e32 v2, s0
	v_readlane_b32 s31, v254, 6
	s_abs_i32 s1, s31
	v_add_u32_e32 v234, v20, v37
	v_rcp_iflag_f32_e32 v2, v2
	v_cvt_f32_u32_e32 v20, s1
	v_add_u32_e32 v232, v18, v37
	v_add_u32_e32 v18, 28, v22
	v_mul_f32_e32 v2, 0x4f7ffffe, v2
	v_cvt_u32_f32_e32 v2, v2
	v_add_u32_e32 v231, v17, v37
	v_add_u32_e32 v233, v19, v37
	v_lshlrev_b32_e32 v17, 1, v18
	v_accvgpr_write_b32 a45, v18
	v_and_b32_e32 v18, 15, v18
	v_add_u32_e32 v19, 30, v22
	v_and_or_b32 v17, v17, s27, v18
	v_lshlrev_b32_e32 v18, 1, v19
	v_accvgpr_write_b32 a46, v19
	v_and_b32_e32 v19, 15, v19
	v_writelane_b32 v254, s0, 47
	s_sub_i32 s0, 0, s0
	v_and_or_b32 v18, v18, s27, v19
	v_rcp_iflag_f32_e32 v19, v20
	v_mul_lo_u32 v20, s0, v2
	v_mul_hi_u32 v20, v2, v20
	s_abs_i32 s4, s14
	v_add_u32_e32 v2, v2, v20
	v_cvt_f32_u32_e32 v20, s4
	v_readlane_b32 s30, v254, 3
	s_abs_i32 s95, s30
	v_accvgpr_write_b32 a47, v2
	v_rcp_iflag_f32_e32 v20, v20
	v_mul_f32_e32 v2, 0x4f7ffffe, v19
	v_cvt_f32_u32_e32 v19, s95
	v_cvt_u32_f32_e32 v2, v2
	s_mov_b32 s0, s14
	v_writelane_b32 v254, s0, 48
	v_mul_f32_e32 v20, 0x4f7ffffe, v20
	v_rcp_iflag_f32_e32 v19, v19
	v_writelane_b32 v254, s1, 49
	s_sub_i32 s0, 0, s1
	v_cvt_u32_f32_e32 v20, v20
	v_add_u32_e32 v235, v21, v37
	v_mul_lo_u32 v21, s0, v2
	v_mul_hi_u32 v21, v2, v21
	v_add_u32_e32 v2, v2, v21
	s_sub_i32 s0, 0, s4
	v_mul_f32_e32 v19, 0x4f7ffffe, v19
	v_accvgpr_write_b32 a48, v2
	v_mul_lo_u32 v2, s0, v20
	v_cvt_u32_f32_e32 v19, v19
	v_mul_hi_u32 v2, v20, v2
	v_add_u32_e32 v2, v20, v2
	v_accvgpr_write_b32 a49, v2
	s_movk_i32 s20, 0x210
	v_and_b32_e32 v2, 0x7f0, v138
	v_or_b32_e32 v1, v2, v1
	v_mad_u32_u24 v157, v2, s20, v0
	v_mul_u32_u24_e32 v2, 0x90, v194
	v_lshlrev_b32_e32 v60, 1, v158
	v_readfirstlane_b32 s28, v19
	s_movk_i32 s21, 0x90
	v_add3_u32 v19, 0, v2, v60
	v_and_b32_e32 v2, 16, v137
	v_mad_u32_u24 v251, v2, s20, v0
	v_mad_u32_u24 v0, v1, s21, 0
	v_add_u16_e32 v1, v2, v35
	v_add_u32_e32 v159, v2, v35
	v_lshrrev_b16_e32 v1, 1, v1
	v_lshl_add_u32 v1, v1, 2, v0
	v_add_u32_e32 v160, 32, v159
	v_add_u32_e32 v161, 34, v159
	v_accvgpr_write_b32 a69, v1
	v_lshl_add_u32 v1, v160, 1, v0
	v_lshl_add_u32 v0, v161, 1, v0
	v_accvgpr_write_b32 a73, v0
	v_or_b32_e32 v0, 3, v6
	v_mul_u32_u24_e32 v102, 0x210, v0
	v_lshlrev_b32_e32 v0, 1, v36
	v_add_u32_e32 v103, 0x4200, v203
	v_add_u32_e32 v104, 32, v203
	;; [unrolled: 1-line block ×34, first 2 shown]
	v_mul_u32_u24_e32 v0, 0x210, v0
	v_and_b32_e32 v6, 31, v158
	v_accvgpr_write_b32 a90, v0
	v_add_u32_e32 v0, v137, v6
	v_mul_u32_u24_e32 v0, 0x210, v0
	v_accvgpr_write_b32 a91, v0
	v_or_b32_e32 v0, v138, v158
	v_mov_b32_e32 v2, 0
	v_accvgpr_write_b32 a71, v1
	v_lshlrev_b32_e32 v0, 3, v0
	v_mov_b32_e32 v1, v2
	v_lshl_add_u64 v[0:1], s[24:25], 0, v[0:1]
	v_accvgpr_write_b32 a93, v1
	v_accvgpr_write_b32 a92, v0
	v_mad_u32_u24 v0, v194, s26, v158
	v_add_u32_e32 v1, 16, v22
	s_movk_i32 s29, 0xe0
	v_lshl_add_u32 v162, v0, 2, 0
	v_bfe_u32 v0, v194, 1, 4
	v_accvgpr_write_b32 a96, v1
	v_lshlrev_b32_e32 v1, 1, v1
	v_and_or_b32 v1, v1, s27, v0
	v_and_or_b32 v0, v194, s29, v0
	v_accvgpr_write_b32 a9, v137
	v_lshl_add_u32 v137, v3, 2, 0
	v_mad_u32_u24 v3, v0, s26, v158
	v_lshl_add_u32 v3, v3, 2, 0
	v_accvgpr_write_b32 a97, v3
	v_add_u32_e32 v3, 64, v158
	v_accvgpr_write_b32 a32, v22
	v_mul_u32_u24_e32 v22, 0x210, v0
	v_mad_u32_u24 v0, v0, s26, v3
	v_lshl_add_u32 v0, v0, 2, 0
	v_accvgpr_write_b32 a99, v0
	v_mad_u32_u24 v0, v4, s26, v158
	v_lshl_add_u32 v0, v0, 2, 0
	v_accvgpr_write_b32 a100, v0
	v_mul_u32_u24_e32 v0, 0x210, v4
	v_accvgpr_write_b32 a101, v0
	v_mad_u32_u24 v0, v4, s26, v3
	v_lshl_add_u32 v0, v0, 2, 0
	v_accvgpr_write_b32 a102, v0
	v_mad_u32_u24 v0, v5, s26, v158
	v_lshl_add_u32 v0, v0, 2, 0
	v_accvgpr_write_b32 a103, v0
	v_mul_u32_u24_e32 v0, 0x210, v5
	v_accvgpr_write_b32 a104, v0
	;; [unrolled: 8-line block ×9, first 2 shown]
	v_mad_u32_u24 v0, v12, s26, v3
	v_lshl_add_u32 v0, v0, 2, 0
	v_accvgpr_write_b32 a126, v0
	v_mad_u32_u24 v0, v13, s26, v158
	v_lshl_add_u32 v0, v0, 2, 0
	v_mul_lo_u32 v42, s98, v155
	v_accvgpr_write_b32 a127, v0
	v_mul_u32_u24_e32 v0, 0x210, v13
	v_ashrrev_i32_e32 v43, 31, v42
	v_accvgpr_write_b32 a128, v0
	v_mad_u32_u24 v0, v13, s26, v3
	v_add_u32_e32 v44, s19, v42
	v_lshl_add_u32 v0, v0, 2, 0
	v_lshl_add_u64 v[4:5], v[42:43], 2, s[60:61]
	v_ashrrev_i32_e32 v45, 31, v44
	v_accvgpr_write_b32 a129, v0
	v_mad_u32_u24 v0, v14, s26, v158
	v_accvgpr_write_b32 a167, v5
	v_add_u32_e32 v46, s19, v44
	v_lshl_add_u32 v0, v0, 2, 0
	v_accvgpr_write_b32 a166, v4
	v_lshl_add_u64 v[4:5], v[44:45], 2, s[60:61]
	v_ashrrev_i32_e32 v47, 31, v46
	v_accvgpr_write_b32 a130, v0
	v_mul_u32_u24_e32 v0, 0x210, v14
	v_accvgpr_write_b32 a169, v5
	v_add_u32_e32 v48, s19, v46
	v_accvgpr_write_b32 a131, v0
	v_mad_u32_u24 v0, v14, s26, v3
	v_accvgpr_write_b32 a168, v4
	v_lshl_add_u64 v[4:5], v[46:47], 2, s[60:61]
	v_ashrrev_i32_e32 v49, 31, v48
	v_lshl_add_u32 v0, v0, 2, 0
	v_accvgpr_write_b32 a171, v5
	v_add_u32_e32 v50, s19, v48
	v_accvgpr_write_b32 a132, v0
	v_mad_u32_u24 v0, v15, s26, v158
	v_accvgpr_write_b32 a170, v4
	v_lshl_add_u64 v[4:5], v[48:49], 2, s[60:61]
	v_ashrrev_i32_e32 v51, 31, v50
	v_lshl_add_u32 v0, v0, 2, 0
	v_accvgpr_write_b32 a173, v5
	v_add_u32_e32 v52, s19, v50
	v_accvgpr_write_b32 a133, v0
	v_mul_u32_u24_e32 v0, 0x210, v15
	v_accvgpr_write_b32 a172, v4
	v_lshl_add_u64 v[4:5], v[50:51], 2, s[60:61]
	v_ashrrev_i32_e32 v53, 31, v52
	v_accvgpr_write_b32 a134, v0
	v_mad_u32_u24 v0, v15, s26, v3
	v_accvgpr_write_b32 a175, v5
	v_add_u32_e32 v62, s19, v52
	v_lshl_add_u32 v0, v0, 2, 0
	v_accvgpr_write_b32 a174, v4
	v_lshl_add_u64 v[4:5], v[52:53], 2, s[60:61]
	v_ashrrev_i32_e32 v63, 31, v62
	v_accvgpr_write_b32 a135, v0
	v_mad_u32_u24 v0, v16, s26, v158
	v_accvgpr_write_b32 a177, v5
	v_add_u32_e32 v64, s19, v62
	v_lshl_add_u32 v0, v0, 2, 0
	v_accvgpr_write_b32 a176, v4
	v_lshl_add_u64 v[4:5], v[62:63], 2, s[60:61]
	v_ashrrev_i32_e32 v65, 31, v64
	v_accvgpr_write_b32 a136, v0
	v_mul_u32_u24_e32 v0, 0x210, v16
	v_accvgpr_write_b32 a179, v5
	v_mul_lo_u32 v20, s78, v155
	v_accvgpr_write_b32 a137, v0
	v_mad_u32_u24 v0, v16, s26, v3
	v_accvgpr_write_b32 a178, v4
	v_lshl_add_u64 v[4:5], v[64:65], 2, s[60:61]
	v_ashrrev_i32_e32 v21, 31, v20
	v_lshl_add_u32 v0, v0, 2, 0
	v_accvgpr_write_b32 a181, v5
	v_add_u32_e32 v238, v24, v37
	v_writelane_b32 v254, s1, 50
	v_add_u32_e32 v24, s18, v20
	v_accvgpr_write_b32 a138, v0
	v_mad_u32_u24 v0, v17, s26, v158
	v_accvgpr_write_b32 a180, v4
	v_lshl_add_u64 v[4:5], v[20:21], 2, s[58:59]
	v_add_u32_e32 v239, v25, v37
	v_writelane_b32 v254, s4, 51
	s_mul_i32 s0, s96, s97
	v_ashrrev_i32_e32 v25, 31, v24
	v_lshl_add_u32 v0, v0, 2, 0
	v_accvgpr_write_b32 a183, v5
	v_add_u32_e32 v240, v26, v37
	v_writelane_b32 v254, s0, 52
	s_mov_b64 s[6:7], s[50:51]
	s_mov_b32 s5, s49
	v_add_u32_e32 v26, s18, v24
	v_accvgpr_write_b32 a139, v0
	v_mul_u32_u24_e32 v0, 0x210, v17
	v_accvgpr_write_b32 a182, v4
	v_lshl_add_u64 v[4:5], v[24:25], 2, s[58:59]
	v_add_u32_e32 v241, v27, v37
	v_writelane_b32 v254, s4, 53
	v_ashrrev_i32_e32 v27, 31, v26
	v_accvgpr_write_b32 a140, v0
	v_mad_u32_u24 v0, v17, s26, v3
	v_accvgpr_write_b32 a185, v5
	v_add_u32_e32 v242, v28, v37
	v_writelane_b32 v254, s5, 54
	v_add_u32_e32 v28, s18, v26
	v_lshl_add_u32 v0, v0, 2, 0
	v_accvgpr_write_b32 a184, v4
	v_lshl_add_u64 v[4:5], v[26:27], 2, s[58:59]
	v_add_u32_e32 v243, v29, v37
	v_writelane_b32 v254, s6, 55
	v_ashrrev_i32_e32 v29, 31, v28
	v_accvgpr_write_b32 a141, v0
	v_mad_u32_u24 v0, v18, s26, v3
	v_accvgpr_write_b32 a187, v5
	v_add_u32_e32 v244, v30, v37
	v_writelane_b32 v254, s7, 56
	v_cmp_nle_f32_e64 s[0:1], s49, 0
	v_add_u32_e32 v30, s18, v28
	v_lshl_add_u32 v0, v0, 2, 0
	v_cmp_eq_u32_e64 s[44:45], 0, v139
                                        ; implicit-def: $vgpr255 : SGPR spill to VGPR lane
	v_accvgpr_write_b32 a186, v4
	v_lshl_add_u64 v[4:5], v[28:29], 2, s[58:59]
	v_add_u32_e32 v245, v31, v37
	v_writelane_b32 v254, s0, 57
	v_ashrrev_i32_e32 v31, 31, v30
	v_accvgpr_write_b32 a144, v0
                                        ; implicit-def: $vgpr0
                                        ; implicit-def: $vgpr0
	;; [unrolled: 1-line block ×4, first 2 shown]
	v_writelane_b32 v255, s44, 0
	v_accvgpr_write_b32 a189, v5
	v_add_u32_e32 v246, v32, v37
	v_writelane_b32 v254, s1, 58
	v_add_u32_e32 v32, s18, v30
	s_lshl_b32 s24, s97, 7
	v_mbcnt_lo_u32_b32 v0, -1, 0
	v_writelane_b32 v255, s45, 1
	v_cmp_eq_u32_e64 s[44:45], 1, v139
	v_accvgpr_write_b32 a188, v4
	v_lshl_add_u64 v[4:5], v[30:31], 2, s[58:59]
	v_add_u32_e32 v247, v33, v37
	v_ashrrev_i32_e32 v33, 31, v32
	v_writelane_b32 v254, s24, 59
	s_ashr_i32 s24, s33, 31
	v_mbcnt_hi_u32_b32 v170, -1, v0
	v_add_u32_e32 v0, 0x240, v19
	v_writelane_b32 v255, s44, 2
	v_accvgpr_write_b32 a191, v5
	v_add_u32_e32 v38, s18, v32
	v_mul_u32_u24_e32 v1, 0x210, v18
	v_writelane_b32 v254, s24, 60
	s_ashr_i32 s24, s31, 31
	v_accvgpr_write_b32 a146, v0
	v_add_u32_e32 v0, 0x480, v19
	v_writelane_b32 v255, s45, 3
	v_cmp_gt_u32_e64 s[44:45], 16, v158
	v_accvgpr_write_b32 a190, v4
	v_lshl_add_u64 v[4:5], v[32:33], 2, s[58:59]
	v_ashrrev_i32_e32 v39, 31, v38
	v_accvgpr_write_b32 a142, v1
	v_mad_u32_u24 v1, v18, s26, v158
	v_writelane_b32 v254, s24, 61
	s_ashr_i32 s24, s30, 31
	v_accvgpr_write_b32 a147, v0
	v_add_u32_e32 v0, 0x6c0, v19
	v_writelane_b32 v255, s44, 4
	v_accvgpr_write_b32 a193, v5
	v_add_u32_e32 v40, s18, v38
	v_lshl_add_u32 v1, v1, 2, 0
	v_writelane_b32 v254, s24, 62
	s_sub_i32 s24, 0, s95
	v_accvgpr_write_b32 a148, v0
	v_add_u32_e32 v0, 0x900, v19
	v_writelane_b32 v255, s45, 5
	v_cmp_gt_u32_e64 s[44:45], 32, v158
	v_accvgpr_write_b32 a192, v4
	v_lshl_add_u64 v[4:5], v[38:39], 2, s[58:59]
	v_ashrrev_i32_e32 v41, 31, v40
	v_accvgpr_write_b32 a143, v1
	s_mul_i32 s24, s24, s28
	v_accvgpr_write_b32 a149, v0
	v_add_u32_e32 v0, 0xb40, v19
	v_or_b32_e32 v1, 3, v159
	v_writelane_b32 v255, s44, 6
	v_accvgpr_write_b32 a195, v5
	s_mul_hi_u32 s24, s28, s24
	v_accvgpr_write_b32 a150, v0
	v_add_u32_e32 v0, 0xd80, v19
	v_accvgpr_write_b32 a163, v1
	v_add_u32_e32 v1, 33, v159
	v_writelane_b32 v255, s45, 7
	s_lshl_b64 s[44:45], s[40:41], 1
	v_accvgpr_write_b32 a194, v4
	v_lshl_add_u64 v[4:5], v[40:41], 2, s[58:59]
	s_mov_b64 s[80:81], src_private_base
	s_add_i32 s24, s28, s24
	v_accvgpr_write_b32 a151, v0
	v_add_u32_e32 v0, 0xfc0, v19
	v_add_u32_e32 v163, 8, v155
	;; [unrolled: 1-line block ×9, first 2 shown]
	v_or_b32_e32 v177, 1, v159
	v_or_b32_e32 v178, 2, v159
	v_accvgpr_write_b32 a164, v1
	v_add_u32_e32 v1, 35, v159
	v_accvgpr_write_b32 a75, v43
	v_accvgpr_write_b32 a77, v45
	v_writelane_b32 v255, s44, 8
	v_accvgpr_write_b32 a79, v47
	v_accvgpr_write_b32 a81, v49
	;; [unrolled: 1-line block ×15, first 2 shown]
	v_add_u32_e32 v237, v23, v37
	v_add_u32_e32 v249, v34, v37
	v_cmp_lt_u32_e64 s[0:1], 63, v158
	s_mov_b32 s80, 0
	v_cmp_gt_u32_e64 s[38:39], 64, v155
	v_cmp_gt_u32_e64 s[4:5], 56, v155
	;; [unrolled: 1-line block ×11, first 2 shown]
	v_mul_u32_u24_e32 v101, 0x210, v35
	v_accvgpr_write_b32 a10, v138
	v_accvgpr_write_b32 a98, v22
	v_writelane_b32 v254, s24, 63
	v_lshlrev_b32_e32 v96, 4, v6
	v_mov_b32_e32 v97, v2
	v_mov_b32_e32 v61, v2
	s_mov_b32 s87, 0x42b17218
	s_mov_b32 s97, 0x3fb8aa3b
	;; [unrolled: 1-line block ×3, first 2 shown]
	s_brev_b32 s86, -2
	s_mov_b32 s94, 0x3f200000
	s_mov_b32 s36, 0xc1a00000
	;; [unrolled: 1-line block ×3, first 2 shown]
	v_accvgpr_write_b32 a51, v19
	v_accvgpr_write_b32 a152, v0
	v_add_u32_e32 v200, 0x1080, v202
	v_add_u32_e32 v130, 0x2100, v202
	;; [unrolled: 1-line block ×7, first 2 shown]
	v_accvgpr_write_b32 a165, v1
	v_mov_b32_e32 v58, 0x3ca908c9
	v_mov_b32_e32 v132, 0x7f800000
	v_accvgpr_write_b32 a74, v42
	v_accvgpr_write_b32 a76, v44
	v_cmp_gt_u32_e64 s[24:25], 61, v159
	v_cmp_gt_u32_e64 s[26:27], 32, v159
	;; [unrolled: 1-line block ×5, first 2 shown]
	v_accvgpr_write_b32 a11, v139
	s_lshl_b64 s[82:83], s[98:99], 8
	s_lshl_b64 s[84:85], s[78:79], 8
	v_writelane_b32 v255, s45, 9
	s_mov_b64 s[88:89], 0x80
	v_accvgpr_write_b32 a78, v46
	v_accvgpr_write_b32 a80, v48
	;; [unrolled: 1-line block ×38, first 2 shown]
	s_branch .LBB30_16
.LBB30_14:                              ;   in Loop: Header=BB30_16 Depth=1
	s_or_b64 exec, exec, s[44:45]
	s_barrier
.LBB30_15:                              ;   in Loop: Header=BB30_16 Depth=1
	v_readlane_b32 s46, v254, 1
	s_add_i32 s41, s42, s46
	s_abs_i32 s44, s41
	s_mul_hi_u32 s45, s44, s90
	s_mul_i32 s45, s45, s92
	s_sub_i32 s44, s44, s45
	s_ashr_i32 s42, s41, 31
	s_sub_i32 s45, s44, s92
	s_cmp_ge_u32 s44, s92
	s_cselect_b32 s44, s45, s44
	s_sub_i32 s45, s44, s92
	s_cmp_ge_u32 s44, s92
	s_cselect_b32 s44, s45, s44
	s_xor_b32 s44, s44, s42
	s_sub_i32 s42, s42, s44
	s_add_i32 s42, s41, s42
	v_subrev_u32_e32 v1, s42, v156
	v_cmp_lt_i32_e64 s[44:45], s42, v156
	v_cmp_le_i32_e32 vcc, s46, v1
	v_min_i32_e32 v77, s46, v1
	s_and_b64 s[46:47], vcc, s[44:45]
	s_mov_b32 s52, 0
	s_and_b64 vcc, exec, s[46:47]
	s_cbranch_vccz .LBB30_457
.LBB30_16:                              ; =>This Loop Header: Depth=1
                                        ;     Child Loop BB30_279 Depth 2
                                        ;     Child Loop BB30_63 Depth 2
	s_ashr_i32 s41, s42, 31
	v_readlane_b32 s44, v254, 60
	s_xor_b32 s41, s41, s44
	s_abs_i32 s44, s42
	v_accvgpr_read_b32 v1, a47
	v_mul_hi_u32 v1, s44, v1
	v_readlane_b32 s45, v254, 47
	v_add_u32_e32 v4, 1, v1
	s_nop 0
	v_mul_lo_u32 v3, v1, s45
	v_sub_u32_e32 v3, s44, v3
	v_subrev_u32_e32 v5, s45, v3
	v_cmp_le_u32_e32 vcc, s45, v3
	s_nop 1
	v_cndmask_b32_e32 v1, v1, v4, vcc
	v_cndmask_b32_e32 v3, v3, v5, vcc
	v_add_u32_e32 v4, 1, v1
	v_cmp_le_u32_e32 vcc, s45, v3
	v_readlane_b32 s44, v254, 40
	v_readlane_b32 s45, v254, 41
	v_cndmask_b32_e32 v1, v1, v4, vcc
	v_xor_b32_e32 v1, s41, v1
	v_subrev_u32_e32 v1, s41, v1
	s_andn2_b64 vcc, exec, s[44:45]
	v_ashrrev_i32_e32 v3, 31, v1
	s_cbranch_vccnz .LBB30_18
; %bb.17:                               ;   in Loop: Header=BB30_16 Depth=1
	v_sub_u32_e32 v4, 0, v1
	v_max_i32_e32 v4, v1, v4
	v_accvgpr_read_b32 v5, a49
	v_mul_hi_u32 v5, v4, v5
	v_readlane_b32 s41, v254, 51
	v_readlane_b32 s44, v254, 14
	;; [unrolled: 1-line block ×3, first 2 shown]
	v_mul_lo_u32 v5, v5, s41
	v_sub_u32_e32 v4, v4, v5
	v_subrev_u32_e32 v5, s41, v4
	v_cmp_le_u32_e32 vcc, s41, v4
	v_readlane_b32 s56, v254, 23
	v_readlane_b32 s62, v254, 29
	v_cndmask_b32_e32 v4, v4, v5, vcc
	v_subrev_u32_e32 v5, s41, v4
	v_cmp_le_u32_e32 vcc, s41, v4
	v_readlane_b32 s63, v254, 30
	v_readlane_b32 s57, v254, 24
	v_cndmask_b32_e32 v4, v4, v5, vcc
	v_xor_b32_e32 v4, v4, v3
	v_sub_u32_e32 v4, v4, v3
	v_ashrrev_i32_e32 v5, 31, v4
	v_mul_lo_u32 v6, v4, s45
	v_mul_hi_u32 v7, v4, s44
	v_add_u32_e32 v6, v7, v6
	v_mul_lo_u32 v5, v5, s44
	v_add_u32_e32 v5, v6, v5
	v_mul_lo_u32 v4, v4, s44
	v_lshl_add_u64 v[138:139], s[62:63], 0, v[4:5]
	v_readlane_b32 s58, v254, 25
	v_readlane_b32 s59, v254, 26
	;; [unrolled: 1-line block ×12, first 2 shown]
	s_branch .LBB30_19
.LBB30_18:                              ;   in Loop: Header=BB30_16 Depth=1
	v_mov_b64_e32 v[138:139], 0
.LBB30_19:                              ;   in Loop: Header=BB30_16 Depth=1
	v_readlane_b32 s41, v254, 7
	v_accvgpr_read_b32 v7, a48
	v_readlane_b32 s44, v254, 57
	v_mul_lo_u32 v4, v1, s41
	v_sub_u32_e32 v4, s42, v4
	v_sub_u32_e32 v6, 0, v4
	v_ashrrev_i32_e32 v5, 31, v4
	v_readlane_b32 s41, v254, 61
	v_max_i32_e32 v6, v4, v6
	v_mul_hi_u32 v7, v6, v7
	v_xor_b32_e32 v5, s41, v5
	v_readlane_b32 s41, v254, 50
	v_readlane_b32 s45, v254, 58
	v_mov_b32_e32 v136, 1.0
	v_mul_lo_u32 v8, v7, s41
	v_sub_u32_e32 v6, v6, v8
	v_add_u32_e32 v8, 1, v7
	v_subrev_u32_e32 v9, s41, v6
	v_cmp_le_u32_e32 vcc, s41, v6
	s_nop 1
	v_cndmask_b32_e32 v7, v7, v8, vcc
	v_cndmask_b32_e32 v6, v6, v9, vcc
	v_add_u32_e32 v8, 1, v7
	v_cmp_le_u32_e32 vcc, s41, v6
	v_readlane_b32 s41, v254, 6
	s_nop 0
	v_cndmask_b32_e32 v6, v7, v8, vcc
	v_xor_b32_e32 v6, v6, v5
	v_sub_u32_e32 v6, v6, v5
	v_mul_lo_u32 v5, v6, s41
	v_sub_u32_e32 v5, v4, v5
	v_ashrrev_i32_e32 v4, 31, v5
	v_readlane_b32 s41, v254, 62
	v_sub_u32_e32 v7, 0, v5
	v_max_i32_e32 v7, v5, v7
	v_xor_b32_e32 v4, s41, v4
	v_readlane_b32 s41, v254, 63
	s_nop 1
	v_mul_hi_u32 v8, v7, s41
	v_mul_lo_u32 v9, v8, s95
	v_sub_u32_e32 v7, v7, v9
	v_add_u32_e32 v9, 1, v8
	v_subrev_u32_e32 v10, s95, v7
	v_cmp_le_u32_e32 vcc, s95, v7
	v_readlane_b32 s41, v254, 2
	s_nop 0
	v_cndmask_b32_e32 v8, v8, v9, vcc
	v_cndmask_b32_e32 v7, v7, v10, vcc
	v_add_u32_e32 v9, 1, v8
	v_cmp_le_u32_e32 vcc, s95, v7
	s_nop 1
	v_cndmask_b32_e32 v7, v8, v9, vcc
	v_xor_b32_e32 v7, v7, v4
	v_sub_u32_e32 v7, v7, v4
	v_mul_lo_u32 v4, v6, s41
	v_add_u32_e32 v4, v4, v7
	s_andn2_b64 vcc, exec, s[44:45]
	s_cbranch_vccnz .LBB30_21
; %bb.20:                               ;   in Loop: Header=BB30_16 Depth=1
	v_subrev_u32_e32 v9, s2, v4
	v_lshlrev_b32_e32 v9, 1, v9
	v_add_u32_e32 v8, 1, v4
	v_or_b32_e32 v9, 1, v9
	v_cmp_gt_u32_e32 vcc, s2, v4
	v_readlane_b32 s44, v254, 53
	v_readlane_b32 s46, v254, 55
	v_cndmask_b32_e32 v8, v9, v8, vcc
	v_readlane_b32 s47, v254, 56
	v_cvt_f32_i32_e32 v8, v8
	v_mov_b32_e32 v11, s46
	v_mov_b32_e32 v10, s47
	v_cndmask_b32_e32 v24, v10, v11, vcc
	v_cmp_neq_f32_e32 vcc, 1.0, v24
	v_readlane_b32 s45, v254, 54
	s_mov_b32 s41, 0x3f2aaaab
	v_cndmask_b32_e32 v25, 1.0, v8, vcc
	v_cmp_eq_f32_e32 vcc, 0, v25
	s_mov_b32 s46, 0x7f800000
	v_cmp_gt_f32_e64 s[48:49], 0, v25
	v_cndmask_b32_e64 v26, |v24|, 1.0, vcc
	v_frexp_mant_f32_e32 v8, v26
	v_cmp_gt_f32_e64 s[44:45], s41, v8
	s_mov_b32 s41, 0x3f317218
	s_nop 0
	v_cndmask_b32_e64 v9, 1.0, 2.0, s[44:45]
	v_mul_f32_e32 v8, v8, v9
	v_add_f32_e32 v11, 1.0, v8
	v_rcp_f32_e32 v16, v11
	v_add_f32_e32 v9, -1.0, v11
	v_sub_f32_e32 v13, v8, v9
	v_add_f32_e32 v9, -1.0, v8
	v_mul_f32_e32 v17, v9, v16
	v_mul_f32_e32 v10, v11, v17
	v_fma_f32 v12, v17, v11, -v10
	v_fmac_f32_e32 v12, v17, v13
	v_add_f32_e32 v8, v10, v12
	v_sub_f32_e32 v11, v9, v8
	v_pk_add_f32 v[14:15], v[8:9], v[10:11] neg_lo:[0,1] neg_hi:[0,1]
	v_mov_b32_e32 v13, v8
	v_pk_add_f32 v[8:9], v[14:15], v[12:13] neg_lo:[0,1] neg_hi:[0,1]
	v_mov_b32_e32 v12, 0x3e91f4c4
	v_add_f32_e32 v8, v8, v9
	v_add_f32_e32 v8, v11, v8
	v_mul_f32_e32 v9, v16, v8
	v_add_f32_e32 v8, v17, v9
	v_sub_f32_e32 v10, v8, v17
	v_sub_f32_e32 v18, v9, v10
	v_mul_f32_e32 v9, v8, v8
	v_fma_f32 v11, v8, v8, -v9
	v_add_f32_e32 v10, v18, v18
	v_fmac_f32_e32 v11, v8, v10
	v_add_f32_e32 v10, v9, v11
	v_fmamk_f32 v12, v10, 0x3e76c4e1, v12
	v_fmaak_f32 v12, v10, v12, 0x3ecccdef
	v_sub_f32_e32 v9, v10, v9
	v_sub_f32_e32 v19, v11, v9
	v_mul_f32_e32 v9, v10, v12
	v_fma_f32 v11, v10, v12, -v9
	v_fmac_f32_e32 v11, v19, v12
	v_add_f32_e32 v12, v9, v11
	v_add_f32_e32 v13, 0x3f2aaaaa, v12
	v_sub_f32_e32 v9, v12, v9
	v_sub_f32_e32 v9, v11, v9
	v_add_f32_e32 v11, 0xbf2aaaaa, v13
	v_add_f32_e32 v9, 0x31739010, v9
	v_sub_f32_e32 v11, v12, v11
	v_pk_mul_f32 v[14:15], v[8:9], v[10:11]
	v_pk_add_f32 v[16:17], v[8:9], v[10:11]
	v_fma_f32 v12, v10, v8, -v14
	v_fmac_f32_e32 v12, v10, v18
	v_mov_b32_e32 v15, v17
	v_fmac_f32_e32 v12, v19, v8
	v_pk_add_f32 v[10:11], v[14:15], v[12:13]
	v_ldexp_f32 v20, v18, 1
	v_sub_f32_e32 v9, v10, v14
	v_sub_f32_e32 v9, v12, v9
	;; [unrolled: 1-line block ×3, first 2 shown]
	v_add_f32_e32 v16, v17, v12
	v_mov_b32_e32 v12, v11
	v_pk_mul_f32 v[12:13], v[10:11], v[12:13]
	v_cvt_f64_f32_e32 v[14:15], v26
	v_frexp_exp_i32_f64_e32 v13, v[14:15]
	v_subbrev_co_u32_e64 v13, s[44:45], 0, v13, s[44:45]
	v_cvt_f32_i32_e32 v13, v13
	v_fma_f32 v14, v10, v11, -v12
	v_fmac_f32_e32 v14, v10, v16
	v_fmac_f32_e32 v14, v9, v11
	v_mul_f32_e32 v10, 0x3f317218, v13
	v_fma_f32 v16, v13, s41, -v10
	v_fmac_f32_e32 v16, 0xb102e308, v13
	v_ldexp_f32 v17, v8, 1
	v_add_f32_e32 v11, v12, v14
	v_pk_add_f32 v[8:9], v[10:11], v[16:17]
	v_mov_b32_e32 v18, v11
	v_mov_b32_e32 v19, v9
	;; [unrolled: 1-line block ×3, first 2 shown]
	v_pk_add_f32 v[12:13], v[18:19], v[12:13] neg_lo:[0,1] neg_hi:[0,1]
	v_mov_b32_e32 v15, v11
	v_pk_add_f32 v[12:13], v[14:15], v[12:13] neg_lo:[0,1] neg_hi:[0,1]
	v_mov_b32_e32 v17, v8
	v_add_f32_e32 v11, v20, v12
	v_add_f32_e32 v11, v11, v13
	v_pk_add_f32 v[12:13], v[8:9], v[10:11] neg_lo:[0,1] neg_hi:[0,1]
	v_pk_add_f32 v[14:15], v[8:9], v[10:11]
	v_mov_b32_e32 v18, v12
	v_mov_b32_e32 v19, v15
	v_pk_add_f32 v[18:19], v[16:17], v[18:19]
	v_pk_add_f32 v[12:13], v[16:17], v[12:13] neg_lo:[0,1] neg_hi:[0,1]
	v_mov_b32_e32 v10, v19
	v_pk_add_f32 v[20:21], v[10:11], v[8:9] neg_lo:[0,1] neg_hi:[0,1]
	v_mov_b32_e32 v18, v15
	v_mov_b32_e32 v21, v20
	;; [unrolled: 1-line block ×4, first 2 shown]
	v_pk_add_f32 v[22:23], v[14:15], v[20:21] neg_lo:[0,1] neg_hi:[0,1]
	v_pk_add_f32 v[8:9], v[18:19], v[8:9] neg_lo:[0,1] neg_hi:[0,1]
	v_mov_b32_e32 v16, v11
	v_pk_add_f32 v[8:9], v[16:17], v[8:9] neg_lo:[0,1] neg_hi:[0,1]
	v_mov_b32_e32 v22, v12
	v_pk_add_f32 v[14:15], v[22:23], v[8:9]
	v_mov_b32_e32 v13, v19
	v_mov_b32_e32 v16, v15
	v_pk_add_f32 v[16:17], v[14:15], v[16:17]
	s_movk_i32 s41, 0x204
	v_pk_add_f32 v[10:11], v[10:11], v[16:17]
	v_mov_b32_e32 v9, v16
	v_mov_b32_e32 v15, v10
	v_pk_add_f32 v[18:19], v[14:15], v[12:13] neg_lo:[0,1] neg_hi:[0,1]
	s_nop 0
	v_sub_f32_e32 v11, v14, v18
	v_pk_add_f32 v[8:9], v[8:9], v[18:19] neg_lo:[0,1] neg_hi:[0,1]
	v_sub_f32_e32 v11, v12, v11
	v_add_f32_e32 v8, v8, v11
	v_add_f32_e32 v8, v8, v9
	;; [unrolled: 1-line block ×3, first 2 shown]
	v_sub_f32_e32 v10, v9, v10
	v_sub_f32_e32 v8, v8, v10
	v_mul_f32_e32 v10, v25, v9
	v_fma_f32 v9, v25, v9, -v10
	v_fmac_f32_e32 v9, v25, v8
	v_add_f32_e32 v8, v10, v9
	v_cmp_class_f32_e64 s[44:45], v10, s41
	v_sub_f32_e32 v11, v8, v10
	v_sub_f32_e32 v9, v9, v11
	v_cndmask_b32_e64 v8, v8, v10, s[44:45]
	v_cmp_eq_f32_e64 s[44:45], s87, v8
	v_mov_b32_e32 v10, 0x37000000
	s_nop 0
	v_cndmask_b32_e64 v10, 0, v10, s[44:45]
	v_sub_f32_e32 v11, v8, v10
	v_mul_f32_e32 v12, 0x3fb8aa3b, v11
	v_fma_f32 v13, v11, s97, -v12
	v_rndne_f32_e32 v14, v12
	v_fmac_f32_e32 v13, 0x32a5705f, v11
	v_sub_f32_e32 v12, v12, v14
	v_add_f32_e32 v12, v12, v13
	v_exp_f32_e32 v12, v12
	v_cvt_i32_f32_e32 v13, v14
	v_cmp_neq_f32_e64 s[44:45], |v8|, s46
	s_nop 1
	v_cndmask_b32_e64 v8, 0, v9, s[44:45]
	v_ldexp_f32 v9, v12, v13
	v_cmp_ngt_f32_e64 s[44:45], s43, v11
	v_add_f32_e32 v8, v10, v8
	v_trunc_f32_e32 v10, v25
	v_cndmask_b32_e64 v9, 0, v9, s[44:45]
	v_cmp_nlt_f32_e64 s[44:45], s87, v11
	v_mov_b32_e32 v12, 0x7fc00000
	s_nop 0
	v_cndmask_b32_e64 v9, v132, v9, s[44:45]
	v_fma_f32 v8, v9, v8, v9
	v_cmp_class_f32_e64 s[44:45], v9, s41
	s_nop 1
	v_cndmask_b32_e64 v8, v8, v9, s[44:45]
	v_cndmask_b32_e64 v9, v24, 1.0, vcc
	v_cmp_eq_f32_e32 vcc, v10, v25
	v_mul_f32_e32 v10, 0.5, v25
	v_trunc_f32_e32 v11, v10
	v_cmp_neq_f32_e64 s[44:45], v11, v10
	s_and_b64 s[44:45], vcc, s[44:45]
	s_nop 0
	v_cndmask_b32_e64 v10, 1.0, v9, s[44:45]
	v_bfi_b32 v8, s86, v8, v10
	v_cndmask_b32_e32 v10, v12, v8, vcc
	v_cmp_gt_f32_e32 vcc, 0, v9
	v_cndmask_b32_e64 v11, 0, v9, s[44:45]
	s_nop 0
	v_cndmask_b32_e32 v8, v8, v10, vcc
	v_cmp_eq_f32_e32 vcc, s46, v26
	v_cmp_eq_f32_e64 s[46:47], 0, v9
	s_xor_b64 s[48:49], s[48:49], s[46:47]
	v_cndmask_b32_e64 v10, v132, 0, s[48:49]
	v_bfi_b32 v10, s86, v10, v11
	s_or_b64 vcc, vcc, s[46:47]
	v_cndmask_b32_e32 v8, v8, v10, vcc
	v_cmp_o_f32_e32 vcc, v9, v9
	s_nop 1
	v_cndmask_b32_e32 v136, v12, v8, vcc
.LBB30_21:                              ;   in Loop: Header=BB30_16 Depth=1
	v_readlane_b32 s41, v254, 3
	v_readlane_b32 s44, v254, 44
	;; [unrolled: 1-line block ×3, first 2 shown]
	v_mul_lo_u32 v7, v7, s41
	v_sub_u32_e32 v5, v5, v7
	v_sub_u32_e32 v8, 0, v5
	v_ashrrev_i32_e32 v7, 31, v5
	v_max_i32_e32 v5, v5, v8
	v_mul_hi_u32 v8, v5, s90
	v_mul_lo_u32 v9, v8, s92
	v_sub_u32_e32 v5, v5, v9
	v_add_u32_e32 v9, 1, v8
	v_subrev_u32_e32 v10, s92, v5
	v_cmp_le_u32_e32 vcc, s92, v5
	v_readlane_b32 s41, v254, 22
	v_readlane_b32 s56, v254, 23
	v_cndmask_b32_e32 v8, v8, v9, vcc
	v_cndmask_b32_e32 v5, v5, v10, vcc
	v_add_u32_e32 v9, 1, v8
	v_cmp_le_u32_e32 vcc, s92, v5
	v_xor_b32_e32 v7, s41, v7
	v_readlane_b32 s57, v254, 24
	v_cndmask_b32_e32 v5, v8, v9, vcc
	v_xor_b32_e32 v5, v5, v7
	s_andn2_b64 vcc, exec, s[44:45]
	v_sub_u32_e32 v7, v5, v7
	v_readlane_b32 s58, v254, 25
	v_readlane_b32 s59, v254, 26
	;; [unrolled: 1-line block ×14, first 2 shown]
	s_cbranch_vccnz .LBB30_23
; %bb.22:                               ;   in Loop: Header=BB30_16 Depth=1
	v_readlane_b32 s41, v254, 0
	s_nop 1
	v_mul_lo_u32 v5, v1, s41
	v_add_u32_e32 v8, v7, v5
	v_ashrrev_i32_e32 v9, 31, v8
	v_lshlrev_b64 v[8:9], 2, v[8:9]
	v_lshl_add_u64 v[8:9], s[66:67], 0, v[8:9]
	global_load_dword v5, v[8:9], off
	s_waitcnt vmcnt(0)
	v_ashrrev_i32_e32 v8, 31, v5
	v_lshrrev_b32_e32 v8, 26, v8
	v_add_u32_e32 v5, v5, v8
	v_ashrrev_i32_e32 v5, 6, v5
	v_min_i32_e32 v77, v77, v5
.LBB30_23:                              ;   in Loop: Header=BB30_16 Depth=1
	v_readlane_b32 s41, v254, 52
	v_mov_b32_e32 v9, v2
	v_readlane_b32 s44, v254, 12
	v_mul_lo_u32 v5, s41, v1
	v_add_u32_e32 v5, v4, v5
	v_lshlrev_b32_e32 v8, 7, v5
	v_lshlrev_b64 v[8:9], 3, v[8:9]
	v_lshl_add_u64 v[8:9], s[68:69], 0, v[8:9]
	v_accvgpr_write_b32 a199, v9
	v_readlane_b32 s45, v254, 13
	v_accvgpr_write_b32 a198, v8
	v_mul_hi_u32 v8, v1, s44
	v_mul_lo_u32 v5, v1, s45
	v_add_u32_e32 v5, v8, v5
	v_mul_lo_u32 v8, v3, s44
	v_mul_lo_u32 v142, v1, s44
	v_readlane_b32 s44, v254, 18
	v_readlane_b32 s47, v254, 21
	v_add_u32_e32 v143, v5, v8
	v_lshl_add_u64 v[8:9], s[60:61], 0, v[142:143]
	v_mul_lo_u32 v144, v6, s47
	v_readlane_b32 s46, v254, 20
	v_ashrrev_i32_e32 v145, 31, v144
	v_ashrrev_i32_e32 v5, 31, v4
	v_lshl_add_u64 v[134:135], v[8:9], 0, v[144:145]
	v_lshlrev_b64 v[8:9], 2, v[4:5]
	v_readlane_b32 s46, v254, 42
	v_lshl_add_u64 v[8:9], s[64:65], 0, v[8:9]
	v_readlane_b32 s47, v254, 43
	v_readlane_b32 s45, v254, 19
	v_mul_lo_u32 v3, v3, s44
	v_cndmask_b32_e64 v217, v9, 0, s[46:47]
	v_cndmask_b32_e64 v216, v8, 0, s[46:47]
	v_readlane_b32 s46, v254, 8
	v_readlane_b32 s47, v254, 9
	v_mul_lo_u32 v146, v1, s44
	v_mul_lo_u32 v4, v4, s46
	;; [unrolled: 1-line block ×3, first 2 shown]
	v_ashrrev_i32_e32 v9, 31, v8
	v_lshl_add_u64 v[8:9], s[56:57], 0, v[8:9]
	v_ashrrev_i32_e32 v5, 31, v4
	v_lshl_add_u64 v[150:151], v[8:9], 0, v[4:5]
	v_mul_lo_u32 v4, v1, s45
	v_mul_hi_u32 v5, v1, s44
	v_readlane_b32 s44, v254, 16
	v_add_u32_e32 v4, v5, v4
	v_readlane_b32 s45, v254, 17
	v_add_u32_e32 v147, v4, v3
	v_lshl_add_u64 v[4:5], s[58:59], 0, v[146:147]
	v_mul_lo_u32 v148, v6, s45
	v_ashrrev_i32_e32 v149, 31, v148
	v_lshlrev_b32_e32 v72, 5, v7
	v_lshl_add_u64 v[140:141], v[4:5], 0, v[148:149]
	s_cmp_lg_u32 s52, 0
	v_add_u32_e32 v45, v194, v72
	s_cbranch_scc0 .LBB30_101
; %bb.24:                               ;   in Loop: Header=BB30_16 Depth=1
	v_cmp_le_i32_e32 vcc, s96, v45
	s_and_saveexec_b64 s[44:45], vcc
	s_xor_b64 s[44:45], exec, s[44:45]
	s_cbranch_execz .LBB30_26
; %bb.25:                               ;   in Loop: Header=BB30_16 Depth=1
	ds_write2st64_b32 v162, v2, v2 offset1:1
.LBB30_26:                              ;   in Loop: Header=BB30_16 Depth=1
	s_andn2_saveexec_b64 s[44:45], s[44:45]
	s_cbranch_execz .LBB30_28
; %bb.27:                               ;   in Loop: Header=BB30_16 Depth=1
	v_mad_u64_u32 v[4:5], s[46:47], v45, s93, v[158:159]
	v_ashrrev_i32_e32 v5, 31, v4
	v_lshl_add_u64 v[4:5], v[4:5], 3, v[150:151]
	global_load_dwordx2 v[6:7], v[4:5], off
	s_waitcnt vmcnt(0)
	v_cvt_f16_f32_e32 v1, v6
	global_load_dwordx2 v[4:5], v[4:5], off offset:512
	v_cvt_f16_f32_e32 v3, v7
	v_pack_b32_f16 v1, v1, v3
	v_pk_mul_f16 v1, v196, v1
	s_waitcnt vmcnt(0)
	v_cvt_f16_f32_e32 v3, v4
	v_cvt_f16_f32_e32 v4, v5
	v_pack_b32_f16 v3, v3, v4
	v_pk_mul_f16 v3, v196, v3
	ds_write2st64_b32 v162, v1, v3 offset1:1
.LBB30_28:                              ;   in Loop: Header=BB30_16 Depth=1
	s_or_b64 exec, exec, s[44:45]
	v_add_u32_e32 v1, v154, v72
	v_cmp_le_i32_e32 vcc, s96, v1
	s_and_saveexec_b64 s[44:45], vcc
	s_xor_b64 s[44:45], exec, s[44:45]
	s_cbranch_execz .LBB30_30
; %bb.29:                               ;   in Loop: Header=BB30_16 Depth=1
	ds_write2st64_b32 v171, v2, v2 offset1:1
.LBB30_30:                              ;   in Loop: Header=BB30_16 Depth=1
	s_andn2_saveexec_b64 s[44:45], s[44:45]
	s_cbranch_execz .LBB30_32
; %bb.31:                               ;   in Loop: Header=BB30_16 Depth=1
	v_mad_u64_u32 v[4:5], s[46:47], v1, s93, v[158:159]
	v_ashrrev_i32_e32 v5, 31, v4
	v_lshl_add_u64 v[4:5], v[4:5], 3, v[150:151]
	global_load_dwordx2 v[6:7], v[4:5], off
	s_waitcnt vmcnt(0)
	v_cvt_f16_f32_e32 v3, v6
	global_load_dwordx2 v[4:5], v[4:5], off offset:512
	v_cvt_f16_f32_e32 v6, v7
	v_pack_b32_f16 v3, v3, v6
	v_pk_mul_f16 v3, v196, v3
	s_waitcnt vmcnt(0)
	v_cvt_f16_f32_e32 v4, v4
	v_cvt_f16_f32_e32 v5, v5
	v_pack_b32_f16 v4, v4, v5
	v_pk_mul_f16 v4, v196, v4
	ds_write2st64_b32 v171, v3, v4 offset1:1
.LBB30_32:                              ;   in Loop: Header=BB30_16 Depth=1
	s_or_b64 exec, exec, s[44:45]
	v_add_u32_e32 v172, v153, v72
	v_cmp_le_i32_e32 vcc, s96, v172
	s_and_saveexec_b64 s[44:45], vcc
	s_xor_b64 s[44:45], exec, s[44:45]
	s_cbranch_execz .LBB30_34
; %bb.33:                               ;   in Loop: Header=BB30_16 Depth=1
	v_add_u32_e32 v3, 64, v171
	ds_write2st64_b32 v3, v2, v2 offset0:8 offset1:9
.LBB30_34:                              ;   in Loop: Header=BB30_16 Depth=1
	s_andn2_saveexec_b64 s[44:45], s[44:45]
	s_cbranch_execz .LBB30_36
; %bb.35:                               ;   in Loop: Header=BB30_16 Depth=1
	v_mad_u64_u32 v[4:5], s[46:47], v172, s93, v[158:159]
	v_ashrrev_i32_e32 v5, 31, v4
	v_lshl_add_u64 v[4:5], v[4:5], 3, v[150:151]
	global_load_dwordx2 v[6:7], v[4:5], off
	s_waitcnt vmcnt(0)
	v_cvt_f16_f32_e32 v3, v6
	global_load_dwordx2 v[4:5], v[4:5], off offset:512
	v_cvt_f16_f32_e32 v6, v7
	v_pack_b32_f16 v3, v3, v6
	v_pk_mul_f16 v3, v196, v3
	s_waitcnt vmcnt(0)
	v_cvt_f16_f32_e32 v4, v4
	v_cvt_f16_f32_e32 v5, v5
	v_pack_b32_f16 v4, v4, v5
	v_pk_mul_f16 v4, v196, v4
	v_add_u32_e32 v5, 64, v171
	ds_write2st64_b32 v5, v3, v4 offset0:8 offset1:9
.LBB30_36:                              ;   in Loop: Header=BB30_16 Depth=1
	s_or_b64 exec, exec, s[44:45]
	v_add_u32_e32 v93, v152, v72
	v_cmp_le_i32_e32 vcc, s96, v93
	s_and_saveexec_b64 s[44:45], vcc
	s_xor_b64 s[44:45], exec, s[44:45]
	s_cbranch_execz .LBB30_38
; %bb.37:                               ;   in Loop: Header=BB30_16 Depth=1
	v_add_u32_e32 v3, 0x80, v171
	ds_write2st64_b32 v3, v2, v2 offset0:16 offset1:17
.LBB30_38:                              ;   in Loop: Header=BB30_16 Depth=1
	s_andn2_saveexec_b64 s[44:45], s[44:45]
	s_cbranch_execz .LBB30_40
; %bb.39:                               ;   in Loop: Header=BB30_16 Depth=1
	v_mad_u64_u32 v[4:5], s[46:47], v93, s93, v[158:159]
	v_ashrrev_i32_e32 v5, 31, v4
	v_lshl_add_u64 v[4:5], v[4:5], 3, v[150:151]
	global_load_dwordx2 v[6:7], v[4:5], off
	s_waitcnt vmcnt(0)
	v_cvt_f16_f32_e32 v3, v6
	global_load_dwordx2 v[4:5], v[4:5], off offset:512
	v_cvt_f16_f32_e32 v6, v7
	v_pack_b32_f16 v3, v3, v6
	v_pk_mul_f16 v3, v196, v3
	s_waitcnt vmcnt(0)
	v_cvt_f16_f32_e32 v4, v4
	v_cvt_f16_f32_e32 v5, v5
	v_pack_b32_f16 v4, v4, v5
	v_pk_mul_f16 v4, v196, v4
	v_add_u32_e32 v5, 0x80, v171
	ds_write2st64_b32 v5, v3, v4 offset0:16 offset1:17
.LBB30_40:                              ;   in Loop: Header=BB30_16 Depth=1
	;; [unrolled: 31-line block ×3, first 2 shown]
	s_or_b64 exec, exec, s[44:45]
	v_add_u32_e32 v62, v199, v72
	v_cmp_le_i32_e32 vcc, s96, v62
	s_and_saveexec_b64 s[44:45], vcc
	s_xor_b64 s[44:45], exec, s[44:45]
	s_cbranch_execz .LBB30_46
; %bb.45:                               ;   in Loop: Header=BB30_16 Depth=1
	ds_write2st64_b32 v171, v2, v2 offset0:33 offset1:34
.LBB30_46:                              ;   in Loop: Header=BB30_16 Depth=1
	s_andn2_saveexec_b64 s[44:45], s[44:45]
	s_cbranch_execz .LBB30_48
; %bb.47:                               ;   in Loop: Header=BB30_16 Depth=1
	v_mad_u64_u32 v[4:5], s[46:47], v62, s93, v[158:159]
	v_ashrrev_i32_e32 v5, 31, v4
	v_lshl_add_u64 v[4:5], v[4:5], 3, v[150:151]
	global_load_dwordx2 v[6:7], v[4:5], off
	s_waitcnt vmcnt(0)
	v_cvt_f16_f32_e32 v3, v6
	global_load_dwordx2 v[4:5], v[4:5], off offset:512
	v_cvt_f16_f32_e32 v6, v7
	v_pack_b32_f16 v3, v3, v6
	v_pk_mul_f16 v3, v196, v3
	s_waitcnt vmcnt(0)
	v_cvt_f16_f32_e32 v4, v4
	v_cvt_f16_f32_e32 v5, v5
	v_pack_b32_f16 v4, v4, v5
	v_pk_mul_f16 v4, v196, v4
	ds_write2st64_b32 v171, v3, v4 offset0:33 offset1:34
.LBB30_48:                              ;   in Loop: Header=BB30_16 Depth=1
	s_or_b64 exec, exec, s[44:45]
	v_add_u32_e32 v63, v198, v72
	v_cmp_le_i32_e32 vcc, s96, v63
	s_and_saveexec_b64 s[44:45], vcc
	s_xor_b64 s[44:45], exec, s[44:45]
	s_cbranch_execz .LBB30_50
; %bb.49:                               ;   in Loop: Header=BB30_16 Depth=1
	v_add_u32_e32 v3, 64, v171
	ds_write2st64_b32 v3, v2, v2 offset0:41 offset1:42
.LBB30_50:                              ;   in Loop: Header=BB30_16 Depth=1
	s_andn2_saveexec_b64 s[44:45], s[44:45]
	s_cbranch_execz .LBB30_52
; %bb.51:                               ;   in Loop: Header=BB30_16 Depth=1
	v_mad_u64_u32 v[4:5], s[46:47], v63, s93, v[158:159]
	v_ashrrev_i32_e32 v5, 31, v4
	v_lshl_add_u64 v[4:5], v[4:5], 3, v[150:151]
	global_load_dwordx2 v[6:7], v[4:5], off
	s_waitcnt vmcnt(0)
	v_cvt_f16_f32_e32 v3, v6
	global_load_dwordx2 v[4:5], v[4:5], off offset:512
	v_cvt_f16_f32_e32 v6, v7
	v_pack_b32_f16 v3, v3, v6
	v_pk_mul_f16 v3, v196, v3
	s_waitcnt vmcnt(0)
	v_cvt_f16_f32_e32 v4, v4
	v_cvt_f16_f32_e32 v5, v5
	v_pack_b32_f16 v4, v4, v5
	v_pk_mul_f16 v4, v196, v4
	v_add_u32_e32 v5, 64, v171
	ds_write2st64_b32 v5, v3, v4 offset0:41 offset1:42
.LBB30_52:                              ;   in Loop: Header=BB30_16 Depth=1
	s_or_b64 exec, exec, s[44:45]
	v_add_u32_e32 v64, v197, v72
	v_cmp_le_i32_e32 vcc, s96, v64
	s_and_saveexec_b64 s[44:45], vcc
	s_xor_b64 s[44:45], exec, s[44:45]
	s_cbranch_execz .LBB30_54
; %bb.53:                               ;   in Loop: Header=BB30_16 Depth=1
	v_add_u32_e32 v3, 0x80, v171
	ds_write2st64_b32 v3, v2, v2 offset0:49 offset1:50
.LBB30_54:                              ;   in Loop: Header=BB30_16 Depth=1
	s_andn2_saveexec_b64 s[44:45], s[44:45]
	s_cbranch_execz .LBB30_56
; %bb.55:                               ;   in Loop: Header=BB30_16 Depth=1
	v_mad_u64_u32 v[4:5], s[46:47], v64, s93, v[158:159]
	v_ashrrev_i32_e32 v5, 31, v4
	v_lshl_add_u64 v[4:5], v[4:5], 3, v[150:151]
	global_load_dwordx2 v[6:7], v[4:5], off
	s_waitcnt vmcnt(0)
	v_cvt_f16_f32_e32 v3, v6
	global_load_dwordx2 v[4:5], v[4:5], off offset:512
	v_cvt_f16_f32_e32 v6, v7
	v_pack_b32_f16 v3, v3, v6
	v_pk_mul_f16 v3, v196, v3
	s_waitcnt vmcnt(0)
	v_cvt_f16_f32_e32 v4, v4
	v_cvt_f16_f32_e32 v5, v5
	v_pack_b32_f16 v4, v4, v5
	v_pk_mul_f16 v4, v196, v4
	v_add_u32_e32 v5, 0x80, v171
	ds_write2st64_b32 v5, v3, v4 offset0:49 offset1:50
.LBB30_56:                              ;   in Loop: Header=BB30_16 Depth=1
	s_or_b64 exec, exec, s[44:45]
	s_waitcnt lgkmcnt(0)
	s_barrier
	ds_read2_b64 v[34:37], v157 offset1:4
	ds_read2_b64 v[30:33], v157 offset0:8 offset1:12
	ds_read2_b64 v[26:29], v157 offset0:16 offset1:20
	;; [unrolled: 1-line block ×7, first 2 shown]
	v_add_u32_e32 v67, -1, v77
	v_cmp_ge_i32_e32 vcc, s52, v67
	v_mov_b32_e32 v215, v72
	v_mov_b32_e32 v65, 0
	s_waitcnt lgkmcnt(0)
	s_barrier
	s_cbranch_vccnz .LBB30_102
; %bb.57:                               ;   in Loop: Header=BB30_16 Depth=1
	v_readlane_b32 s48, v254, 10
	v_readlane_b32 s49, v254, 11
	v_lshlrev_b32_e32 v4, 1, v158
	v_mul_hi_u32 v3, s48, v45
	v_add_u32_e32 v3, v45, v3
	v_lshrrev_b32_e32 v3, s49, v3
	v_mul_lo_u32 v3, v3, s96
	v_sub_u32_e32 v3, v45, v3
	v_mad_i64_i32 v[154:155], s[46:47], v3, s40, 0
	v_mul_hi_u32 v3, s48, v1
	v_add_u32_e32 v3, v1, v3
	v_lshrrev_b32_e32 v3, s49, v3
	v_mul_lo_u32 v3, v3, s96
	v_sub_u32_e32 v3, v1, v3
	v_mad_i64_i32 v[156:157], s[46:47], v3, s40, 0
	;; [unrolled: 6-line block ×7, first 2 shown]
	v_mul_hi_u32 v3, s48, v64
	v_add_u32_e32 v3, v64, v3
	v_lshrrev_b32_e32 v3, s49, v3
	v_mul_lo_u32 v3, v3, s96
	v_sub_u32_e32 v3, v64, v3
	v_mov_b32_e32 v5, v2
	v_mad_i64_i32 v[168:169], s[46:47], v3, s40, 0
	v_and_b32_e32 v3, 64, v170
	v_lshl_add_u64 v[152:153], v[138:139], 0, v[4:5]
	v_add_u32_e32 v3, 64, v3
	v_xor_b32_e32 v4, 32, v170
	v_cmp_lt_i32_e32 vcc, v4, v3
	v_cmp_ne_u64_e64 s[44:45], 0, v[138:139]
	v_accvgpr_write_b32 a13, v45
	v_cndmask_b32_e32 v4, v170, v4, vcc
	v_lshlrev_b32_e32 v70, 2, v4
	v_xor_b32_e32 v4, 16, v170
	v_cmp_lt_i32_e32 vcc, v4, v3
	v_mov_b32_e32 v175, 0
	v_mov_b32_e32 v171, v136
	v_cndmask_b32_e32 v3, v170, v4, vcc
	v_lshlrev_b32_e32 v71, 2, v3
	v_mov_b32_e32 v170, v136
	s_lshl_b32 s46, s52, 6
	v_mov_b32_e32 v177, 0
	v_mov_b32_e32 v178, 0xfeffffff
	;; [unrolled: 1-line block ×33, first 2 shown]
	s_andn2_b64 vcc, exec, s[44:45]
	s_ashr_i32 s47, s46, 31
	s_cbranch_vccnz .LBB30_63
.LBB30_58:                              ;   in Loop: Header=BB30_16 Depth=1
                                        ; implicit-def: $sgpr41
	s_and_saveexec_b64 s[48:49], s[0:1]
	s_xor_b64 s[48:49], exec, s[48:49]
	s_cbranch_execz .LBB30_60
; %bb.59:                               ;   in Loop: Header=BB30_16 Depth=1
	v_accvgpr_read_b32 v3, a51
	ds_write_b16 v3, v2 offset:33792
	v_accvgpr_read_b32 v3, a146
	ds_write_b16 v3, v2 offset:33792
	;; [unrolled: 2-line block ×4, first 2 shown]
	s_mov_b32 s41, 0
.LBB30_60:                              ;   in Loop: Header=BB30_16 Depth=1
	s_or_saveexec_b64 s[48:49], s[48:49]
	v_mov_b32_e32 v3, s41
	v_mov_b32_e32 v4, s41
	;; [unrolled: 1-line block ×4, first 2 shown]
	s_xor_b64 exec, exec, s[48:49]
	s_cbranch_execz .LBB30_62
; %bb.61:                               ;   in Loop: Header=BB30_16 Depth=1
	v_lshl_add_u64 v[38:39], s[46:47], 1, v[152:153]
	v_lshl_add_u64 v[4:5], v[154:155], 1, v[38:39]
	flat_load_ushort v3, v[4:5]
	v_lshl_add_u64 v[4:5], v[156:157], 1, v[38:39]
	flat_load_ushort v40, v[4:5]
	;; [unrolled: 2-line block ×4, first 2 shown]
	v_accvgpr_read_b32 v5, a51
	s_waitcnt vmcnt(0) lgkmcnt(0)
	ds_write_b16 v5, v3 offset:33792
	v_accvgpr_read_b32 v3, a146
	ds_write_b16 v3, v40 offset:33792
	v_accvgpr_read_b32 v3, a147
	;; [unrolled: 2-line block ×3, first 2 shown]
	ds_write_b16 v3, v4 offset:33792
	v_lshl_add_u64 v[4:5], v[162:163], 1, v[38:39]
	flat_load_ushort v3, v[4:5]
	v_lshl_add_u64 v[4:5], v[164:165], 1, v[38:39]
	v_lshl_add_u64 v[40:41], v[166:167], 1, v[38:39]
	v_lshl_add_u64 v[38:39], v[168:169], 1, v[38:39]
	flat_load_ushort v4, v[4:5]
	s_nop 0
	flat_load_ushort v38, v[38:39]
	s_nop 0
	flat_load_ushort v5, v[40:41]
.LBB30_62:                              ;   in Loop: Header=BB30_16 Depth=1
	s_or_b64 exec, exec, s[48:49]
	v_accvgpr_read_b32 v39, a149
	s_waitcnt vmcnt(0) lgkmcnt(0)
	ds_write_b16 v39, v3 offset:33792
	v_accvgpr_read_b32 v3, a150
	ds_write_b16 v3, v4 offset:33792
	v_accvgpr_read_b32 v3, a151
	;; [unrolled: 2-line block ×3, first 2 shown]
	ds_write_b16 v3, v38 offset:33792
.LBB30_63:                              ;   Parent Loop BB30_16 Depth=1
                                        ; =>  This Inner Loop Header: Depth=2
	s_mul_hi_i32 s49, s46, s78
	s_mul_i32 s48, s46, s78
	v_mov_b32_e32 v3, v2
	v_mov_b32_e32 v4, v2
	;; [unrolled: 1-line block ×3, first 2 shown]
	s_lshl_b64 s[48:49], s[48:49], 2
	scratch_store_dwordx4 off, v[2:5], off
	v_lshl_add_u64 v[42:43], v[140:141], 0, s[48:49]
	v_mov_b32_e32 v44, s80
	v_accvgpr_read_b32 v4, a52
	v_accvgpr_read_b32 v5, a53
	v_lshl_add_u64 v[38:39], v[4:5], 2, v[42:43]
	v_accvgpr_read_b32 v4, a26
	v_lshlrev_b32_e32 v4, 2, v4
	v_mov_b32_e32 v5, v2
	v_lshl_add_u64 v[38:39], v[38:39], 0, v[4:5]
	v_mov_b32_e32 v3, s81
	v_cndmask_b32_e64 v39, v3, v39, s[38:39]
	v_cndmask_b32_e64 v38, v44, v38, s[38:39]
	flat_load_dwordx4 v[38:41], v[38:39]
	s_waitcnt vmcnt(0) lgkmcnt(0)
	ds_write_b128 v202, v[38:41]
	v_accvgpr_read_b32 v38, a54
	v_accvgpr_read_b32 v39, a55
	v_lshl_add_u64 v[38:39], v[38:39], 2, v[42:43]
	v_lshl_add_u64 v[38:39], v[38:39], 0, v[4:5]
	v_cndmask_b32_e64 v39, v3, v39, s[4:5]
	v_cndmask_b32_e64 v38, v44, v38, s[4:5]
	flat_load_dwordx4 v[38:41], v[38:39]
	s_waitcnt vmcnt(0) lgkmcnt(0)
	ds_write_b128 v200, v[38:41]
	v_accvgpr_read_b32 v38, a56
	v_accvgpr_read_b32 v39, a57
	v_lshl_add_u64 v[38:39], v[38:39], 2, v[42:43]
	v_lshl_add_u64 v[38:39], v[38:39], 0, v[4:5]
	v_cndmask_b32_e64 v39, v3, v39, s[6:7]
	v_cndmask_b32_e64 v38, v44, v38, s[6:7]
	flat_load_dwordx4 v[38:41], v[38:39]
	s_waitcnt vmcnt(0) lgkmcnt(0)
	ds_write_b128 v130, v[38:41]
	v_accvgpr_read_b32 v38, a58
	v_accvgpr_read_b32 v39, a59
	v_lshl_add_u64 v[38:39], v[38:39], 2, v[42:43]
	v_lshl_add_u64 v[38:39], v[38:39], 0, v[4:5]
	v_cndmask_b32_e64 v39, v3, v39, s[8:9]
	v_cndmask_b32_e64 v38, v44, v38, s[8:9]
	flat_load_dwordx4 v[38:41], v[38:39]
	s_waitcnt vmcnt(0) lgkmcnt(0)
	ds_write_b128 v131, v[38:41]
	v_accvgpr_read_b32 v38, a60
	v_accvgpr_read_b32 v39, a61
	v_lshl_add_u64 v[38:39], v[38:39], 2, v[42:43]
	v_lshl_add_u64 v[38:39], v[38:39], 0, v[4:5]
	v_cndmask_b32_e64 v39, v3, v39, s[10:11]
	v_cndmask_b32_e64 v38, v44, v38, s[10:11]
	flat_load_dwordx4 v[38:41], v[38:39]
	s_waitcnt vmcnt(0) lgkmcnt(0)
	ds_write_b128 v54, v[38:41]
	v_accvgpr_read_b32 v38, a62
	v_accvgpr_read_b32 v39, a63
	v_lshl_add_u64 v[38:39], v[38:39], 2, v[42:43]
	v_lshl_add_u64 v[38:39], v[38:39], 0, v[4:5]
	v_cndmask_b32_e64 v39, v3, v39, s[12:13]
	v_cndmask_b32_e64 v38, v44, v38, s[12:13]
	flat_load_dwordx4 v[38:41], v[38:39]
	s_waitcnt vmcnt(0) lgkmcnt(0)
	ds_write_b128 v56, v[38:41]
	v_accvgpr_read_b32 v38, a64
	v_accvgpr_read_b32 v39, a65
	v_lshl_add_u64 v[38:39], v[38:39], 2, v[42:43]
	v_lshl_add_u64 v[38:39], v[38:39], 0, v[4:5]
	v_cndmask_b32_e64 v39, v3, v39, s[14:15]
	v_cndmask_b32_e64 v38, v44, v38, s[14:15]
	flat_load_dwordx4 v[38:41], v[38:39]
	s_waitcnt vmcnt(0) lgkmcnt(0)
	ds_write_b128 v0, v[38:41]
	v_accvgpr_read_b32 v38, a66
	v_accvgpr_read_b32 v39, a67
	v_lshl_add_u64 v[38:39], v[38:39], 2, v[42:43]
	v_lshl_add_u64 v[38:39], v[38:39], 0, v[4:5]
	v_cndmask_b32_e64 v39, v3, v39, s[16:17]
	v_cndmask_b32_e64 v38, v44, v38, s[16:17]
	flat_load_dwordx4 v[38:41], v[38:39]
	v_add_u32_e32 v3, 0x4000, v251
                                        ; implicit-def: $vgpr5
	s_waitcnt vmcnt(0) lgkmcnt(0)
	ds_write_b128 v252, v[38:41]
	s_waitcnt lgkmcnt(0)
	s_barrier
	ds_read2_b64 v[38:41], v251 offset1:4
	s_waitcnt lgkmcnt(0)
	v_mfma_f32_16x16x16_f16 a[0:3], v[38:39], v[34:35], 0
	v_mfma_f32_16x16x16_f16 a[0:3], v[40:41], v[36:37], a[0:3]
	ds_read2_b64 v[38:41], v251 offset0:8 offset1:12
	s_waitcnt lgkmcnt(0)
	v_mfma_f32_16x16x16_f16 a[0:3], v[38:39], v[30:31], a[0:3]
	v_mfma_f32_16x16x16_f16 a[0:3], v[40:41], v[32:33], a[0:3]
	ds_read2_b64 v[38:41], v251 offset0:16 offset1:20
	s_waitcnt lgkmcnt(0)
	v_mfma_f32_16x16x16_f16 a[0:3], v[38:39], v[26:27], a[0:3]
	v_mfma_f32_16x16x16_f16 a[0:3], v[40:41], v[28:29], a[0:3]
	ds_read2_b64 v[38:41], v251 offset0:24 offset1:28
	s_waitcnt lgkmcnt(0)
	v_mfma_f32_16x16x16_f16 a[0:3], v[38:39], v[22:23], a[0:3]
	v_mfma_f32_16x16x16_f16 a[0:3], v[40:41], v[24:25], a[0:3]
	ds_read2_b64 v[38:41], v251 offset0:32 offset1:36
	s_waitcnt lgkmcnt(0)
	v_mfma_f32_16x16x16_f16 a[0:3], v[38:39], v[18:19], a[0:3]
	v_mfma_f32_16x16x16_f16 a[0:3], v[40:41], v[20:21], a[0:3]
	ds_read2_b64 v[38:41], v251 offset0:40 offset1:44
	s_waitcnt lgkmcnt(0)
	v_mfma_f32_16x16x16_f16 a[0:3], v[38:39], v[14:15], a[0:3]
	v_mfma_f32_16x16x16_f16 a[0:3], v[40:41], v[16:17], a[0:3]
	ds_read2_b64 v[38:41], v251 offset0:48 offset1:52
	s_waitcnt lgkmcnt(0)
	v_mfma_f32_16x16x16_f16 a[0:3], v[38:39], v[10:11], a[0:3]
	v_mfma_f32_16x16x16_f16 a[0:3], v[40:41], v[12:13], a[0:3]
	ds_read2_b64 v[38:41], v251 offset0:56 offset1:60
	s_waitcnt lgkmcnt(0)
	v_mfma_f32_16x16x16_f16 a[0:3], v[38:39], v[6:7], a[0:3]
	v_mfma_f32_16x16x16_f16 a[0:3], v[40:41], v[8:9], a[0:3]
	ds_read2_b64 v[38:41], v3 offset0:64 offset1:68
	s_waitcnt lgkmcnt(0)
	v_mfma_f32_16x16x16_f16 a[4:7], v[38:39], v[34:35], 0
	v_mfma_f32_16x16x16_f16 a[4:7], v[40:41], v[36:37], a[4:7]
	ds_read2_b64 v[38:41], v3 offset0:72 offset1:76
	s_waitcnt lgkmcnt(0)
	v_mfma_f32_16x16x16_f16 a[4:7], v[38:39], v[30:31], a[4:7]
	v_mfma_f32_16x16x16_f16 a[4:7], v[40:41], v[32:33], a[4:7]
	ds_read2_b64 v[38:41], v3 offset0:80 offset1:84
	s_waitcnt lgkmcnt(0)
	v_mfma_f32_16x16x16_f16 a[4:7], v[38:39], v[26:27], a[4:7]
	v_mfma_f32_16x16x16_f16 a[4:7], v[40:41], v[28:29], a[4:7]
	ds_read2_b64 v[38:41], v3 offset0:88 offset1:92
	s_waitcnt lgkmcnt(0)
	v_mfma_f32_16x16x16_f16 a[4:7], v[38:39], v[22:23], a[4:7]
	v_mfma_f32_16x16x16_f16 a[4:7], v[40:41], v[24:25], a[4:7]
	ds_read2_b64 v[38:41], v3 offset0:96 offset1:100
	s_waitcnt lgkmcnt(0)
	v_mfma_f32_16x16x16_f16 a[4:7], v[38:39], v[18:19], a[4:7]
	v_mfma_f32_16x16x16_f16 a[4:7], v[40:41], v[20:21], a[4:7]
	ds_read2_b64 v[38:41], v3 offset0:104 offset1:108
	s_waitcnt lgkmcnt(0)
	v_mfma_f32_16x16x16_f16 a[4:7], v[38:39], v[14:15], a[4:7]
	v_mfma_f32_16x16x16_f16 a[4:7], v[40:41], v[16:17], a[4:7]
	ds_read2_b64 v[38:41], v3 offset0:112 offset1:116
	s_waitcnt lgkmcnt(0)
	v_mfma_f32_16x16x16_f16 a[4:7], v[38:39], v[10:11], a[4:7]
	v_mfma_f32_16x16x16_f16 a[4:7], v[40:41], v[12:13], a[4:7]
	ds_read2_b64 v[38:41], v3 offset0:120 offset1:124
	v_accvgpr_read_b32 v3, a0
	v_cmp_nlt_f32_e64 s[48:49], |v3|, s94
	s_waitcnt lgkmcnt(0)
	v_mfma_f32_16x16x16_f16 a[4:7], v[38:39], v[6:7], a[4:7]
	s_barrier
	v_mfma_f32_16x16x16_f16 a[4:7], v[40:41], v[8:9], a[4:7]
	s_and_saveexec_b64 s[50:51], s[48:49]
	s_xor_b64 s[48:49], exec, s[50:51]
	s_cbranch_execz .LBB30_65
; %bb.64:                               ;   in Loop: Header=BB30_63 Depth=2
	v_add_f32_e64 v5, |v3|, |v3|
	v_mul_f32_e32 v38, 0x3fb8aa3b, v5
	v_rndne_f32_e32 v39, v38
	v_sub_f32_e32 v40, v38, v39
	v_fma_f32 v38, v5, s97, -v38
	v_fmac_f32_e32 v38, 0x32a5705f, v5
	v_add_f32_e32 v38, v40, v38
	v_cvt_i32_f32_e32 v39, v39
	v_exp_f32_e32 v38, v38
	v_cmp_ngt_f32_e32 vcc, s43, v5
	v_ldexp_f32 v38, v38, v39
	s_nop 0
	v_cndmask_b32_e32 v38, 0, v38, vcc
	v_cmp_nlt_f32_e32 vcc, s87, v5
	s_nop 1
	v_cndmask_b32_e32 v5, v132, v38, vcc
	v_add_f32_e32 v5, 1.0, v5
	v_rcp_f32_e32 v5, v5
	s_nop 0
	v_fma_f32 v5, v5, -2.0, 1.0
.LBB30_65:                              ;   in Loop: Header=BB30_63 Depth=2
	s_andn2_saveexec_b64 s[48:49], s[48:49]
; %bb.66:                               ;   in Loop: Header=BB30_63 Depth=2
	v_mul_f32_e32 v5, v3, v3
	v_fmamk_f32 v38, v5, 0xbbbac73d, v58
	v_fmaak_f32 v38, v5, v38, 0xbd5c1c4e
	v_fmaak_f32 v38, v5, v38, 0x3e088382
	;; [unrolled: 1-line block ×3, first 2 shown]
	v_mul_f32_e64 v38, |v3|, v38
	v_fma_f32 v5, v5, v38, |v3|
; %bb.67:                               ;   in Loop: Header=BB30_63 Depth=2
	s_or_b64 exec, exec, s[48:49]
	v_accvgpr_read_b32 v41, a3
	v_accvgpr_read_b32 v39, a1
	;; [unrolled: 1-line block ×4, first 2 shown]
	v_cmp_nlt_f32_e64 s[48:49], |v39|, s94
                                        ; implicit-def: $vgpr38
	s_and_saveexec_b64 s[50:51], s[48:49]
	s_xor_b64 s[48:49], exec, s[50:51]
	s_cbranch_execz .LBB30_69
; %bb.68:                               ;   in Loop: Header=BB30_63 Depth=2
	v_add_f32_e64 v38, |v39|, |v39|
	v_mul_f32_e32 v42, 0x3fb8aa3b, v38
	v_rndne_f32_e32 v43, v42
	v_sub_f32_e32 v44, v42, v43
	v_fma_f32 v42, v38, s97, -v42
	v_fmac_f32_e32 v42, 0x32a5705f, v38
	v_add_f32_e32 v42, v44, v42
	v_cvt_i32_f32_e32 v43, v43
	v_exp_f32_e32 v42, v42
	v_cmp_ngt_f32_e32 vcc, s43, v38
	v_ldexp_f32 v42, v42, v43
	s_nop 0
	v_cndmask_b32_e32 v42, 0, v42, vcc
	v_cmp_nlt_f32_e32 vcc, s87, v38
	s_nop 1
	v_cndmask_b32_e32 v38, v132, v42, vcc
	v_add_f32_e32 v38, 1.0, v38
	v_rcp_f32_e32 v38, v38
	s_nop 0
	v_fma_f32 v38, v38, -2.0, 1.0
.LBB30_69:                              ;   in Loop: Header=BB30_63 Depth=2
	s_andn2_saveexec_b64 s[48:49], s[48:49]
; %bb.70:                               ;   in Loop: Header=BB30_63 Depth=2
	v_mul_f32_e32 v38, v39, v39
	v_fmamk_f32 v42, v38, 0xbbbac73d, v58
	v_fmaak_f32 v42, v38, v42, 0xbd5c1c4e
	v_fmaak_f32 v42, v38, v42, 0x3e088382
	v_fmaak_f32 v42, v38, v42, 0xbeaaaa99
	v_mul_f32_e64 v42, |v39|, v42
	v_fma_f32 v38, v38, v42, |v39|
; %bb.71:                               ;   in Loop: Header=BB30_63 Depth=2
	s_or_b64 exec, exec, s[48:49]
	v_cmp_nlt_f32_e64 s[48:49], |v40|, s94
                                        ; implicit-def: $vgpr46
	s_and_saveexec_b64 s[50:51], s[48:49]
	s_xor_b64 s[48:49], exec, s[50:51]
	s_cbranch_execz .LBB30_73
; %bb.72:                               ;   in Loop: Header=BB30_63 Depth=2
	v_add_f32_e64 v42, |v40|, |v40|
	v_mul_f32_e32 v43, 0x3fb8aa3b, v42
	v_rndne_f32_e32 v44, v43
	v_sub_f32_e32 v45, v43, v44
	v_fma_f32 v43, v42, s97, -v43
	v_fmac_f32_e32 v43, 0x32a5705f, v42
	v_add_f32_e32 v43, v45, v43
	v_cvt_i32_f32_e32 v44, v44
	v_exp_f32_e32 v43, v43
	v_cmp_ngt_f32_e32 vcc, s43, v42
	v_ldexp_f32 v43, v43, v44
	s_nop 0
	v_cndmask_b32_e32 v43, 0, v43, vcc
	v_cmp_nlt_f32_e32 vcc, s87, v42
	s_nop 1
	v_cndmask_b32_e32 v42, v132, v43, vcc
	v_add_f32_e32 v42, 1.0, v42
	v_rcp_f32_e32 v42, v42
	s_nop 0
	v_fma_f32 v46, v42, -2.0, 1.0
.LBB30_73:                              ;   in Loop: Header=BB30_63 Depth=2
	s_andn2_saveexec_b64 s[48:49], s[48:49]
; %bb.74:                               ;   in Loop: Header=BB30_63 Depth=2
	v_mul_f32_e32 v42, v40, v40
	v_fmamk_f32 v43, v42, 0xbbbac73d, v58
	v_fmaak_f32 v43, v42, v43, 0xbd5c1c4e
	v_fmaak_f32 v43, v42, v43, 0x3e088382
	;; [unrolled: 1-line block ×3, first 2 shown]
	v_mul_f32_e64 v43, |v40|, v43
	v_fma_f32 v46, v42, v43, |v40|
; %bb.75:                               ;   in Loop: Header=BB30_63 Depth=2
	s_or_b64 exec, exec, s[48:49]
	v_cmp_nlt_f32_e64 s[48:49], |v41|, s94
                                        ; implicit-def: $vgpr47
	s_and_saveexec_b64 s[50:51], s[48:49]
	s_xor_b64 s[48:49], exec, s[50:51]
	s_cbranch_execz .LBB30_77
; %bb.76:                               ;   in Loop: Header=BB30_63 Depth=2
	v_add_f32_e64 v42, |v41|, |v41|
	v_mul_f32_e32 v43, 0x3fb8aa3b, v42
	v_rndne_f32_e32 v44, v43
	v_sub_f32_e32 v45, v43, v44
	v_fma_f32 v43, v42, s97, -v43
	v_fmac_f32_e32 v43, 0x32a5705f, v42
	v_add_f32_e32 v43, v45, v43
	v_cvt_i32_f32_e32 v44, v44
	v_exp_f32_e32 v43, v43
	v_cmp_ngt_f32_e32 vcc, s43, v42
	v_ldexp_f32 v43, v43, v44
	s_nop 0
	v_cndmask_b32_e32 v43, 0, v43, vcc
	v_cmp_nlt_f32_e32 vcc, s87, v42
	s_nop 1
	v_cndmask_b32_e32 v42, v132, v43, vcc
	v_add_f32_e32 v42, 1.0, v42
	v_rcp_f32_e32 v42, v42
	s_nop 0
	v_fma_f32 v47, v42, -2.0, 1.0
.LBB30_77:                              ;   in Loop: Header=BB30_63 Depth=2
	s_andn2_saveexec_b64 s[48:49], s[48:49]
; %bb.78:                               ;   in Loop: Header=BB30_63 Depth=2
	v_mul_f32_e32 v42, v41, v41
	v_fmamk_f32 v43, v42, 0xbbbac73d, v58
	v_fmaak_f32 v43, v42, v43, 0xbd5c1c4e
	v_fmaak_f32 v43, v42, v43, 0x3e088382
	;; [unrolled: 1-line block ×3, first 2 shown]
	v_mul_f32_e64 v43, |v41|, v43
	v_fma_f32 v47, v42, v43, |v41|
; %bb.79:                               ;   in Loop: Header=BB30_63 Depth=2
	s_or_b64 exec, exec, s[48:49]
	v_accvgpr_read_b32 v45, a7
	v_accvgpr_read_b32 v42, a4
	;; [unrolled: 1-line block ×4, first 2 shown]
	v_cmp_nlt_f32_e64 s[48:49], |v42|, s94
                                        ; implicit-def: $vgpr48
	s_and_saveexec_b64 s[50:51], s[48:49]
	s_xor_b64 s[48:49], exec, s[50:51]
	s_cbranch_execz .LBB30_81
; %bb.80:                               ;   in Loop: Header=BB30_63 Depth=2
	v_add_f32_e64 v48, |v42|, |v42|
	v_mul_f32_e32 v49, 0x3fb8aa3b, v48
	v_rndne_f32_e32 v50, v49
	v_sub_f32_e32 v51, v49, v50
	v_fma_f32 v49, v48, s97, -v49
	v_fmac_f32_e32 v49, 0x32a5705f, v48
	v_add_f32_e32 v49, v51, v49
	v_cvt_i32_f32_e32 v50, v50
	v_exp_f32_e32 v49, v49
	v_cmp_ngt_f32_e32 vcc, s43, v48
	v_ldexp_f32 v49, v49, v50
	s_nop 0
	v_cndmask_b32_e32 v49, 0, v49, vcc
	v_cmp_nlt_f32_e32 vcc, s87, v48
	s_nop 1
	v_cndmask_b32_e32 v48, v132, v49, vcc
	v_add_f32_e32 v48, 1.0, v48
	v_rcp_f32_e32 v48, v48
	s_nop 0
	v_fma_f32 v48, v48, -2.0, 1.0
.LBB30_81:                              ;   in Loop: Header=BB30_63 Depth=2
	s_andn2_saveexec_b64 s[48:49], s[48:49]
; %bb.82:                               ;   in Loop: Header=BB30_63 Depth=2
	v_mul_f32_e32 v48, v42, v42
	v_fmamk_f32 v49, v48, 0xbbbac73d, v58
	v_fmaak_f32 v49, v48, v49, 0xbd5c1c4e
	v_fmaak_f32 v49, v48, v49, 0x3e088382
	;; [unrolled: 1-line block ×3, first 2 shown]
	v_mul_f32_e64 v49, |v42|, v49
	v_fma_f32 v48, v48, v49, |v42|
; %bb.83:                               ;   in Loop: Header=BB30_63 Depth=2
	s_or_b64 exec, exec, s[48:49]
	v_cmp_nlt_f32_e64 s[48:49], |v43|, s94
                                        ; implicit-def: $vgpr49
	s_and_saveexec_b64 s[50:51], s[48:49]
	s_xor_b64 s[48:49], exec, s[50:51]
	s_cbranch_execz .LBB30_85
; %bb.84:                               ;   in Loop: Header=BB30_63 Depth=2
	v_add_f32_e64 v49, |v43|, |v43|
	v_mul_f32_e32 v50, 0x3fb8aa3b, v49
	v_rndne_f32_e32 v51, v50
	v_sub_f32_e32 v52, v50, v51
	v_fma_f32 v50, v49, s97, -v50
	v_fmac_f32_e32 v50, 0x32a5705f, v49
	v_add_f32_e32 v50, v52, v50
	v_cvt_i32_f32_e32 v51, v51
	v_exp_f32_e32 v50, v50
	v_cmp_ngt_f32_e32 vcc, s43, v49
	v_ldexp_f32 v50, v50, v51
	s_nop 0
	v_cndmask_b32_e32 v50, 0, v50, vcc
	v_cmp_nlt_f32_e32 vcc, s87, v49
	s_nop 1
	v_cndmask_b32_e32 v49, v132, v50, vcc
	v_add_f32_e32 v49, 1.0, v49
	v_rcp_f32_e32 v49, v49
	s_nop 0
	v_fma_f32 v49, v49, -2.0, 1.0
.LBB30_85:                              ;   in Loop: Header=BB30_63 Depth=2
	s_andn2_saveexec_b64 s[48:49], s[48:49]
; %bb.86:                               ;   in Loop: Header=BB30_63 Depth=2
	v_mul_f32_e32 v49, v43, v43
	v_fmamk_f32 v50, v49, 0xbbbac73d, v58
	v_fmaak_f32 v50, v49, v50, 0xbd5c1c4e
	v_fmaak_f32 v50, v49, v50, 0x3e088382
	;; [unrolled: 1-line block ×3, first 2 shown]
	v_mul_f32_e64 v50, |v43|, v50
	v_fma_f32 v49, v49, v50, |v43|
; %bb.87:                               ;   in Loop: Header=BB30_63 Depth=2
	s_or_b64 exec, exec, s[48:49]
	v_cmp_nlt_f32_e64 s[48:49], |v44|, s94
                                        ; implicit-def: $vgpr50
	s_and_saveexec_b64 s[50:51], s[48:49]
	s_xor_b64 s[48:49], exec, s[50:51]
	s_cbranch_execz .LBB30_89
; %bb.88:                               ;   in Loop: Header=BB30_63 Depth=2
	v_add_f32_e64 v50, |v44|, |v44|
	v_mul_f32_e32 v51, 0x3fb8aa3b, v50
	v_rndne_f32_e32 v52, v51
	v_sub_f32_e32 v53, v51, v52
	v_fma_f32 v51, v50, s97, -v51
	v_fmac_f32_e32 v51, 0x32a5705f, v50
	v_add_f32_e32 v51, v53, v51
	v_cvt_i32_f32_e32 v52, v52
	v_exp_f32_e32 v51, v51
	v_cmp_ngt_f32_e32 vcc, s43, v50
	v_ldexp_f32 v51, v51, v52
	s_nop 0
	v_cndmask_b32_e32 v51, 0, v51, vcc
	v_cmp_nlt_f32_e32 vcc, s87, v50
	s_nop 1
	v_cndmask_b32_e32 v50, v132, v51, vcc
	v_add_f32_e32 v50, 1.0, v50
	v_rcp_f32_e32 v50, v50
	s_nop 0
	v_fma_f32 v50, v50, -2.0, 1.0
.LBB30_89:                              ;   in Loop: Header=BB30_63 Depth=2
	s_andn2_saveexec_b64 s[48:49], s[48:49]
; %bb.90:                               ;   in Loop: Header=BB30_63 Depth=2
	v_mul_f32_e32 v50, v44, v44
	v_fmamk_f32 v51, v50, 0xbbbac73d, v58
	v_fmaak_f32 v51, v50, v51, 0xbd5c1c4e
	v_fmaak_f32 v51, v50, v51, 0x3e088382
	;; [unrolled: 1-line block ×3, first 2 shown]
	v_mul_f32_e64 v51, |v44|, v51
	v_fma_f32 v50, v50, v51, |v44|
; %bb.91:                               ;   in Loop: Header=BB30_63 Depth=2
	s_or_b64 exec, exec, s[48:49]
	v_cmp_nlt_f32_e64 s[48:49], |v45|, s94
                                        ; implicit-def: $vgpr137
	s_and_saveexec_b64 s[50:51], s[48:49]
	s_xor_b64 s[48:49], exec, s[50:51]
	s_cbranch_execz .LBB30_93
; %bb.92:                               ;   in Loop: Header=BB30_63 Depth=2
	v_add_f32_e64 v51, |v45|, |v45|
	v_mul_f32_e32 v52, 0x3fb8aa3b, v51
	v_rndne_f32_e32 v53, v52
	v_sub_f32_e32 v137, v52, v53
	v_fma_f32 v52, v51, s97, -v52
	v_fmac_f32_e32 v52, 0x32a5705f, v51
	v_add_f32_e32 v52, v137, v52
	v_cvt_i32_f32_e32 v53, v53
	v_exp_f32_e32 v52, v52
	v_cmp_ngt_f32_e32 vcc, s43, v51
	v_ldexp_f32 v52, v52, v53
	s_nop 0
	v_cndmask_b32_e32 v52, 0, v52, vcc
	v_cmp_nlt_f32_e32 vcc, s87, v51
	s_nop 1
	v_cndmask_b32_e32 v51, v132, v52, vcc
	v_add_f32_e32 v51, 1.0, v51
	v_rcp_f32_e32 v51, v51
	s_nop 0
	v_fma_f32 v137, v51, -2.0, 1.0
.LBB30_93:                              ;   in Loop: Header=BB30_63 Depth=2
	s_andn2_saveexec_b64 s[48:49], s[48:49]
; %bb.94:                               ;   in Loop: Header=BB30_63 Depth=2
	v_mul_f32_e32 v51, v45, v45
	v_fmamk_f32 v52, v51, 0xbbbac73d, v58
	v_fmaak_f32 v52, v51, v52, 0xbd5c1c4e
	v_fmaak_f32 v52, v51, v52, 0x3e088382
	;; [unrolled: 1-line block ×3, first 2 shown]
	v_mul_f32_e64 v52, |v45|, v52
	v_fma_f32 v137, v51, v52, |v45|
; %bb.95:                               ;   in Loop: Header=BB30_63 Depth=2
	s_or_b64 exec, exec, s[48:49]
	v_bfi_b32 v3, s86, v5, v3
	v_bfi_b32 v44, s86, v50, v44
	v_mul_f32_e32 v50, s3, v3
	v_bfi_b32 v3, s86, v38, v39
	v_mul_f32_e32 v51, s3, v3
	;; [unrolled: 2-line block ×3, first 2 shown]
	v_bfi_b32 v3, s86, v47, v41
	v_bfi_b32 v42, s86, v48, v42
	;; [unrolled: 1-line block ×3, first 2 shown]
	v_mul_f32_e32 v53, s3, v3
	v_bfi_b32 v3, s86, v137, v45
	v_mul_f32_e32 v42, s3, v42
	v_mul_f32_e32 v43, s3, v43
	;; [unrolled: 1-line block ×4, first 2 shown]
	s_and_b64 vcc, exec, s[44:45]
	s_cbranch_vccz .LBB30_100
; %bb.96:                               ;   in Loop: Header=BB30_63 Depth=2
	v_accvgpr_read_b32 v3, a69
	v_add_u32_e32 v3, 0x8400, v3
	ds_read2_b32 v[38:39], v3 offset1:1
	v_accvgpr_read_b32 v3, a71
	v_accvgpr_read_b32 v5, a73
	ds_read_b32 v3, v3 offset:33792
	ds_read_b32 v5, v5 offset:33792
	s_waitcnt lgkmcnt(2)
	v_cvt_f32_f16_e32 v40, v38
	v_cvt_f32_f16_sdwa v41, v38 dst_sel:DWORD dst_unused:UNUSED_PAD src0_sel:WORD_1
	v_cvt_f32_f16_e32 v38, v39
	v_cvt_f32_f16_sdwa v39, v39 dst_sel:DWORD dst_unused:UNUSED_PAD src0_sel:WORD_1
	s_waitcnt lgkmcnt(1)
	v_cvt_f32_f16_sdwa v181, v3 dst_sel:DWORD dst_unused:UNUSED_PAD src0_sel:WORD_1
	s_waitcnt lgkmcnt(0)
	v_cvt_f32_f16_sdwa v183, v5 dst_sel:DWORD dst_unused:UNUSED_PAD src0_sel:WORD_1
	v_cvt_f32_f16_e32 v182, v5
	v_cvt_f32_f16_e32 v180, v3
	v_mov_b32_e32 v137, v136
	v_pk_fma_f32 v[48:49], v[136:137], v[38:39], v[52:53]
	v_pk_fma_f32 v[46:47], v[170:171], v[40:41], v[50:51]
	v_pk_fma_f32 v[40:41], v[136:137], v[182:183], v[44:45]
	v_pk_fma_f32 v[38:39], v[170:171], v[180:181], v[42:43]
	s_cbranch_execnz .LBB30_98
.LBB30_97:                              ;   in Loop: Header=BB30_63 Depth=2
	v_mov_b64_e32 v[38:39], v[42:43]
	v_mov_b64_e32 v[46:47], v[50:51]
	;; [unrolled: 1-line block ×4, first 2 shown]
.LBB30_98:                              ;   in Loop: Header=BB30_63 Depth=2
	v_add_f32_e32 v3, 0x40051340, v46
	v_max_f32_e32 v5, v178, v178
	v_max_f32_e32 v3, v5, v3
	v_cndmask_b32_e64 v3, v178, v3, s[18:19]
	v_add_f32_e32 v5, 0x40051340, v47
	v_max_f32_e32 v42, v3, v3
	v_max_f32_e32 v5, v42, v5
	v_cndmask_b32_e64 v3, v3, v5, s[20:21]
	v_add_f32_e32 v5, 0x40051340, v48
	v_max_f32_e32 v42, v3, v3
	v_max_f32_e32 v5, v42, v5
	v_cndmask_b32_e64 v3, v3, v5, s[22:23]
	v_add_f32_e32 v5, 0x40051340, v49
	v_max_f32_e32 v42, v3, v3
	v_max_f32_e32 v5, v42, v5
	v_cndmask_b32_e64 v3, v3, v5, s[24:25]
	v_add_f32_e32 v5, 0x40051340, v38
	v_max_f32_e32 v42, v3, v3
	v_max_f32_e32 v5, v42, v5
	v_cndmask_b32_e64 v3, v3, v5, s[26:27]
	v_add_f32_e32 v5, 0x40051340, v39
	v_max_f32_e32 v42, v3, v3
	v_max_f32_e32 v5, v42, v5
	v_cndmask_b32_e64 v3, v3, v5, s[28:29]
	v_add_f32_e32 v5, 0x40051340, v40
	v_max_f32_e32 v42, v3, v3
	v_max_f32_e32 v5, v42, v5
	v_cndmask_b32_e64 v3, v3, v5, s[30:31]
	v_add_f32_e32 v5, 0x40051340, v41
	v_max_f32_e32 v42, v3, v3
	v_max_f32_e32 v5, v42, v5
	v_cndmask_b32_e64 v3, v3, v5, s[34:35]
	ds_bpermute_b32 v5, v70, v3
	v_max_f32_e32 v3, v3, v3
	v_cndmask_b32_e64 v45, v49, v49, s[20:21]
	v_cndmask_b32_e64 v39, v39, v39, s[26:27]
	;; [unrolled: 1-line block ×3, first 2 shown]
	s_waitcnt lgkmcnt(0)
	v_max_f32_e32 v5, v5, v5
	v_max_f32_e32 v3, v3, v5
	ds_bpermute_b32 v5, v71, v3
	v_cndmask_b32_e64 v41, v41, v41, s[26:27]
	s_mul_hi_i32 s49, s46, s98
	s_mul_i32 s48, s46, s98
	s_lshl_b64 s[48:49], s[48:49], 2
	s_waitcnt lgkmcnt(0)
	v_max_f32_e32 v5, v5, v5
	v_max_f32_e32 v42, v3, v5
	v_sub_f32_e32 v3, v46, v42
	v_mul_f32_e32 v5, 0x3fb8aa3b, v3
	v_fma_f32 v43, v3, s97, -v5
	v_rndne_f32_e32 v44, v5
	v_fmac_f32_e32 v43, 0x32a5705f, v3
	v_sub_f32_e32 v5, v5, v44
	v_add_f32_e32 v5, v5, v43
	v_exp_f32_e32 v5, v5
	v_cvt_i32_f32_e32 v43, v44
	v_cmp_ngt_f32_e32 vcc, s43, v3
	v_sub_f32_e32 v38, v38, v42
	s_add_i32 s52, s52, 1
	v_ldexp_f32 v5, v5, v43
	v_cndmask_b32_e32 v5, 0, v5, vcc
	v_cmp_nlt_f32_e32 vcc, s87, v3
	s_add_i32 s46, s46, 64
	s_nop 0
	v_cndmask_b32_e32 v3, v132, v5, vcc
	v_cndmask_b32_e64 v180, 0, v3, s[18:19]
	v_sub_f32_e32 v3, v47, v42
	v_mul_f32_e32 v5, 0x3fb8aa3b, v3
	v_fma_f32 v43, v3, s97, -v5
	v_rndne_f32_e32 v44, v5
	v_fmac_f32_e32 v43, 0x32a5705f, v3
	v_sub_f32_e32 v5, v5, v44
	v_add_f32_e32 v5, v5, v43
	v_exp_f32_e32 v5, v5
	v_cvt_i32_f32_e32 v43, v44
	v_cmp_ngt_f32_e32 vcc, s43, v3
	v_cndmask_b32_e64 v44, v48, v48, s[20:21]
	v_ldexp_f32 v5, v5, v43
	v_cndmask_b32_e32 v5, 0, v5, vcc
	v_cmp_nlt_f32_e32 vcc, s87, v3
	v_mov_b32_e32 v3, s37
	s_nop 0
	v_cndmask_b32_e32 v5, v132, v5, vcc
	v_add_f32_e32 v43, v5, v180
	v_cndmask_b32_e64 v5, v3, v5, s[20:21]
	v_cndmask_b32_e64 v3, v180, v43, s[20:21]
	v_sub_f32_e32 v43, v44, v42
	v_mul_f32_e32 v44, 0x3fb8aa3b, v43
	v_fma_f32 v46, v43, s97, -v44
	v_rndne_f32_e32 v47, v44
	v_fmac_f32_e32 v46, 0x32a5705f, v43
	v_sub_f32_e32 v44, v44, v47
	v_add_f32_e32 v44, v44, v46
	v_exp_f32_e32 v44, v44
	v_cvt_i32_f32_e32 v46, v47
	v_cmp_ngt_f32_e32 vcc, s43, v43
	v_cvt_f16_f32_e32 v5, v5
	v_ldexp_f32 v44, v44, v46
	v_cndmask_b32_e32 v44, 0, v44, vcc
	v_cmp_nlt_f32_e32 vcc, s87, v43
	s_nop 1
	v_cndmask_b32_e32 v43, v132, v44, vcc
	v_add_f32_e32 v46, v3, v43
	v_mov_b32_e32 v44, s37
	v_cndmask_b32_e64 v179, v44, v43, s[22:23]
	v_cndmask_b32_e64 v43, v3, v46, s[22:23]
	v_sub_f32_e32 v3, v45, v42
	v_mul_f32_e32 v44, 0x3fb8aa3b, v3
	v_fma_f32 v45, v3, s97, -v44
	v_rndne_f32_e32 v46, v44
	v_fmac_f32_e32 v45, 0x32a5705f, v3
	v_sub_f32_e32 v44, v44, v46
	v_add_f32_e32 v44, v44, v45
	v_exp_f32_e32 v44, v44
	v_cvt_i32_f32_e32 v45, v46
	v_cmp_ngt_f32_e32 vcc, s43, v3
	v_ldexp_f32 v44, v44, v45
	s_nop 0
	v_cndmask_b32_e32 v44, 0, v44, vcc
	v_cmp_nlt_f32_e32 vcc, s87, v3
	v_mov_b32_e32 v3, s37
	s_nop 0
	v_cndmask_b32_e32 v44, v132, v44, vcc
	v_add_f32_e32 v45, v43, v44
	v_cndmask_b32_e64 v181, v3, v44, s[24:25]
	v_cndmask_b32_e64 v3, v43, v45, s[24:25]
	v_mul_f32_e32 v43, 0x3fb8aa3b, v38
	v_fma_f32 v44, v38, s97, -v43
	v_rndne_f32_e32 v45, v43
	v_fmac_f32_e32 v44, 0x32a5705f, v38
	v_sub_f32_e32 v43, v43, v45
	v_add_f32_e32 v43, v43, v44
	v_exp_f32_e32 v43, v43
	v_cvt_i32_f32_e32 v44, v45
	v_cmp_ngt_f32_e32 vcc, s43, v38
	v_ldexp_f32 v43, v43, v44
	s_nop 0
	v_cndmask_b32_e32 v43, 0, v43, vcc
	v_cmp_nlt_f32_e32 vcc, s87, v38
	v_mov_b32_e32 v38, s37
	s_nop 0
	v_cndmask_b32_e32 v43, v132, v43, vcc
	v_add_f32_e32 v44, v43, v3
	v_cndmask_b32_e64 v182, v38, v43, s[26:27]
	v_cndmask_b32_e64 v38, v3, v44, s[26:27]
	v_sub_f32_e32 v3, v39, v42
	v_mul_f32_e32 v39, 0x3fb8aa3b, v3
	v_fma_f32 v43, v3, s97, -v39
	v_rndne_f32_e32 v44, v39
	v_fmac_f32_e32 v43, 0x32a5705f, v3
	v_sub_f32_e32 v39, v39, v44
	v_add_f32_e32 v39, v39, v43
	v_exp_f32_e32 v39, v39
	v_cvt_i32_f32_e32 v43, v44
	v_cmp_ngt_f32_e32 vcc, s43, v3
	v_ldexp_f32 v39, v39, v43
	s_nop 0
	v_cndmask_b32_e32 v39, 0, v39, vcc
	v_cmp_nlt_f32_e32 vcc, s87, v3
	v_mov_b32_e32 v3, s37
	s_nop 0
	v_cndmask_b32_e32 v39, v132, v39, vcc
	v_add_f32_e32 v43, v39, v38
	v_cndmask_b32_e64 v39, v3, v39, s[28:29]
	v_cndmask_b32_e64 v3, v38, v43, s[28:29]
	v_sub_f32_e32 v38, v40, v42
	;; [unrolled: 20-line block ×3, first 2 shown]
	v_mul_f32_e32 v40, 0x3fb8aa3b, v3
	v_fma_f32 v41, v3, s97, -v40
	v_rndne_f32_e32 v43, v40
	v_fmac_f32_e32 v41, 0x32a5705f, v3
	v_sub_f32_e32 v40, v40, v43
	v_add_f32_e32 v40, v40, v41
	v_exp_f32_e32 v40, v40
	v_cvt_i32_f32_e32 v41, v43
	v_cmp_ngt_f32_e32 vcc, s43, v3
	v_ldexp_f32 v40, v40, v41
	s_nop 0
	v_cndmask_b32_e32 v40, 0, v40, vcc
	v_cmp_nlt_f32_e32 vcc, s87, v3
	v_mov_b32_e32 v3, s37
	s_nop 0
	v_cndmask_b32_e32 v40, v132, v40, vcc
	v_add_f32_e32 v41, v40, v38
	v_cndmask_b32_e64 v43, v38, v41, s[34:35]
	v_sub_f32_e32 v38, v178, v42
	v_cndmask_b32_e64 v3, v3, v40, s[34:35]
	v_mul_f32_e32 v40, 0x3fb8aa3b, v38
	v_fma_f32 v41, v38, s97, -v40
	v_rndne_f32_e32 v44, v40
	v_fmac_f32_e32 v41, 0x32a5705f, v38
	v_sub_f32_e32 v40, v40, v44
	v_add_f32_e32 v40, v40, v41
	v_exp_f32_e32 v40, v40
	v_cvt_i32_f32_e32 v41, v44
	v_cmp_ngt_f32_e32 vcc, s43, v38
	v_cvt_f16_f32_e32 v3, v3
	v_ldexp_f32 v40, v40, v41
	v_cndmask_b32_e32 v40, 0, v40, vcc
	v_cmp_nlt_f32_e32 vcc, s87, v38
	s_nop 1
	v_cndmask_b32_e32 v40, v132, v40, vcc
	v_cmp_le_f32_e32 vcc, s36, v38
	s_nop 1
	v_cndmask_b32_e32 v38, 0, v40, vcc
	v_fmac_f32_e32 v43, v177, v38
	v_cvt_f16_f32_e32 v38, v38
	v_cmp_lt_i32_e32 vcc, s52, v67
	s_and_b64 vcc, exec, vcc
	v_pk_mul_f16 v66, v38, v66 op_sel_hi:[0,1]
	v_pk_mul_f16 v65, v38, v65 op_sel_hi:[0,1]
	;; [unrolled: 1-line block ×32, first 2 shown]
	v_cvt_f16_f32_e32 v38, v180
	v_lshl_add_u64 v[90:91], v[134:135], 0, s[48:49]
	v_mov_b32_e32 v57, s80
	v_accvgpr_read_b32 v177, a75
	v_pack_b32_f16 v40, v38, v5
	v_cvt_f16_f32_e32 v5, v179
	v_cvt_f16_f32_e32 v38, v181
	v_accvgpr_read_b32 v179, a77
	v_accvgpr_read_b32 v178, a76
	v_lshl_add_u64 v[178:179], v[178:179], 2, v[90:91]
	v_pack_b32_f16 v41, v5, v38
	v_cvt_f16_f32_e32 v5, v182
	v_cvt_f16_f32_e32 v38, v39
	v_accvgpr_read_b32 v176, a74
	v_lshl_add_u64 v[176:177], v[176:177], 2, v[90:91]
	v_pack_b32_f16 v38, v5, v38
	v_cvt_f16_f32_e32 v5, v183
	v_pack_b32_f16 v39, v5, v3
	v_mov_b32_e32 v5, v2
	v_mov_b32_e32 v3, s81
	v_lshl_add_u64 v[178:179], v[178:179], 0, v[4:5]
	v_cndmask_b32_e64 v181, v3, v179, s[4:5]
	v_cndmask_b32_e64 v180, v57, v178, s[4:5]
	v_accvgpr_read_b32 v179, a79
	v_accvgpr_read_b32 v178, a78
	v_lshl_add_u64 v[178:179], v[178:179], 2, v[90:91]
	v_lshl_add_u64 v[178:179], v[178:179], 0, v[4:5]
	v_cndmask_b32_e64 v183, v3, v179, s[6:7]
	v_cndmask_b32_e64 v182, v57, v178, s[6:7]
	v_accvgpr_read_b32 v179, a81
	v_accvgpr_read_b32 v178, a80
	v_lshl_add_u64 v[178:179], v[178:179], 2, v[90:91]
	v_lshl_add_u64 v[178:179], v[178:179], 0, v[4:5]
	v_cndmask_b32_e64 v185, v3, v179, s[8:9]
	v_cndmask_b32_e64 v184, v57, v178, s[8:9]
	v_accvgpr_read_b32 v179, a83
	v_accvgpr_read_b32 v178, a82
	v_lshl_add_u64 v[178:179], v[178:179], 2, v[90:91]
	v_lshl_add_u64 v[178:179], v[178:179], 0, v[4:5]
	v_cndmask_b32_e64 v187, v3, v179, s[10:11]
	v_cndmask_b32_e64 v186, v57, v178, s[10:11]
	v_accvgpr_read_b32 v179, a85
	v_accvgpr_read_b32 v178, a84
	v_lshl_add_u64 v[178:179], v[178:179], 2, v[90:91]
	v_lshl_add_u64 v[178:179], v[178:179], 0, v[4:5]
	v_cndmask_b32_e64 v189, v3, v179, s[12:13]
	v_cndmask_b32_e64 v188, v57, v178, s[12:13]
	v_accvgpr_read_b32 v179, a87
	v_accvgpr_read_b32 v178, a86
	v_lshl_add_u64 v[178:179], v[178:179], 2, v[90:91]
	v_lshl_add_u64 v[178:179], v[178:179], 0, v[4:5]
	v_cndmask_b32_e64 v191, v3, v179, s[14:15]
	v_cndmask_b32_e64 v190, v57, v178, s[14:15]
	v_accvgpr_read_b32 v179, a89
	v_accvgpr_read_b32 v178, a88
	v_lshl_add_u64 v[90:91], v[178:179], 2, v[90:91]
	v_lshl_add_u64 v[176:177], v[176:177], 0, v[4:5]
	v_lshl_add_u64 v[4:5], v[90:91], 0, v[4:5]
	v_cndmask_b32_e64 v177, v3, v177, s[38:39]
	v_cndmask_b32_e64 v91, v3, v5, s[16:17]
	;; [unrolled: 1-line block ×3, first 2 shown]
	v_mov_b32_e32 v3, v2
	v_mov_b32_e32 v4, v2
	;; [unrolled: 1-line block ×3, first 2 shown]
	v_cndmask_b32_e64 v176, v57, v176, s[38:39]
	scratch_store_dwordx4 off, v[2:5], off
	flat_load_dwordx4 v[176:179], v[176:177]
	s_waitcnt vmcnt(0) lgkmcnt(0)
	ds_write_b128 v202, v[176:179]
	flat_load_dwordx4 v[176:179], v[180:181]
	v_add_u32_e32 v3, v203, v101
	s_waitcnt vmcnt(0) lgkmcnt(0)
	ds_write_b128 v200, v[176:179]
	flat_load_dwordx4 v[176:179], v[182:183]
	s_waitcnt vmcnt(0) lgkmcnt(0)
	ds_write_b128 v130, v[176:179]
	flat_load_dwordx4 v[176:179], v[184:185]
	;; [unrolled: 3-line block ×6, first 2 shown]
	v_add_u32_e32 v91, v103, v101
	s_waitcnt vmcnt(0) lgkmcnt(0)
	ds_write_b128 v252, v[176:179]
	s_waitcnt lgkmcnt(0)
	s_barrier
	ds_read_u16 v4, v3 offset:528
	ds_read_u16 v5, v119 offset:1056
	v_add_u32_e32 v3, v203, v102
	ds_read_u16 v57, v3
	ds_read_u16 v59, v3 offset:32
	v_cvt_f32_f16_e32 v176, v66
	v_cvt_f32_f16_sdwa v177, v66 dst_sel:DWORD dst_unused:UNUSED_PAD src0_sel:WORD_1
	v_cvt_f32_f16_e32 v178, v65
	s_waitcnt lgkmcnt(1)
	v_perm_b32 v5, v57, v5, s33
	ds_read_u16 v57, v219
	ds_read_u16 v90, v219 offset:32
	v_cvt_f32_f16_sdwa v179, v65 dst_sel:DWORD dst_unused:UNUSED_PAD src0_sel:WORD_1
	v_accvgpr_write_b32 a0, v176
	v_accvgpr_write_b32 a1, v177
	s_waitcnt lgkmcnt(1)
	v_perm_b32 v4, v4, v57, s33
	v_accvgpr_write_b32 a2, v178
	v_accvgpr_write_b32 a3, v179
	ds_read_u16 v66, v219 offset:16896
	ds_read_u16 v91, v91 offset:528
	;; [unrolled: 1-line block ×4, first 2 shown]
	v_mfma_f32_16x16x16_f16 a[0:3], v[4:5], v[40:41], a[0:3]
	s_nop 6
	v_accvgpr_read_b32 v4, a0
	v_cvt_f16_f32_e32 v4, v4
	v_accvgpr_read_b32 v5, a1
	v_accvgpr_read_b32 v57, a2
	;; [unrolled: 1-line block ×3, first 2 shown]
	v_cvt_f16_f32_e32 v5, v5
	v_cvt_f16_f32_e32 v57, v57
	v_cvt_f16_f32_e32 v65, v65
	v_cvt_f32_f16_e32 v176, v4
	v_cvt_f32_f16_e32 v177, v5
	;; [unrolled: 1-line block ×4, first 2 shown]
	s_waitcnt lgkmcnt(0)
	v_perm_b32 v5, v98, v94, s33
	v_perm_b32 v4, v91, v66, s33
	v_accvgpr_write_b32 a0, v176
	v_accvgpr_write_b32 a1, v177
	;; [unrolled: 1-line block ×4, first 2 shown]
	v_cvt_f32_f16_e32 v176, v69
	v_cvt_f32_f16_sdwa v177, v69 dst_sel:DWORD dst_unused:UNUSED_PAD src0_sel:WORD_1
	v_mfma_f32_16x16x16_f16 a[0:3], v[4:5], v[38:39], a[0:3]
	v_cvt_f32_f16_e32 v178, v68
	v_cvt_f32_f16_sdwa v179, v68 dst_sel:DWORD dst_unused:UNUSED_PAD src0_sel:WORD_1
	v_add_u32_e32 v69, v204, v101
	v_add_u32_e32 v91, v104, v102
	v_add_u32_e32 v98, v110, v102
	s_nop 1
	v_accvgpr_read_b32 v4, a0
	v_accvgpr_read_b32 v5, a1
	v_cvt_f16_f32_e32 v4, v4
	v_cvt_f16_f32_e32 v5, v5
	v_accvgpr_read_b32 v57, a2
	v_accvgpr_read_b32 v65, a3
	v_accvgpr_write_b32 a0, v176
	v_pack_b32_f16 v66, v4, v5
	v_add_u32_e32 v4, v104, v101
	ds_read_u16 v4, v4 offset:528
	ds_read_u16 v5, v121 offset:1056
	v_accvgpr_write_b32 a1, v177
	v_accvgpr_write_b32 a2, v178
	;; [unrolled: 1-line block ×3, first 2 shown]
	s_waitcnt lgkmcnt(1)
	v_perm_b32 v4, v4, v90, s33
	s_waitcnt lgkmcnt(0)
	v_perm_b32 v5, v59, v5, s33
	v_cvt_f16_f32_e32 v57, v57
	v_cvt_f16_f32_e32 v65, v65
	v_mfma_f32_16x16x16_f16 a[0:3], v[4:5], v[40:41], a[0:3]
	v_pack_b32_f16 v65, v57, v65
	ds_read_u16 v68, v220 offset:16896
	ds_read_u16 v69, v69 offset:528
	;; [unrolled: 1-line block ×4, first 2 shown]
	s_nop 1
	v_accvgpr_read_b32 v4, a0
	v_cvt_f16_f32_e32 v4, v4
	v_accvgpr_read_b32 v5, a1
	v_accvgpr_read_b32 v57, a2
	v_accvgpr_read_b32 v59, a3
	v_cvt_f16_f32_e32 v5, v5
	v_cvt_f16_f32_e32 v57, v57
	v_cvt_f16_f32_e32 v59, v59
	v_cvt_f32_f16_e32 v176, v4
	v_cvt_f32_f16_e32 v177, v5
	v_cvt_f32_f16_e32 v178, v57
	v_cvt_f32_f16_e32 v179, v59
	s_waitcnt lgkmcnt(0)
	v_perm_b32 v5, v91, v90, s33
	v_perm_b32 v4, v69, v68, s33
	v_accvgpr_write_b32 a0, v176
	v_accvgpr_write_b32 a1, v177
	v_accvgpr_write_b32 a2, v178
	v_accvgpr_write_b32 a3, v179
	v_cvt_f32_f16_e32 v176, v73
	v_cvt_f32_f16_sdwa v177, v73 dst_sel:DWORD dst_unused:UNUSED_PAD src0_sel:WORD_1
	v_mfma_f32_16x16x16_f16 a[0:3], v[4:5], v[38:39], a[0:3]
	v_cvt_f32_f16_e32 v178, v72
	v_cvt_f32_f16_sdwa v179, v72 dst_sel:DWORD dst_unused:UNUSED_PAD src0_sel:WORD_1
	v_add_u32_e32 v73, v205, v101
	v_add_u32_e32 v91, v105, v102
	s_nop 2
	v_accvgpr_read_b32 v4, a0
	v_accvgpr_read_b32 v5, a1
	v_cvt_f16_f32_e32 v4, v4
	v_cvt_f16_f32_e32 v5, v5
	v_accvgpr_read_b32 v57, a2
	v_accvgpr_read_b32 v59, a3
	v_cvt_f16_f32_e32 v57, v57
	v_cvt_f16_f32_e32 v59, v59
	v_pack_b32_f16 v69, v4, v5
	v_add_u32_e32 v5, v105, v101
	ds_read_u16 v4, v219 offset:64
	v_pack_b32_f16 v68, v57, v59
	ds_read_u16 v57, v5 offset:528
	ds_read_u16 v5, v122 offset:1056
	ds_read_u16 v59, v3 offset:64
	v_accvgpr_write_b32 a0, v176
	v_accvgpr_write_b32 a1, v177
	s_waitcnt lgkmcnt(2)
	v_perm_b32 v4, v57, v4, s33
	v_accvgpr_write_b32 a2, v178
	s_waitcnt lgkmcnt(0)
	v_perm_b32 v5, v59, v5, s33
	v_accvgpr_write_b32 a3, v179
	ds_read_u16 v72, v222 offset:16896
	ds_read_u16 v73, v73 offset:528
	ds_read_u16 v90, v223 offset:1056
	v_mfma_f32_16x16x16_f16 a[0:3], v[4:5], v[40:41], a[0:3]
	ds_read_u16 v91, v91 offset:16896
	s_nop 5
	v_accvgpr_read_b32 v4, a0
	v_cvt_f16_f32_e32 v4, v4
	v_accvgpr_read_b32 v5, a1
	v_accvgpr_read_b32 v57, a2
	v_accvgpr_read_b32 v59, a3
	v_cvt_f16_f32_e32 v5, v5
	v_cvt_f16_f32_e32 v57, v57
	v_cvt_f16_f32_e32 v59, v59
	v_cvt_f32_f16_e32 v176, v4
	v_cvt_f32_f16_e32 v177, v5
	v_cvt_f32_f16_e32 v178, v57
	v_cvt_f32_f16_e32 v179, v59
	s_waitcnt lgkmcnt(0)
	v_perm_b32 v5, v91, v90, s33
	v_perm_b32 v4, v73, v72, s33
	v_accvgpr_write_b32 a0, v176
	v_accvgpr_write_b32 a1, v177
	v_accvgpr_write_b32 a2, v178
	v_accvgpr_write_b32 a3, v179
	v_cvt_f32_f16_e32 v176, v75
	v_cvt_f32_f16_sdwa v177, v75 dst_sel:DWORD dst_unused:UNUSED_PAD src0_sel:WORD_1
	v_mfma_f32_16x16x16_f16 a[0:3], v[4:5], v[38:39], a[0:3]
	v_cvt_f32_f16_e32 v178, v74
	v_cvt_f32_f16_sdwa v179, v74 dst_sel:DWORD dst_unused:UNUSED_PAD src0_sel:WORD_1
	v_add_u32_e32 v75, v206, v101
	v_add_u32_e32 v91, v106, v102
	s_nop 2
	v_accvgpr_read_b32 v4, a0
	v_accvgpr_read_b32 v5, a1
	v_cvt_f16_f32_e32 v4, v4
	v_cvt_f16_f32_e32 v5, v5
	v_accvgpr_read_b32 v57, a2
	v_accvgpr_read_b32 v59, a3
	v_cvt_f16_f32_e32 v57, v57
	v_cvt_f16_f32_e32 v59, v59
	v_pack_b32_f16 v73, v4, v5
	v_add_u32_e32 v5, v106, v101
	ds_read_u16 v4, v219 offset:96
	v_pack_b32_f16 v72, v57, v59
	ds_read_u16 v57, v5 offset:528
	ds_read_u16 v5, v123 offset:1056
	ds_read_u16 v59, v3 offset:96
	v_accvgpr_write_b32 a0, v176
	v_accvgpr_write_b32 a1, v177
	s_waitcnt lgkmcnt(2)
	v_perm_b32 v4, v57, v4, s33
	v_accvgpr_write_b32 a2, v178
	s_waitcnt lgkmcnt(0)
	v_perm_b32 v5, v59, v5, s33
	v_accvgpr_write_b32 a3, v179
	ds_read_u16 v74, v224 offset:16896
	ds_read_u16 v75, v75 offset:528
	ds_read_u16 v90, v225 offset:1056
	v_mfma_f32_16x16x16_f16 a[0:3], v[4:5], v[40:41], a[0:3]
	ds_read_u16 v91, v91 offset:16896
	;; [unrolled: 56-line block ×5, first 2 shown]
	s_nop 5
	v_accvgpr_read_b32 v4, a0
	v_cvt_f16_f32_e32 v4, v4
	v_accvgpr_read_b32 v5, a1
	v_accvgpr_read_b32 v57, a2
	;; [unrolled: 1-line block ×3, first 2 shown]
	v_cvt_f16_f32_e32 v5, v5
	v_cvt_f16_f32_e32 v57, v57
	;; [unrolled: 1-line block ×3, first 2 shown]
	v_cvt_f32_f16_e32 v176, v4
	v_cvt_f32_f16_e32 v177, v5
	v_cvt_f32_f16_e32 v178, v57
	v_cvt_f32_f16_e32 v179, v59
	s_waitcnt lgkmcnt(0)
	v_perm_b32 v5, v91, v90, s33
	v_perm_b32 v4, v83, v82, s33
	v_accvgpr_write_b32 a0, v176
	v_accvgpr_write_b32 a1, v177
	;; [unrolled: 1-line block ×4, first 2 shown]
	v_cvt_f32_f16_e32 v176, v174
	v_cvt_f32_f16_sdwa v177, v174 dst_sel:DWORD dst_unused:UNUSED_PAD src0_sel:WORD_1
	v_mfma_f32_16x16x16_f16 a[0:3], v[4:5], v[38:39], a[0:3]
	v_cvt_f32_f16_e32 v178, v137
	v_cvt_f32_f16_sdwa v179, v137 dst_sel:DWORD dst_unused:UNUSED_PAD src0_sel:WORD_1
	v_add_u32_e32 v91, v210, v101
	s_nop 3
	v_accvgpr_read_b32 v4, a0
	v_accvgpr_read_b32 v5, a1
	v_cvt_f16_f32_e32 v4, v4
	v_cvt_f16_f32_e32 v5, v5
	v_accvgpr_read_b32 v57, a2
	v_accvgpr_read_b32 v59, a3
	v_cvt_f16_f32_e32 v57, v57
	v_cvt_f16_f32_e32 v59, v59
	v_pack_b32_f16 v83, v4, v5
	v_add_u32_e32 v5, v110, v101
	ds_read_u16 v4, v219 offset:224
	v_pack_b32_f16 v82, v57, v59
	ds_read_u16 v57, v5 offset:528
	ds_read_u16 v5, v127 offset:1056
	;; [unrolled: 1-line block ×3, first 2 shown]
	v_accvgpr_write_b32 a0, v176
	v_accvgpr_write_b32 a1, v177
	s_waitcnt lgkmcnt(2)
	v_perm_b32 v4, v57, v4, s33
	v_accvgpr_write_b32 a2, v178
	s_waitcnt lgkmcnt(0)
	v_perm_b32 v5, v59, v5, s33
	v_accvgpr_write_b32 a3, v179
	ds_read_u16 v90, v232 offset:16896
	ds_read_u16 v91, v91 offset:528
	;; [unrolled: 1-line block ×3, first 2 shown]
	v_mfma_f32_16x16x16_f16 a[0:3], v[4:5], v[40:41], a[0:3]
	ds_read_u16 v98, v98 offset:16896
	v_cvt_f32_f16_e32 v178, v84
	v_cvt_f32_f16_sdwa v179, v84 dst_sel:DWORD dst_unused:UNUSED_PAD src0_sel:WORD_1
	s_nop 3
	v_accvgpr_read_b32 v4, a0
	v_cvt_f16_f32_e32 v4, v4
	v_accvgpr_read_b32 v5, a1
	v_accvgpr_read_b32 v57, a2
	;; [unrolled: 1-line block ×3, first 2 shown]
	v_cvt_f16_f32_e32 v5, v5
	v_cvt_f16_f32_e32 v57, v57
	;; [unrolled: 1-line block ×3, first 2 shown]
	v_cvt_f32_f16_e32 v174, v4
	v_cvt_f32_f16_e32 v175, v5
	;; [unrolled: 1-line block ×4, first 2 shown]
	s_waitcnt lgkmcnt(0)
	v_perm_b32 v5, v98, v94, s33
	v_perm_b32 v4, v91, v90, s33
	v_accvgpr_write_b32 a0, v174
	v_accvgpr_write_b32 a1, v175
	;; [unrolled: 1-line block ×4, first 2 shown]
	v_cvt_f32_f16_e32 v176, v85
	v_cvt_f32_f16_sdwa v177, v85 dst_sel:DWORD dst_unused:UNUSED_PAD src0_sel:WORD_1
	v_mfma_f32_16x16x16_f16 a[0:3], v[4:5], v[38:39], a[0:3]
	v_add_u32_e32 v91, v111, v102
	s_nop 5
	v_accvgpr_read_b32 v4, a0
	v_accvgpr_read_b32 v5, a1
	v_cvt_f16_f32_e32 v4, v4
	v_cvt_f16_f32_e32 v5, v5
	v_accvgpr_read_b32 v57, a2
	v_accvgpr_read_b32 v59, a3
	v_cvt_f16_f32_e32 v57, v57
	v_cvt_f16_f32_e32 v59, v59
	v_pack_b32_f16 v174, v4, v5
	v_add_u32_e32 v5, v111, v101
	ds_read_u16 v4, v219 offset:256
	v_pack_b32_f16 v173, v57, v59
	ds_read_u16 v5, v5 offset:528
	ds_read_u16 v57, v128 offset:1056
	;; [unrolled: 1-line block ×3, first 2 shown]
	v_accvgpr_write_b32 a0, v176
	v_accvgpr_write_b32 a1, v177
	s_waitcnt lgkmcnt(2)
	v_perm_b32 v84, v5, v4, s33
	v_accvgpr_write_b32 a2, v178
	s_waitcnt lgkmcnt(0)
	v_perm_b32 v85, v59, v57, s33
	v_accvgpr_write_b32 a3, v179
	s_nop 1
	v_mfma_f32_16x16x16_f16 a[0:3], v[84:85], v[40:41], a[0:3]
	v_add_u32_e32 v85, v211, v101
	ds_read_u16 v84, v234 offset:16896
	ds_read_u16 v85, v85 offset:528
	;; [unrolled: 1-line block ×4, first 2 shown]
	s_nop 1
	v_accvgpr_read_b32 v4, a0
	v_cvt_f16_f32_e32 v4, v4
	v_accvgpr_read_b32 v5, a1
	v_accvgpr_read_b32 v57, a2
	v_accvgpr_read_b32 v59, a3
	v_cvt_f16_f32_e32 v5, v5
	v_cvt_f16_f32_e32 v57, v57
	;; [unrolled: 1-line block ×3, first 2 shown]
	v_cvt_f32_f16_e32 v176, v4
	v_cvt_f32_f16_e32 v177, v5
	;; [unrolled: 1-line block ×4, first 2 shown]
	s_waitcnt lgkmcnt(0)
	v_perm_b32 v5, v91, v90, s33
	v_perm_b32 v4, v85, v84, s33
	v_accvgpr_write_b32 a0, v176
	v_accvgpr_write_b32 a1, v177
	;; [unrolled: 1-line block ×4, first 2 shown]
	v_cvt_f32_f16_e32 v176, v87
	v_cvt_f32_f16_sdwa v177, v87 dst_sel:DWORD dst_unused:UNUSED_PAD src0_sel:WORD_1
	v_mfma_f32_16x16x16_f16 a[0:3], v[4:5], v[38:39], a[0:3]
	v_cvt_f32_f16_e32 v178, v86
	v_cvt_f32_f16_sdwa v179, v86 dst_sel:DWORD dst_unused:UNUSED_PAD src0_sel:WORD_1
	v_add_u32_e32 v91, v112, v102
	s_nop 3
	v_accvgpr_read_b32 v4, a0
	v_accvgpr_read_b32 v5, a1
	v_cvt_f16_f32_e32 v4, v4
	v_cvt_f16_f32_e32 v5, v5
	v_accvgpr_read_b32 v57, a2
	v_accvgpr_read_b32 v59, a3
	v_cvt_f16_f32_e32 v57, v57
	v_cvt_f16_f32_e32 v59, v59
	v_pack_b32_f16 v85, v4, v5
	v_add_u32_e32 v5, v112, v101
	ds_read_u16 v4, v219 offset:288
	v_pack_b32_f16 v84, v57, v59
	ds_read_u16 v5, v5 offset:528
	ds_read_u16 v57, v129 offset:1056
	;; [unrolled: 1-line block ×3, first 2 shown]
	v_accvgpr_write_b32 a0, v176
	v_accvgpr_write_b32 a1, v177
	s_waitcnt lgkmcnt(2)
	v_perm_b32 v86, v5, v4, s33
	v_accvgpr_write_b32 a2, v178
	s_waitcnt lgkmcnt(0)
	v_perm_b32 v87, v59, v57, s33
	v_accvgpr_write_b32 a3, v179
	s_nop 1
	v_mfma_f32_16x16x16_f16 a[0:3], v[86:87], v[40:41], a[0:3]
	v_add_u32_e32 v87, v212, v101
	ds_read_u16 v86, v236 offset:16896
	ds_read_u16 v87, v87 offset:528
	;; [unrolled: 1-line block ×4, first 2 shown]
	s_nop 1
	v_accvgpr_read_b32 v4, a0
	v_cvt_f16_f32_e32 v4, v4
	v_accvgpr_read_b32 v5, a1
	v_accvgpr_read_b32 v57, a2
	v_accvgpr_read_b32 v59, a3
	v_cvt_f16_f32_e32 v5, v5
	v_cvt_f16_f32_e32 v57, v57
	v_cvt_f16_f32_e32 v59, v59
	v_cvt_f32_f16_e32 v176, v4
	v_cvt_f32_f16_e32 v177, v5
	;; [unrolled: 1-line block ×4, first 2 shown]
	s_waitcnt lgkmcnt(0)
	v_perm_b32 v5, v91, v90, s33
	v_perm_b32 v4, v87, v86, s33
	v_accvgpr_write_b32 a0, v176
	v_accvgpr_write_b32 a1, v177
	;; [unrolled: 1-line block ×4, first 2 shown]
	v_cvt_f32_f16_e32 v176, v89
	v_cvt_f32_f16_sdwa v177, v89 dst_sel:DWORD dst_unused:UNUSED_PAD src0_sel:WORD_1
	v_mfma_f32_16x16x16_f16 a[0:3], v[4:5], v[38:39], a[0:3]
	v_cvt_f32_f16_e32 v178, v88
	v_cvt_f32_f16_sdwa v179, v88 dst_sel:DWORD dst_unused:UNUSED_PAD src0_sel:WORD_1
	v_add_u32_e32 v88, v213, v101
	s_nop 3
	v_accvgpr_read_b32 v4, a0
	v_accvgpr_read_b32 v5, a1
	v_cvt_f16_f32_e32 v4, v4
	v_cvt_f16_f32_e32 v5, v5
	v_accvgpr_read_b32 v57, a2
	v_accvgpr_read_b32 v59, a3
	v_cvt_f16_f32_e32 v57, v57
	v_cvt_f16_f32_e32 v59, v59
	v_pack_b32_f16 v87, v4, v5
	v_add_u32_e32 v5, v113, v101
	ds_read_u16 v4, v219 offset:320
	v_pack_b32_f16 v86, v57, v59
	ds_read_u16 v57, v5 offset:528
	ds_read_u16 v5, v193 offset:1056
	;; [unrolled: 1-line block ×3, first 2 shown]
	v_accvgpr_write_b32 a0, v176
	v_accvgpr_write_b32 a1, v177
	s_waitcnt lgkmcnt(2)
	v_perm_b32 v4, v57, v4, s33
	v_accvgpr_write_b32 a2, v178
	s_waitcnt lgkmcnt(0)
	v_perm_b32 v5, v59, v5, s33
	v_accvgpr_write_b32 a3, v179
	ds_read_u16 v94, v238 offset:16896
	ds_read_u16 v98, v88 offset:528
	;; [unrolled: 1-line block ×3, first 2 shown]
	v_mfma_f32_16x16x16_f16 a[0:3], v[4:5], v[40:41], a[0:3]
	v_add_u32_e32 v88, v113, v102
	ds_read_u16 v133, v88 offset:16896
	v_cvt_f32_f16_e32 v176, v53
	v_cvt_f32_f16_sdwa v177, v53 dst_sel:DWORD dst_unused:UNUSED_PAD src0_sel:WORD_1
	v_cvt_f32_f16_e32 v178, v52
	v_cvt_f32_f16_sdwa v179, v52 dst_sel:DWORD dst_unused:UNUSED_PAD src0_sel:WORD_1
	s_nop 0
	v_accvgpr_read_b32 v4, a0
	v_cvt_f16_f32_e32 v4, v4
	v_accvgpr_read_b32 v5, a1
	v_accvgpr_read_b32 v57, a2
	;; [unrolled: 1-line block ×3, first 2 shown]
	v_cvt_f16_f32_e32 v5, v5
	v_cvt_f16_f32_e32 v57, v57
	;; [unrolled: 1-line block ×3, first 2 shown]
	v_cvt_f32_f16_e32 v88, v4
	v_cvt_f32_f16_e32 v89, v5
	v_cvt_f32_f16_e32 v90, v57
	v_cvt_f32_f16_e32 v91, v59
	s_waitcnt lgkmcnt(0)
	v_perm_b32 v5, v133, v100, s33
	v_perm_b32 v4, v98, v94, s33
	v_accvgpr_write_b32 a0, v88
	v_accvgpr_write_b32 a1, v89
	;; [unrolled: 1-line block ×4, first 2 shown]
	v_add_u32_e32 v91, v114, v102
	s_nop 0
	v_mfma_f32_16x16x16_f16 a[0:3], v[4:5], v[38:39], a[0:3]
	s_nop 6
	v_accvgpr_read_b32 v4, a0
	v_accvgpr_read_b32 v5, a1
	v_cvt_f16_f32_e32 v4, v4
	v_cvt_f16_f32_e32 v5, v5
	v_accvgpr_read_b32 v57, a2
	v_accvgpr_read_b32 v59, a3
	v_cvt_f16_f32_e32 v57, v57
	v_cvt_f16_f32_e32 v59, v59
	v_pack_b32_f16 v89, v4, v5
	v_add_u32_e32 v5, v114, v101
	ds_read_u16 v4, v219 offset:352
	v_pack_b32_f16 v88, v57, v59
	ds_read_u16 v57, v5 offset:528
	ds_read_u16 v5, v195 offset:1056
	;; [unrolled: 1-line block ×3, first 2 shown]
	v_accvgpr_write_b32 a0, v176
	v_accvgpr_write_b32 a1, v177
	s_waitcnt lgkmcnt(2)
	v_perm_b32 v4, v57, v4, s33
	v_accvgpr_write_b32 a2, v178
	s_waitcnt lgkmcnt(0)
	v_perm_b32 v5, v59, v5, s33
	v_accvgpr_write_b32 a3, v179
	v_add_u32_e32 v59, v214, v101
	ds_read_u16 v57, v240 offset:16896
	v_mfma_f32_16x16x16_f16 a[0:3], v[4:5], v[40:41], a[0:3]
	ds_read_u16 v59, v59 offset:528
	ds_read_u16 v90, v241 offset:1056
	;; [unrolled: 1-line block ×3, first 2 shown]
	s_nop 3
	v_accvgpr_read_b32 v4, a0
	v_cvt_f16_f32_e32 v4, v4
	v_accvgpr_read_b32 v5, a1
	v_accvgpr_read_b32 v52, a2
	;; [unrolled: 1-line block ×3, first 2 shown]
	v_cvt_f16_f32_e32 v5, v5
	v_cvt_f16_f32_e32 v52, v52
	;; [unrolled: 1-line block ×3, first 2 shown]
	v_cvt_f32_f16_e32 v176, v4
	v_cvt_f32_f16_e32 v177, v5
	;; [unrolled: 1-line block ×4, first 2 shown]
	s_waitcnt lgkmcnt(0)
	v_perm_b32 v5, v91, v90, s33
	v_perm_b32 v4, v59, v57, s33
	v_accvgpr_write_b32 a0, v176
	v_accvgpr_write_b32 a1, v177
	;; [unrolled: 1-line block ×4, first 2 shown]
	v_cvt_f32_f16_e32 v176, v51
	v_cvt_f32_f16_sdwa v177, v51 dst_sel:DWORD dst_unused:UNUSED_PAD src0_sel:WORD_1
	v_mfma_f32_16x16x16_f16 a[0:3], v[4:5], v[38:39], a[0:3]
	v_cvt_f32_f16_e32 v178, v50
	v_cvt_f32_f16_sdwa v179, v50 dst_sel:DWORD dst_unused:UNUSED_PAD src0_sel:WORD_1
	s_nop 4
	v_accvgpr_read_b32 v4, a0
	v_accvgpr_read_b32 v5, a1
	v_cvt_f16_f32_e32 v4, v4
	v_cvt_f16_f32_e32 v5, v5
	v_accvgpr_read_b32 v52, a2
	v_accvgpr_read_b32 v53, a3
	v_cvt_f16_f32_e32 v52, v52
	v_cvt_f16_f32_e32 v53, v53
	v_pack_b32_f16 v91, v4, v5
	v_add_u32_e32 v5, v115, v101
	ds_read_u16 v4, v219 offset:384
	v_pack_b32_f16 v90, v52, v53
	ds_read_u16 v52, v5 offset:528
	ds_read_u16 v5, v253 offset:1056
	;; [unrolled: 1-line block ×3, first 2 shown]
	v_accvgpr_write_b32 a0, v176
	v_accvgpr_write_b32 a1, v177
	s_waitcnt lgkmcnt(2)
	v_perm_b32 v4, v52, v4, s33
	v_accvgpr_write_b32 a2, v178
	s_waitcnt lgkmcnt(0)
	v_perm_b32 v5, v53, v5, s33
	v_accvgpr_write_b32 a3, v179
	ds_read_u16 v57, v242 offset:16896
	s_nop 0
	v_mfma_f32_16x16x16_f16 a[0:3], v[4:5], v[40:41], a[0:3]
	s_nop 6
	v_accvgpr_read_b32 v50, a2
	v_cvt_f16_f32_e32 v52, v50
	v_accvgpr_read_b32 v50, a3
	v_cvt_f16_f32_e32 v53, v50
	v_add_u32_e32 v50, v192, v101
	v_accvgpr_read_b32 v4, a0
	ds_read_u16 v59, v50 offset:528
	ds_read_u16 v94, v243 offset:1056
	v_add_u32_e32 v50, v115, v102
	v_cvt_f16_f32_e32 v4, v4
	v_accvgpr_read_b32 v5, a1
	ds_read_u16 v98, v50 offset:16896
	v_cvt_f16_f32_e32 v5, v5
	v_cvt_f32_f16_e32 v50, v4
	v_cvt_f32_f16_e32 v52, v52
	;; [unrolled: 1-line block ×4, first 2 shown]
	s_waitcnt lgkmcnt(0)
	v_perm_b32 v5, v98, v94, s33
	v_perm_b32 v4, v59, v57, s33
	v_accvgpr_write_b32 a0, v50
	v_accvgpr_write_b32 a1, v51
	;; [unrolled: 1-line block ×4, first 2 shown]
	v_cvt_f32_f16_e32 v52, v48
	v_cvt_f32_f16_sdwa v53, v48 dst_sel:DWORD dst_unused:UNUSED_PAD src0_sel:WORD_1
	v_mfma_f32_16x16x16_f16 a[0:3], v[4:5], v[38:39], a[0:3]
	s_nop 6
	v_accvgpr_read_b32 v4, a0
	v_accvgpr_read_b32 v5, a1
	v_cvt_f16_f32_e32 v4, v4
	v_cvt_f16_f32_e32 v5, v5
	v_accvgpr_read_b32 v50, a2
	v_accvgpr_read_b32 v51, a3
	v_cvt_f16_f32_e32 v50, v50
	v_pack_b32_f16 v98, v4, v5
	v_add_u32_e32 v5, v116, v101
	v_cvt_f16_f32_e32 v51, v51
	ds_read_u16 v4, v219 offset:416
	ds_read_u16 v57, v5 offset:528
	;; [unrolled: 1-line block ×4, first 2 shown]
	v_pack_b32_f16 v94, v50, v51
	v_cvt_f32_f16_e32 v50, v49
	v_cvt_f32_f16_sdwa v51, v49 dst_sel:DWORD dst_unused:UNUSED_PAD src0_sel:WORD_1
	s_waitcnt lgkmcnt(0)
	v_perm_b32 v5, v59, v5, s33
	v_perm_b32 v4, v57, v4, s33
	v_accvgpr_write_b32 a0, v50
	v_accvgpr_write_b32 a1, v51
	;; [unrolled: 1-line block ×4, first 2 shown]
	ds_read_u16 v52, v244 offset:16896
	s_nop 0
	v_mfma_f32_16x16x16_f16 a[0:3], v[4:5], v[40:41], a[0:3]
	s_nop 6
	v_accvgpr_read_b32 v48, a2
	v_cvt_f16_f32_e32 v50, v48
	v_accvgpr_read_b32 v48, a3
	v_cvt_f16_f32_e32 v51, v48
	v_add_u32_e32 v48, v76, v101
	v_accvgpr_read_b32 v4, a0
	ds_read_u16 v53, v48 offset:528
	ds_read_u16 v57, v245 offset:1056
	v_add_u32_e32 v48, v116, v102
	v_cvt_f16_f32_e32 v4, v4
	v_accvgpr_read_b32 v5, a1
	ds_read_u16 v59, v48 offset:16896
	v_cvt_f16_f32_e32 v5, v5
	v_cvt_f32_f16_e32 v48, v4
	v_cvt_f32_f16_e32 v50, v50
	;; [unrolled: 1-line block ×4, first 2 shown]
	s_waitcnt lgkmcnt(0)
	v_perm_b32 v5, v59, v57, s33
	v_perm_b32 v4, v53, v52, s33
	v_accvgpr_write_b32 a0, v48
	v_accvgpr_write_b32 a1, v49
	;; [unrolled: 1-line block ×4, first 2 shown]
	v_cvt_f32_f16_e32 v50, v46
	v_cvt_f32_f16_sdwa v51, v46 dst_sel:DWORD dst_unused:UNUSED_PAD src0_sel:WORD_1
	v_mfma_f32_16x16x16_f16 a[0:3], v[4:5], v[38:39], a[0:3]
	s_nop 6
	v_accvgpr_read_b32 v4, a0
	v_accvgpr_read_b32 v5, a1
	v_cvt_f16_f32_e32 v4, v4
	v_cvt_f16_f32_e32 v5, v5
	v_accvgpr_read_b32 v48, a2
	v_accvgpr_read_b32 v49, a3
	v_cvt_f16_f32_e32 v48, v48
	v_pack_b32_f16 v59, v4, v5
	v_add_u32_e32 v5, v117, v101
	v_cvt_f16_f32_e32 v49, v49
	ds_read_u16 v4, v219 offset:448
	ds_read_u16 v52, v5 offset:528
	;; [unrolled: 1-line block ×4, first 2 shown]
	v_pack_b32_f16 v57, v48, v49
	v_cvt_f32_f16_e32 v48, v47
	v_cvt_f32_f16_sdwa v49, v47 dst_sel:DWORD dst_unused:UNUSED_PAD src0_sel:WORD_1
	s_waitcnt lgkmcnt(0)
	v_perm_b32 v5, v53, v5, s33
	v_perm_b32 v4, v52, v4, s33
	v_accvgpr_write_b32 a0, v48
	v_accvgpr_write_b32 a1, v49
	v_accvgpr_write_b32 a2, v50
	v_accvgpr_write_b32 a3, v51
	ds_read_u16 v50, v246 offset:16896
	s_nop 0
	v_mfma_f32_16x16x16_f16 a[0:3], v[4:5], v[40:41], a[0:3]
	s_nop 6
	v_accvgpr_read_b32 v46, a2
	v_cvt_f16_f32_e32 v48, v46
	v_accvgpr_read_b32 v46, a3
	v_cvt_f16_f32_e32 v49, v46
	v_add_u32_e32 v46, v55, v101
	v_accvgpr_read_b32 v4, a0
	ds_read_u16 v51, v46 offset:528
	ds_read_u16 v52, v247 offset:1056
	v_add_u32_e32 v46, v117, v102
	v_cvt_f16_f32_e32 v4, v4
	v_accvgpr_read_b32 v5, a1
	ds_read_u16 v53, v46 offset:16896
	v_cvt_f16_f32_e32 v5, v5
	v_cvt_f32_f16_e32 v46, v4
	v_cvt_f32_f16_e32 v48, v48
	;; [unrolled: 1-line block ×4, first 2 shown]
	s_waitcnt lgkmcnt(0)
	v_perm_b32 v5, v53, v52, s33
	v_perm_b32 v4, v51, v50, s33
	v_accvgpr_write_b32 a0, v46
	v_accvgpr_write_b32 a1, v47
	;; [unrolled: 1-line block ×4, first 2 shown]
	v_cvt_f32_f16_e32 v48, v44
	v_cvt_f32_f16_sdwa v49, v44 dst_sel:DWORD dst_unused:UNUSED_PAD src0_sel:WORD_1
	v_mfma_f32_16x16x16_f16 a[0:3], v[4:5], v[38:39], a[0:3]
	v_add_u32_e32 v44, v218, v101
	s_nop 5
	v_accvgpr_read_b32 v4, a0
	v_accvgpr_read_b32 v5, a1
	v_cvt_f16_f32_e32 v4, v4
	v_cvt_f16_f32_e32 v5, v5
	v_accvgpr_read_b32 v46, a2
	v_accvgpr_read_b32 v47, a3
	v_cvt_f16_f32_e32 v46, v46
	v_pack_b32_f16 v133, v4, v5
	v_add_u32_e32 v5, v118, v101
	v_cvt_f16_f32_e32 v47, v47
	ds_read_u16 v4, v219 offset:480
	ds_read_u16 v50, v5 offset:528
	;; [unrolled: 1-line block ×4, first 2 shown]
	v_pack_b32_f16 v100, v46, v47
	v_cvt_f32_f16_e32 v46, v45
	v_cvt_f32_f16_sdwa v47, v45 dst_sel:DWORD dst_unused:UNUSED_PAD src0_sel:WORD_1
	s_waitcnt lgkmcnt(0)
	v_perm_b32 v5, v3, v5, s33
	v_perm_b32 v4, v50, v4, s33
	v_accvgpr_write_b32 a0, v46
	v_accvgpr_write_b32 a1, v47
	;; [unrolled: 1-line block ×4, first 2 shown]
	s_nop 1
	v_mfma_f32_16x16x16_f16 a[0:3], v[4:5], v[40:41], a[0:3]
	s_nop 6
	v_accvgpr_read_b32 v3, a0
	v_cvt_f16_f32_e32 v4, v3
	v_accvgpr_read_b32 v3, a1
	v_cvt_f16_f32_e32 v5, v3
	;; [unrolled: 2-line block ×4, first 2 shown]
	ds_read_u16 v3, v248 offset:16896
	ds_read_u16 v48, v44 offset:528
	;; [unrolled: 1-line block ×3, first 2 shown]
	v_add_u32_e32 v44, v118, v102
	ds_read_u16 v50, v44 offset:16896
	v_cvt_f32_f16_e32 v44, v4
	v_cvt_f32_f16_e32 v45, v5
	;; [unrolled: 1-line block ×4, first 2 shown]
	s_waitcnt lgkmcnt(0)
	v_perm_b32 v5, v50, v49, s33
	v_perm_b32 v4, v48, v3, s33
	v_accvgpr_write_b32 a0, v44
	v_accvgpr_write_b32 a1, v45
	v_accvgpr_write_b32 a2, v46
	v_accvgpr_write_b32 a3, v47
	s_barrier
	s_nop 0
	v_mfma_f32_16x16x16_f16 a[0:3], v[4:5], v[38:39], a[0:3]
	s_nop 6
	v_accvgpr_read_b32 v3, a0
	v_accvgpr_read_b32 v4, a1
	;; [unrolled: 1-line block ×4, first 2 shown]
	v_cvt_f16_f32_e32 v3, v3
	v_cvt_f16_f32_e32 v4, v4
	;; [unrolled: 1-line block ×4, first 2 shown]
	v_pack_b32_f16 v175, v3, v4
	v_pack_b32_f16 v176, v5, v38
	s_cbranch_vccz .LBB30_103
; %bb.99:                               ;   in Loop: Header=BB30_63 Depth=2
	v_mov_b32_e32 v177, v43
	v_mov_b32_e32 v178, v42
	s_andn2_b64 vcc, exec, s[44:45]
	s_ashr_i32 s47, s46, 31
	s_cbranch_vccz .LBB30_58
	s_branch .LBB30_63
.LBB30_100:                             ;   in Loop: Header=BB30_63 Depth=2
                                        ; implicit-def: $vgpr46_vgpr47_vgpr48_vgpr49
                                        ; implicit-def: $vgpr38_vgpr39_vgpr40_vgpr41
	s_branch .LBB30_97
.LBB30_101:                             ;   in Loop: Header=BB30_16 Depth=1
	s_cbranch_execz .LBB30_15
	s_branch .LBB30_240
.LBB30_102:                             ;   in Loop: Header=BB30_16 Depth=1
	v_accvgpr_write_b32 a13, v45
	v_mov_b32_e32 v43, 0
	v_mov_b32_e32 v42, 0xfeffffff
	;; [unrolled: 1-line block ×33, first 2 shown]
	s_branch .LBB30_104
.LBB30_103:                             ;   in Loop: Header=BB30_16 Depth=1
	v_accvgpr_read_b32 v152, a18
	v_accvgpr_read_b32 v153, a19
	;; [unrolled: 1-line block ×23, first 2 shown]
.LBB30_104:                             ;   in Loop: Header=BB30_16 Depth=1
	s_mov_b32 s68, s90
	s_lshl_b32 s90, s52, 6
	v_readlane_b32 s44, v254, 4
	v_cmp_eq_u64_e32 vcc, 0, v[138:139]
	s_sub_i32 s41, s44, s90
	s_ashr_i32 s91, s90, 31
	v_readlane_b32 s45, v254, 5
	s_cbranch_vccnz .LBB30_114
; %bb.105:                              ;   in Loop: Header=BB30_16 Depth=1
	v_cmp_le_i32_e32 vcc, s41, v158
                                        ; implicit-def: $sgpr46
	s_and_saveexec_b64 s[44:45], vcc
	s_xor_b64 s[44:45], exec, s[44:45]
	s_cbranch_execz .LBB30_107
; %bb.106:                              ;   in Loop: Header=BB30_16 Depth=1
	v_accvgpr_read_b32 v1, a51
	ds_write_b16 v1, v2 offset:33792
	v_accvgpr_read_b32 v1, a146
	ds_write_b16 v1, v2 offset:33792
	s_mov_b32 s46, 0
                                        ; implicit-def: $vgpr1
                                        ; implicit-def: $vgpr172
                                        ; implicit-def: $vgpr93
.LBB30_107:                             ;   in Loop: Header=BB30_16 Depth=1
	s_or_saveexec_b64 s[44:45], s[44:45]
	s_lshl_b64 s[48:49], s[90:91], 1
	v_lshl_add_u64 v[4:5], v[138:139], 0, s[48:49]
	v_lshlrev_b32_e32 v38, 1, v158
	v_mov_b32_e32 v39, v2
	v_lshl_add_u64 v[4:5], v[4:5], 0, v[38:39]
	v_mov_b32_e32 v3, s46
	v_mov_b32_e32 v38, s46
	s_xor_b64 exec, exec, s[44:45]
	s_cbranch_execz .LBB30_109
; %bb.108:                              ;   in Loop: Header=BB30_16 Depth=1
	v_readlane_b32 s48, v254, 10
	v_accvgpr_read_b32 v38, a13
	v_readlane_b32 s49, v254, 11
	v_mul_hi_u32 v3, s48, v38
	v_add_u32_e32 v3, v38, v3
	v_lshrrev_b32_e32 v3, s49, v3
	v_mul_lo_u32 v3, v3, s96
	v_sub_u32_e32 v3, v38, v3
	v_mad_i64_i32 v[38:39], s[46:47], v3, s40, 0
	v_lshl_add_u64 v[38:39], v[38:39], 1, v[4:5]
	flat_load_ushort v3, v[38:39]
	v_mul_hi_u32 v38, s48, v1
	v_add_u32_e32 v38, v1, v38
	v_lshrrev_b32_e32 v38, s49, v38
	v_mul_lo_u32 v38, v38, s96
	v_sub_u32_e32 v1, v1, v38
	v_mad_i64_i32 v[38:39], s[46:47], v1, s40, 0
	v_lshl_add_u64 v[38:39], v[38:39], 1, v[4:5]
	flat_load_ushort v1, v[38:39]
	v_accvgpr_read_b32 v38, a51
	s_waitcnt vmcnt(0) lgkmcnt(0)
	ds_write_b16 v38, v3 offset:33792
	v_accvgpr_read_b32 v3, a146
	ds_write_b16 v3, v1 offset:33792
	v_mul_hi_u32 v1, s48, v172
	v_add_u32_e32 v1, v172, v1
	v_lshrrev_b32_e32 v1, s49, v1
	v_mul_lo_u32 v1, v1, s96
	v_sub_u32_e32 v1, v172, v1
	v_mad_i64_i32 v[38:39], s[46:47], v1, s40, 0
	v_mul_hi_u32 v1, s48, v93
	v_add_u32_e32 v1, v93, v1
	v_lshrrev_b32_e32 v1, s49, v1
	v_mul_lo_u32 v1, v1, s96
	v_lshl_add_u64 v[38:39], v[38:39], 1, v[4:5]
	v_sub_u32_e32 v1, v93, v1
	flat_load_ushort v3, v[38:39]
	v_mad_i64_i32 v[38:39], s[46:47], v1, s40, 0
	v_lshl_add_u64 v[38:39], v[38:39], 1, v[4:5]
	flat_load_ushort v38, v[38:39]
.LBB30_109:                             ;   in Loop: Header=BB30_16 Depth=1
	s_or_b64 exec, exec, s[44:45]
	v_accvgpr_read_b32 v1, a147
	s_waitcnt vmcnt(0) lgkmcnt(0)
	ds_write_b16 v1, v3 offset:33792
	v_accvgpr_read_b32 v1, a148
	ds_write_b16 v1, v38 offset:33792
                                        ; implicit-def: $sgpr46
	s_and_saveexec_b64 s[44:45], vcc
	s_xor_b64 s[44:45], exec, s[44:45]
	s_cbranch_execz .LBB30_111
; %bb.110:                              ;   in Loop: Header=BB30_16 Depth=1
	v_accvgpr_read_b32 v1, a149
	ds_write_b16 v1, v2 offset:33792
	v_accvgpr_read_b32 v1, a150
	ds_write_b16 v1, v2 offset:33792
	s_mov_b32 s46, 0
                                        ; implicit-def: $vgpr92
                                        ; implicit-def: $vgpr4_vgpr5
                                        ; implicit-def: $vgpr62
                                        ; implicit-def: $vgpr63
                                        ; implicit-def: $vgpr64
.LBB30_111:                             ;   in Loop: Header=BB30_16 Depth=1
	s_or_saveexec_b64 s[44:45], s[44:45]
	v_mov_b32_e32 v1, s46
	v_mov_b32_e32 v3, s46
	s_xor_b64 exec, exec, s[44:45]
	s_cbranch_execz .LBB30_113
; %bb.112:                              ;   in Loop: Header=BB30_16 Depth=1
	v_readlane_b32 s48, v254, 10
	v_readlane_b32 s49, v254, 11
	s_nop 0
	v_mul_hi_u32 v1, s48, v92
	v_add_u32_e32 v1, v92, v1
	v_lshrrev_b32_e32 v1, s49, v1
	v_mul_hi_u32 v3, s48, v62
	v_mul_lo_u32 v1, v1, s96
	v_add_u32_e32 v3, v62, v3
	v_sub_u32_e32 v1, v92, v1
	v_lshrrev_b32_e32 v3, s49, v3
	v_mad_i64_i32 v[38:39], s[46:47], v1, s40, 0
	v_mul_lo_u32 v3, v3, s96
	v_lshl_add_u64 v[38:39], v[38:39], 1, v[4:5]
	v_sub_u32_e32 v3, v62, v3
	flat_load_ushort v1, v[38:39]
	v_mad_i64_i32 v[38:39], s[46:47], v3, s40, 0
	v_lshl_add_u64 v[38:39], v[38:39], 1, v[4:5]
	flat_load_ushort v3, v[38:39]
	v_accvgpr_read_b32 v38, a149
	s_waitcnt vmcnt(0) lgkmcnt(0)
	ds_write_b16 v38, v1 offset:33792
	v_accvgpr_read_b32 v1, a150
	ds_write_b16 v1, v3 offset:33792
	v_mul_hi_u32 v1, s48, v63
	v_add_u32_e32 v1, v63, v1
	v_lshrrev_b32_e32 v1, s49, v1
	v_mul_hi_u32 v3, s48, v64
	v_mul_lo_u32 v1, v1, s96
	v_add_u32_e32 v3, v64, v3
	v_sub_u32_e32 v1, v63, v1
	v_lshrrev_b32_e32 v3, s49, v3
	v_mad_i64_i32 v[38:39], s[46:47], v1, s40, 0
	v_mul_lo_u32 v3, v3, s96
	v_lshl_add_u64 v[38:39], v[38:39], 1, v[4:5]
	v_sub_u32_e32 v3, v64, v3
	flat_load_ushort v1, v[38:39]
	v_mad_i64_i32 v[38:39], s[46:47], v3, s40, 0
	v_lshl_add_u64 v[4:5], v[38:39], 1, v[4:5]
	flat_load_ushort v3, v[4:5]
.LBB30_113:                             ;   in Loop: Header=BB30_16 Depth=1
	s_or_b64 exec, exec, s[44:45]
	v_accvgpr_read_b32 v4, a151
	s_waitcnt vmcnt(0) lgkmcnt(0)
	ds_write_b16 v4, v1 offset:33792
	v_accvgpr_read_b32 v1, a152
	ds_write_b16 v1, v3 offset:33792
.LBB30_114:                             ;   in Loop: Header=BB30_16 Depth=1
	s_mul_hi_i32 s45, s90, s78
	s_mul_i32 s44, s90, s78
	v_mov_b32_e32 v3, v2
	v_mov_b32_e32 v4, v2
	;; [unrolled: 1-line block ×3, first 2 shown]
	s_lshl_b64 s[44:45], s[44:45], 2
	scratch_store_dwordx4 off, v[2:5], off
	v_lshl_add_u64 v[40:41], v[140:141], 0, s[44:45]
	v_accvgpr_read_b32 v38, a26
	v_accvgpr_read_b32 v4, a52
	;; [unrolled: 1-line block ×3, first 2 shown]
	v_lshl_add_u64 v[4:5], v[4:5], 2, v[40:41]
	v_lshlrev_b32_e32 v38, 2, v38
	v_mov_b32_e32 v39, v2
	v_cmp_gt_i32_e64 s[44:45], s41, v155
	v_lshl_add_u64 v[4:5], v[4:5], 0, v[38:39]
	v_mov_b32_e32 v1, s81
	v_mov_b32_e32 v3, s80
	v_cndmask_b32_e64 v5, v1, v5, s[44:45]
	v_cndmask_b32_e64 v4, v3, v4, s[44:45]
	flat_load_dwordx4 v[44:47], v[4:5]
	v_accvgpr_read_b32 v4, a54
	v_accvgpr_read_b32 v5, a55
	v_lshl_add_u64 v[4:5], v[4:5], 2, v[40:41]
	v_cmp_gt_i32_e64 s[46:47], s41, v163
	v_lshl_add_u64 v[4:5], v[4:5], 0, v[38:39]
	v_cmp_gt_i32_e64 s[48:49], s41, v164
	v_cndmask_b32_e64 v5, v1, v5, s[46:47]
	v_cndmask_b32_e64 v4, v3, v4, s[46:47]
	v_cmp_gt_i32_e64 s[50:51], s41, v165
	v_cmp_gt_i32_e64 s[52:53], s41, v166
	;; [unrolled: 1-line block ×5, first 2 shown]
	s_waitcnt vmcnt(0) lgkmcnt(0)
	ds_write_b128 v202, v[44:47]
	flat_load_dwordx4 v[44:47], v[4:5]
	v_accvgpr_read_b32 v4, a56
	v_accvgpr_read_b32 v5, a57
	v_lshl_add_u64 v[4:5], v[4:5], 2, v[40:41]
	v_lshl_add_u64 v[4:5], v[4:5], 0, v[38:39]
	v_cndmask_b32_e64 v5, v1, v5, s[48:49]
	v_cndmask_b32_e64 v4, v3, v4, s[48:49]
	s_waitcnt vmcnt(0) lgkmcnt(0)
	ds_write_b128 v200, v[44:47]
	flat_load_dwordx4 v[44:47], v[4:5]
	v_accvgpr_read_b32 v4, a58
	v_accvgpr_read_b32 v5, a59
	v_lshl_add_u64 v[4:5], v[4:5], 2, v[40:41]
	v_lshl_add_u64 v[4:5], v[4:5], 0, v[38:39]
	v_cndmask_b32_e64 v5, v1, v5, s[50:51]
	v_cndmask_b32_e64 v4, v3, v4, s[50:51]
	;; [unrolled: 9-line block ×6, first 2 shown]
	v_add_u32_e32 v1, 0x4000, v251
                                        ; implicit-def: $vgpr3
	s_waitcnt vmcnt(0) lgkmcnt(0)
	ds_write_b128 v0, v[44:47]
	flat_load_dwordx4 v[44:47], v[4:5]
	s_waitcnt vmcnt(0) lgkmcnt(0)
	ds_write_b128 v252, v[44:47]
	s_waitcnt lgkmcnt(0)
	s_barrier
	ds_read2_b64 v[44:47], v251 offset1:4
	s_waitcnt lgkmcnt(0)
	v_mfma_f32_16x16x16_f16 a[0:3], v[44:45], v[34:35], 0
	v_mfma_f32_16x16x16_f16 a[0:3], v[46:47], v[36:37], a[0:3]
	ds_read2_b64 v[44:47], v251 offset0:8 offset1:12
	s_waitcnt lgkmcnt(0)
	v_mfma_f32_16x16x16_f16 a[0:3], v[44:45], v[30:31], a[0:3]
	v_mfma_f32_16x16x16_f16 a[0:3], v[46:47], v[32:33], a[0:3]
	ds_read2_b64 v[44:47], v251 offset0:16 offset1:20
	;; [unrolled: 4-line block ×15, first 2 shown]
	v_accvgpr_read_b32 v1, a0
	v_cmp_nlt_f32_e64 s[60:61], |v1|, s94
	s_waitcnt lgkmcnt(0)
	v_mfma_f32_16x16x16_f16 a[4:7], v[10:11], v[6:7], a[4:7]
	s_barrier
	v_mfma_f32_16x16x16_f16 a[4:7], v[12:13], v[8:9], a[4:7]
	s_and_saveexec_b64 s[62:63], s[60:61]
	s_xor_b64 s[60:61], exec, s[62:63]
	s_cbranch_execz .LBB30_116
; %bb.115:                              ;   in Loop: Header=BB30_16 Depth=1
	v_add_f32_e64 v3, |v1|, |v1|
	v_mul_f32_e32 v4, 0x3fb8aa3b, v3
	v_rndne_f32_e32 v5, v4
	v_sub_f32_e32 v6, v4, v5
	v_fma_f32 v4, v3, s97, -v4
	v_fmac_f32_e32 v4, 0x32a5705f, v3
	v_add_f32_e32 v4, v6, v4
	v_cvt_i32_f32_e32 v5, v5
	v_exp_f32_e32 v4, v4
	v_cmp_ngt_f32_e32 vcc, s43, v3
	v_ldexp_f32 v4, v4, v5
	s_nop 0
	v_cndmask_b32_e32 v4, 0, v4, vcc
	v_cmp_nlt_f32_e32 vcc, s87, v3
	s_nop 1
	v_cndmask_b32_e32 v3, v132, v4, vcc
	v_add_f32_e32 v3, 1.0, v3
	v_rcp_f32_e32 v3, v3
	s_nop 0
	v_fma_f32 v3, v3, -2.0, 1.0
.LBB30_116:                             ;   in Loop: Header=BB30_16 Depth=1
	s_andn2_saveexec_b64 s[60:61], s[60:61]
; %bb.117:                              ;   in Loop: Header=BB30_16 Depth=1
	v_mul_f32_e32 v3, v1, v1
	v_fmamk_f32 v4, v3, 0xbbbac73d, v58
	v_fmaak_f32 v4, v3, v4, 0xbd5c1c4e
	v_fmaak_f32 v4, v3, v4, 0x3e088382
	;; [unrolled: 1-line block ×3, first 2 shown]
	v_mul_f32_e64 v4, |v1|, v4
	v_fma_f32 v3, v3, v4, |v1|
; %bb.118:                              ;   in Loop: Header=BB30_16 Depth=1
	s_or_b64 exec, exec, s[60:61]
	v_accvgpr_read_b32 v7, a3
	v_accvgpr_read_b32 v5, a1
	;; [unrolled: 1-line block ×4, first 2 shown]
	v_cmp_nlt_f32_e64 s[60:61], |v5|, s94
                                        ; implicit-def: $vgpr4
	s_and_saveexec_b64 s[62:63], s[60:61]
	s_xor_b64 s[60:61], exec, s[62:63]
	s_cbranch_execz .LBB30_120
; %bb.119:                              ;   in Loop: Header=BB30_16 Depth=1
	v_add_f32_e64 v4, |v5|, |v5|
	v_mul_f32_e32 v8, 0x3fb8aa3b, v4
	v_rndne_f32_e32 v9, v8
	v_sub_f32_e32 v10, v8, v9
	v_fma_f32 v8, v4, s97, -v8
	v_fmac_f32_e32 v8, 0x32a5705f, v4
	v_add_f32_e32 v8, v10, v8
	v_cvt_i32_f32_e32 v9, v9
	v_exp_f32_e32 v8, v8
	v_cmp_ngt_f32_e32 vcc, s43, v4
	v_ldexp_f32 v8, v8, v9
	s_nop 0
	v_cndmask_b32_e32 v8, 0, v8, vcc
	v_cmp_nlt_f32_e32 vcc, s87, v4
	s_nop 1
	v_cndmask_b32_e32 v4, v132, v8, vcc
	v_add_f32_e32 v4, 1.0, v4
	v_rcp_f32_e32 v4, v4
	s_nop 0
	v_fma_f32 v4, v4, -2.0, 1.0
.LBB30_120:                             ;   in Loop: Header=BB30_16 Depth=1
	s_andn2_saveexec_b64 s[60:61], s[60:61]
; %bb.121:                              ;   in Loop: Header=BB30_16 Depth=1
	v_mul_f32_e32 v4, v5, v5
	v_fmamk_f32 v8, v4, 0xbbbac73d, v58
	v_fmaak_f32 v8, v4, v8, 0xbd5c1c4e
	v_fmaak_f32 v8, v4, v8, 0x3e088382
	;; [unrolled: 1-line block ×3, first 2 shown]
	v_mul_f32_e64 v8, |v5|, v8
	v_fma_f32 v4, v4, v8, |v5|
; %bb.122:                              ;   in Loop: Header=BB30_16 Depth=1
	s_or_b64 exec, exec, s[60:61]
	v_cmp_nlt_f32_e64 s[60:61], |v6|, s94
                                        ; implicit-def: $vgpr15
	s_and_saveexec_b64 s[62:63], s[60:61]
	s_xor_b64 s[60:61], exec, s[62:63]
	s_cbranch_execz .LBB30_124
; %bb.123:                              ;   in Loop: Header=BB30_16 Depth=1
	v_add_f32_e64 v8, |v6|, |v6|
	v_mul_f32_e32 v9, 0x3fb8aa3b, v8
	v_rndne_f32_e32 v10, v9
	v_sub_f32_e32 v11, v9, v10
	v_fma_f32 v9, v8, s97, -v9
	v_fmac_f32_e32 v9, 0x32a5705f, v8
	v_add_f32_e32 v9, v11, v9
	v_cvt_i32_f32_e32 v10, v10
	v_exp_f32_e32 v9, v9
	v_cmp_ngt_f32_e32 vcc, s43, v8
	v_ldexp_f32 v9, v9, v10
	s_nop 0
	v_cndmask_b32_e32 v9, 0, v9, vcc
	v_cmp_nlt_f32_e32 vcc, s87, v8
	s_nop 1
	v_cndmask_b32_e32 v8, v132, v9, vcc
	v_add_f32_e32 v8, 1.0, v8
	v_rcp_f32_e32 v8, v8
	s_nop 0
	v_fma_f32 v15, v8, -2.0, 1.0
.LBB30_124:                             ;   in Loop: Header=BB30_16 Depth=1
	s_andn2_saveexec_b64 s[60:61], s[60:61]
; %bb.125:                              ;   in Loop: Header=BB30_16 Depth=1
	v_mul_f32_e32 v8, v6, v6
	v_fmamk_f32 v9, v8, 0xbbbac73d, v58
	v_fmaak_f32 v9, v8, v9, 0xbd5c1c4e
	v_fmaak_f32 v9, v8, v9, 0x3e088382
	;; [unrolled: 1-line block ×3, first 2 shown]
	v_mul_f32_e64 v9, |v6|, v9
	v_fma_f32 v15, v8, v9, |v6|
; %bb.126:                              ;   in Loop: Header=BB30_16 Depth=1
	s_or_b64 exec, exec, s[60:61]
	v_cmp_nlt_f32_e64 s[60:61], |v7|, s94
                                        ; implicit-def: $vgpr19
	s_and_saveexec_b64 s[62:63], s[60:61]
	s_xor_b64 s[60:61], exec, s[62:63]
	s_cbranch_execz .LBB30_128
; %bb.127:                              ;   in Loop: Header=BB30_16 Depth=1
	v_add_f32_e64 v8, |v7|, |v7|
	v_mul_f32_e32 v9, 0x3fb8aa3b, v8
	v_rndne_f32_e32 v10, v9
	v_sub_f32_e32 v11, v9, v10
	v_fma_f32 v9, v8, s97, -v9
	v_fmac_f32_e32 v9, 0x32a5705f, v8
	v_add_f32_e32 v9, v11, v9
	v_cvt_i32_f32_e32 v10, v10
	v_exp_f32_e32 v9, v9
	v_cmp_ngt_f32_e32 vcc, s43, v8
	v_ldexp_f32 v9, v9, v10
	s_nop 0
	v_cndmask_b32_e32 v9, 0, v9, vcc
	v_cmp_nlt_f32_e32 vcc, s87, v8
	s_nop 1
	v_cndmask_b32_e32 v8, v132, v9, vcc
	v_add_f32_e32 v8, 1.0, v8
	v_rcp_f32_e32 v8, v8
	s_nop 0
	v_fma_f32 v19, v8, -2.0, 1.0
.LBB30_128:                             ;   in Loop: Header=BB30_16 Depth=1
	s_andn2_saveexec_b64 s[60:61], s[60:61]
; %bb.129:                              ;   in Loop: Header=BB30_16 Depth=1
	v_mul_f32_e32 v8, v7, v7
	v_fmamk_f32 v9, v8, 0xbbbac73d, v58
	v_fmaak_f32 v9, v8, v9, 0xbd5c1c4e
	v_fmaak_f32 v9, v8, v9, 0x3e088382
	;; [unrolled: 1-line block ×3, first 2 shown]
	v_mul_f32_e64 v9, |v7|, v9
	v_fma_f32 v19, v8, v9, |v7|
; %bb.130:                              ;   in Loop: Header=BB30_16 Depth=1
	s_or_b64 exec, exec, s[60:61]
	v_accvgpr_read_b32 v11, a7
	v_accvgpr_read_b32 v8, a4
	;; [unrolled: 1-line block ×4, first 2 shown]
	v_cmp_nlt_f32_e64 s[60:61], |v8|, s94
                                        ; implicit-def: $vgpr12
	s_and_saveexec_b64 s[62:63], s[60:61]
	s_xor_b64 s[60:61], exec, s[62:63]
	s_cbranch_execz .LBB30_132
; %bb.131:                              ;   in Loop: Header=BB30_16 Depth=1
	v_add_f32_e64 v12, |v8|, |v8|
	v_mul_f32_e32 v13, 0x3fb8aa3b, v12
	v_rndne_f32_e32 v14, v13
	v_sub_f32_e32 v16, v13, v14
	v_fma_f32 v13, v12, s97, -v13
	v_fmac_f32_e32 v13, 0x32a5705f, v12
	v_add_f32_e32 v13, v16, v13
	v_cvt_i32_f32_e32 v14, v14
	v_exp_f32_e32 v13, v13
	v_cmp_ngt_f32_e32 vcc, s43, v12
	v_ldexp_f32 v13, v13, v14
	s_nop 0
	v_cndmask_b32_e32 v13, 0, v13, vcc
	v_cmp_nlt_f32_e32 vcc, s87, v12
	s_nop 1
	v_cndmask_b32_e32 v12, v132, v13, vcc
	v_add_f32_e32 v12, 1.0, v12
	v_rcp_f32_e32 v12, v12
	s_nop 0
	v_fma_f32 v12, v12, -2.0, 1.0
.LBB30_132:                             ;   in Loop: Header=BB30_16 Depth=1
	s_andn2_saveexec_b64 s[60:61], s[60:61]
; %bb.133:                              ;   in Loop: Header=BB30_16 Depth=1
	v_mul_f32_e32 v12, v8, v8
	v_fmamk_f32 v13, v12, 0xbbbac73d, v58
	v_fmaak_f32 v13, v12, v13, 0xbd5c1c4e
	v_fmaak_f32 v13, v12, v13, 0x3e088382
	;; [unrolled: 1-line block ×3, first 2 shown]
	v_mul_f32_e64 v13, |v8|, v13
	v_fma_f32 v12, v12, v13, |v8|
; %bb.134:                              ;   in Loop: Header=BB30_16 Depth=1
	s_or_b64 exec, exec, s[60:61]
	v_cmp_nlt_f32_e64 s[60:61], |v9|, s94
                                        ; implicit-def: $vgpr13
	s_and_saveexec_b64 s[62:63], s[60:61]
	s_xor_b64 s[60:61], exec, s[62:63]
	s_cbranch_execz .LBB30_136
; %bb.135:                              ;   in Loop: Header=BB30_16 Depth=1
	v_add_f32_e64 v13, |v9|, |v9|
	v_mul_f32_e32 v14, 0x3fb8aa3b, v13
	v_rndne_f32_e32 v16, v14
	v_sub_f32_e32 v17, v14, v16
	v_fma_f32 v14, v13, s97, -v14
	v_fmac_f32_e32 v14, 0x32a5705f, v13
	v_add_f32_e32 v14, v17, v14
	v_cvt_i32_f32_e32 v16, v16
	v_exp_f32_e32 v14, v14
	v_cmp_ngt_f32_e32 vcc, s43, v13
	v_ldexp_f32 v14, v14, v16
	s_nop 0
	v_cndmask_b32_e32 v14, 0, v14, vcc
	v_cmp_nlt_f32_e32 vcc, s87, v13
	s_nop 1
	v_cndmask_b32_e32 v13, v132, v14, vcc
	v_add_f32_e32 v13, 1.0, v13
	v_rcp_f32_e32 v13, v13
	s_nop 0
	v_fma_f32 v13, v13, -2.0, 1.0
.LBB30_136:                             ;   in Loop: Header=BB30_16 Depth=1
	s_andn2_saveexec_b64 s[60:61], s[60:61]
; %bb.137:                              ;   in Loop: Header=BB30_16 Depth=1
	v_mul_f32_e32 v13, v9, v9
	v_fmamk_f32 v14, v13, 0xbbbac73d, v58
	v_fmaak_f32 v14, v13, v14, 0xbd5c1c4e
	v_fmaak_f32 v14, v13, v14, 0x3e088382
	;; [unrolled: 1-line block ×3, first 2 shown]
	v_mul_f32_e64 v14, |v9|, v14
	v_fma_f32 v13, v13, v14, |v9|
; %bb.138:                              ;   in Loop: Header=BB30_16 Depth=1
	s_or_b64 exec, exec, s[60:61]
	v_cmp_nlt_f32_e64 s[60:61], |v10|, s94
                                        ; implicit-def: $vgpr14
	s_and_saveexec_b64 s[62:63], s[60:61]
	s_xor_b64 s[60:61], exec, s[62:63]
	s_cbranch_execz .LBB30_140
; %bb.139:                              ;   in Loop: Header=BB30_16 Depth=1
	v_add_f32_e64 v14, |v10|, |v10|
	v_mul_f32_e32 v16, 0x3fb8aa3b, v14
	v_rndne_f32_e32 v17, v16
	v_sub_f32_e32 v18, v16, v17
	v_fma_f32 v16, v14, s97, -v16
	v_fmac_f32_e32 v16, 0x32a5705f, v14
	v_add_f32_e32 v16, v18, v16
	v_cvt_i32_f32_e32 v17, v17
	v_exp_f32_e32 v16, v16
	v_cmp_ngt_f32_e32 vcc, s43, v14
	v_ldexp_f32 v16, v16, v17
	s_nop 0
	v_cndmask_b32_e32 v16, 0, v16, vcc
	v_cmp_nlt_f32_e32 vcc, s87, v14
	s_nop 1
	v_cndmask_b32_e32 v14, v132, v16, vcc
	v_add_f32_e32 v14, 1.0, v14
	v_rcp_f32_e32 v14, v14
	s_nop 0
	v_fma_f32 v14, v14, -2.0, 1.0
.LBB30_140:                             ;   in Loop: Header=BB30_16 Depth=1
	s_andn2_saveexec_b64 s[60:61], s[60:61]
; %bb.141:                              ;   in Loop: Header=BB30_16 Depth=1
	v_mul_f32_e32 v14, v10, v10
	v_fmamk_f32 v16, v14, 0xbbbac73d, v58
	v_fmaak_f32 v16, v14, v16, 0xbd5c1c4e
	v_fmaak_f32 v16, v14, v16, 0x3e088382
	v_fmaak_f32 v16, v14, v16, 0xbeaaaa99
	v_mul_f32_e64 v16, |v10|, v16
	v_fma_f32 v14, v14, v16, |v10|
; %bb.142:                              ;   in Loop: Header=BB30_16 Depth=1
	s_or_b64 exec, exec, s[60:61]
	v_cmp_nlt_f32_e64 s[60:61], |v11|, s94
                                        ; implicit-def: $vgpr20
	s_and_saveexec_b64 s[62:63], s[60:61]
	s_xor_b64 s[60:61], exec, s[62:63]
	s_cbranch_execz .LBB30_144
; %bb.143:                              ;   in Loop: Header=BB30_16 Depth=1
	v_add_f32_e64 v16, |v11|, |v11|
	v_mul_f32_e32 v17, 0x3fb8aa3b, v16
	v_rndne_f32_e32 v18, v17
	v_sub_f32_e32 v20, v17, v18
	v_fma_f32 v17, v16, s97, -v17
	v_fmac_f32_e32 v17, 0x32a5705f, v16
	v_add_f32_e32 v17, v20, v17
	v_cvt_i32_f32_e32 v18, v18
	v_exp_f32_e32 v17, v17
	v_cmp_ngt_f32_e32 vcc, s43, v16
	v_ldexp_f32 v17, v17, v18
	s_nop 0
	v_cndmask_b32_e32 v17, 0, v17, vcc
	v_cmp_nlt_f32_e32 vcc, s87, v16
	s_nop 1
	v_cndmask_b32_e32 v16, v132, v17, vcc
	v_add_f32_e32 v16, 1.0, v16
	v_rcp_f32_e32 v16, v16
	s_nop 0
	v_fma_f32 v20, v16, -2.0, 1.0
.LBB30_144:                             ;   in Loop: Header=BB30_16 Depth=1
	s_andn2_saveexec_b64 s[60:61], s[60:61]
; %bb.145:                              ;   in Loop: Header=BB30_16 Depth=1
	v_mul_f32_e32 v16, v11, v11
	v_fmamk_f32 v17, v16, 0xbbbac73d, v58
	v_fmaak_f32 v17, v16, v17, 0xbd5c1c4e
	v_fmaak_f32 v17, v16, v17, 0x3e088382
	;; [unrolled: 1-line block ×3, first 2 shown]
	v_mul_f32_e64 v17, |v11|, v17
	v_fma_f32 v20, v16, v17, |v11|
; %bb.146:                              ;   in Loop: Header=BB30_16 Depth=1
	s_or_b64 exec, exec, s[60:61]
	v_bfi_b32 v1, s86, v3, v1
	v_mul_f32_e32 v16, s3, v1
	v_bfi_b32 v1, s86, v4, v5
	v_bfi_b32 v8, s86, v12, v8
	v_mul_f32_e32 v17, s3, v1
	v_bfi_b32 v1, s86, v15, v6
	v_mul_f32_e32 v12, s3, v8
	;; [unrolled: 2-line block ×3, first 2 shown]
	v_bfi_b32 v1, s86, v19, v7
	v_cmp_ne_u64_e32 vcc, 0, v[138:139]
	v_mul_f32_e32 v13, s3, v8
	v_bfi_b32 v8, s86, v14, v10
	v_mul_f32_e32 v19, s3, v1
	v_bfi_b32 v1, s86, v20, v11
	v_mul_f32_e32 v14, s3, v8
	v_mul_f32_e32 v15, s3, v1
	s_cbranch_vccz .LBB30_455
; %bb.147:                              ;   in Loop: Header=BB30_16 Depth=1
	v_accvgpr_read_b32 v1, a69
	v_add_u32_e32 v1, 0x8400, v1
	ds_read2_b32 v[4:5], v1 offset1:1
	v_accvgpr_read_b32 v1, a71
	v_accvgpr_read_b32 v3, a73
	ds_read_b32 v1, v1 offset:33792
	ds_read_b32 v3, v3 offset:33792
	s_waitcnt lgkmcnt(2)
	v_cvt_f32_f16_e32 v6, v4
	v_cvt_f32_f16_sdwa v7, v4 dst_sel:DWORD dst_unused:UNUSED_PAD src0_sel:WORD_1
	v_cvt_f32_f16_e32 v4, v5
	v_cvt_f32_f16_sdwa v5, v5 dst_sel:DWORD dst_unused:UNUSED_PAD src0_sel:WORD_1
	s_waitcnt lgkmcnt(1)
	v_cvt_f32_f16_sdwa v21, v1 dst_sel:DWORD dst_unused:UNUSED_PAD src0_sel:WORD_1
	s_waitcnt lgkmcnt(0)
	v_cvt_f32_f16_sdwa v23, v3 dst_sel:DWORD dst_unused:UNUSED_PAD src0_sel:WORD_1
	v_cvt_f32_f16_e32 v22, v3
	v_cvt_f32_f16_e32 v20, v1
	v_pk_fma_f32 v[10:11], v[136:137], v[4:5], v[18:19] op_sel_hi:[0,1,1]
	v_pk_fma_f32 v[8:9], v[136:137], v[6:7], v[16:17] op_sel_hi:[0,1,1]
	;; [unrolled: 1-line block ×4, first 2 shown]
	s_cbranch_execnz .LBB30_149
.LBB30_148:                             ;   in Loop: Header=BB30_16 Depth=1
	v_mov_b64_e32 v[4:5], v[12:13]
	v_mov_b64_e32 v[8:9], v[16:17]
	;; [unrolled: 1-line block ×4, first 2 shown]
.LBB30_149:                             ;   in Loop: Header=BB30_16 Depth=1
	v_add_f32_e32 v1, 0x40051340, v8
	v_max_f32_e32 v3, v42, v42
	v_cmp_gt_u32_e64 s[70:71], s41, v159
	v_max_f32_e32 v1, v3, v1
	v_add_f32_e32 v3, 0x40051340, v9
	v_cndmask_b32_e64 v1, v42, v1, s[70:71]
	v_max_f32_e32 v12, v1, v1
	v_cmp_gt_u32_e64 s[72:73], s41, v177
	v_max_f32_e32 v3, v12, v3
	v_cmp_gt_u32_e64 s[74:75], s41, v178
	v_cndmask_b32_e64 v1, v1, v3, s[72:73]
	v_add_f32_e32 v3, 0x40051340, v10
	v_max_f32_e32 v12, v1, v1
	v_max_f32_e32 v3, v12, v3
	v_cndmask_b32_e64 v1, v1, v3, s[74:75]
	v_accvgpr_read_b32 v3, a163
	v_cmp_gt_u32_e64 s[66:67], s41, v3
	v_add_f32_e32 v3, 0x40051340, v11
	v_max_f32_e32 v12, v1, v1
	v_max_f32_e32 v3, v12, v3
	v_cndmask_b32_e64 v1, v1, v3, s[66:67]
	v_add_f32_e32 v3, 0x40051340, v4
	v_max_f32_e32 v12, v1, v1
	v_cmp_gt_u32_e64 s[64:65], s41, v160
	v_max_f32_e32 v3, v12, v3
	v_cmp_gt_u32_e64 s[60:61], s41, v161
	v_cndmask_b32_e64 v1, v1, v3, s[64:65]
	v_accvgpr_read_b32 v3, a164
	v_cmp_gt_u32_e64 s[62:63], s41, v3
	v_add_f32_e32 v3, 0x40051340, v5
	v_max_f32_e32 v12, v1, v1
	v_max_f32_e32 v3, v12, v3
	v_cndmask_b32_e64 v1, v1, v3, s[62:63]
	v_add_f32_e32 v3, 0x40051340, v6
	v_max_f32_e32 v12, v1, v1
	v_max_f32_e32 v3, v12, v3
	v_cndmask_b32_e64 v1, v1, v3, s[60:61]
	v_accvgpr_read_b32 v3, a165
	v_cmp_gt_u32_e32 vcc, s41, v3
	v_add_f32_e32 v3, 0x40051340, v7
	v_max_f32_e32 v12, v1, v1
	v_max_f32_e32 v3, v12, v3
	v_cndmask_b32_e32 v1, v1, v3, vcc
	v_and_b32_e32 v3, 64, v170
	v_add_u32_e32 v3, 64, v3
	v_xor_b32_e32 v12, 32, v170
	v_cmp_lt_i32_e64 s[76:77], v12, v3
	v_cndmask_b32_e64 v10, v10, v10, s[72:73]
	v_cndmask_b32_e64 v5, v5, v5, s[64:65]
	;; [unrolled: 1-line block ×3, first 2 shown]
	v_lshlrev_b32_e32 v13, 2, v12
	ds_bpermute_b32 v12, v13, v1
	v_max_f32_e32 v1, v1, v1
	v_cndmask_b32_e64 v7, v7, v7, s[64:65]
	v_cndmask_b32_e64 v6, v6, v6, s[64:65]
	v_accvgpr_read_b32 v50, a76
	s_waitcnt lgkmcnt(0)
	v_max_f32_e32 v12, v12, v12
	v_max_f32_e32 v1, v1, v12
	v_xor_b32_e32 v12, 16, v170
	v_cmp_lt_i32_e64 s[76:77], v12, v3
	v_accvgpr_read_b32 v51, a77
	s_nop 0
	v_cndmask_b32_e64 v3, v170, v12, s[76:77]
	v_lshlrev_b32_e32 v37, 2, v3
	ds_bpermute_b32 v3, v37, v1
	s_waitcnt lgkmcnt(0)
	v_max_f32_e32 v3, v3, v3
	v_max_f32_e32 v12, v1, v3
	v_sub_f32_e32 v1, v8, v12
	v_mul_f32_e32 v3, 0x3fb8aa3b, v1
	v_fma_f32 v8, v1, s97, -v3
	v_rndne_f32_e32 v14, v3
	v_fmac_f32_e32 v8, 0x32a5705f, v1
	v_sub_f32_e32 v3, v3, v14
	v_add_f32_e32 v3, v3, v8
	v_exp_f32_e32 v3, v3
	v_cvt_i32_f32_e32 v8, v14
	v_cmp_ngt_f32_e64 s[76:77], s43, v1
	v_ldexp_f32 v3, v3, v8
	s_nop 0
	v_cndmask_b32_e64 v3, 0, v3, s[76:77]
	v_cmp_nlt_f32_e64 s[76:77], s87, v1
	s_nop 1
	v_cndmask_b32_e64 v1, v132, v3, s[76:77]
	v_cndmask_b32_e64 v18, 0, v1, s[70:71]
	v_sub_f32_e32 v1, v9, v12
	v_mul_f32_e32 v3, 0x3fb8aa3b, v1
	v_fma_f32 v8, v1, s97, -v3
	v_rndne_f32_e32 v9, v3
	v_fmac_f32_e32 v8, 0x32a5705f, v1
	v_sub_f32_e32 v3, v3, v9
	v_add_f32_e32 v3, v3, v8
	v_exp_f32_e32 v3, v3
	v_cvt_i32_f32_e32 v8, v9
	v_cmp_ngt_f32_e64 s[70:71], s43, v1
	v_cndmask_b32_e64 v9, v11, v11, s[72:73]
	v_ldexp_f32 v3, v3, v8
	v_cndmask_b32_e64 v3, 0, v3, s[70:71]
	v_cmp_nlt_f32_e64 s[70:71], s87, v1
	v_mov_b32_e32 v1, s37
	s_nop 0
	v_cndmask_b32_e64 v3, v132, v3, s[70:71]
	v_add_f32_e32 v8, v3, v18
	v_cndmask_b32_e64 v19, v1, v3, s[72:73]
	v_sub_f32_e32 v3, v10, v12
	v_cndmask_b32_e64 v1, v18, v8, s[72:73]
	v_mul_f32_e32 v8, 0x3fb8aa3b, v3
	v_fma_f32 v10, v3, s97, -v8
	v_rndne_f32_e32 v11, v8
	v_fmac_f32_e32 v10, 0x32a5705f, v3
	v_sub_f32_e32 v8, v8, v11
	v_add_f32_e32 v8, v8, v10
	v_exp_f32_e32 v8, v8
	v_cvt_i32_f32_e32 v10, v11
	v_cmp_ngt_f32_e64 s[70:71], s43, v3
	v_ldexp_f32 v8, v8, v10
	s_nop 0
	v_cndmask_b32_e64 v8, 0, v8, s[70:71]
	v_cmp_nlt_f32_e64 s[70:71], s87, v3
	s_nop 1
	v_cndmask_b32_e64 v3, v132, v8, s[70:71]
	v_mov_b32_e32 v8, s37
	v_add_f32_e32 v10, v1, v3
	v_cndmask_b32_e64 v39, v8, v3, s[74:75]
	v_sub_f32_e32 v3, v9, v12
	v_mul_f32_e32 v8, 0x3fb8aa3b, v3
	v_cndmask_b32_e64 v1, v1, v10, s[74:75]
	v_fma_f32 v9, v3, s97, -v8
	v_rndne_f32_e32 v10, v8
	v_fmac_f32_e32 v9, 0x32a5705f, v3
	v_sub_f32_e32 v8, v8, v10
	v_add_f32_e32 v8, v8, v9
	v_exp_f32_e32 v8, v8
	v_cvt_i32_f32_e32 v9, v10
	v_cmp_ngt_f32_e64 s[70:71], s43, v3
	v_ldexp_f32 v8, v8, v9
	s_nop 0
	v_cndmask_b32_e64 v8, 0, v8, s[70:71]
	v_cmp_nlt_f32_e64 s[70:71], s87, v3
	v_mov_b32_e32 v3, s37
	s_nop 0
	v_cndmask_b32_e64 v8, v132, v8, s[70:71]
	v_cndmask_b32_e64 v47, v3, v8, s[66:67]
	v_sub_f32_e32 v3, v4, v12
	v_add_f32_e32 v9, v1, v8
	v_mul_f32_e32 v4, 0x3fb8aa3b, v3
	v_cndmask_b32_e64 v1, v1, v9, s[66:67]
	v_fma_f32 v8, v3, s97, -v4
	v_rndne_f32_e32 v9, v4
	v_fmac_f32_e32 v8, 0x32a5705f, v3
	v_sub_f32_e32 v4, v4, v9
	v_add_f32_e32 v4, v4, v8
	v_exp_f32_e32 v4, v4
	v_cvt_i32_f32_e32 v8, v9
	v_cmp_ngt_f32_e64 s[66:67], s43, v3
	v_ldexp_f32 v4, v4, v8
	s_nop 0
	v_cndmask_b32_e64 v4, 0, v4, s[66:67]
	v_cmp_nlt_f32_e64 s[66:67], s87, v3
	s_nop 1
	v_cndmask_b32_e64 v3, v132, v4, s[66:67]
	v_add_f32_e32 v8, v3, v1
	v_mov_b32_e32 v4, s37
	v_cndmask_b32_e64 v48, v4, v3, s[64:65]
	v_cndmask_b32_e64 v3, v1, v8, s[64:65]
	v_sub_f32_e32 v1, v5, v12
	v_mul_f32_e32 v4, 0x3fb8aa3b, v1
	v_fma_f32 v5, v1, s97, -v4
	v_rndne_f32_e32 v8, v4
	v_fmac_f32_e32 v5, 0x32a5705f, v1
	v_sub_f32_e32 v4, v4, v8
	v_add_f32_e32 v4, v4, v5
	v_exp_f32_e32 v4, v4
	v_cvt_i32_f32_e32 v5, v8
	v_cmp_ngt_f32_e64 s[64:65], s43, v1
	v_ldexp_f32 v4, v4, v5
	s_nop 0
	v_cndmask_b32_e64 v4, 0, v4, s[64:65]
	v_cmp_nlt_f32_e64 s[64:65], s87, v1
	v_mov_b32_e32 v1, s37
	s_nop 0
	v_cndmask_b32_e64 v4, v132, v4, s[64:65]
	v_add_f32_e32 v5, v4, v3
	v_cndmask_b32_e64 v49, v1, v4, s[62:63]
	v_cndmask_b32_e64 v1, v3, v5, s[62:63]
	v_sub_f32_e32 v3, v6, v12
	v_mul_f32_e32 v4, 0x3fb8aa3b, v3
	v_fma_f32 v5, v3, s97, -v4
	v_rndne_f32_e32 v6, v4
	v_fmac_f32_e32 v5, 0x32a5705f, v3
	v_sub_f32_e32 v4, v4, v6
	v_add_f32_e32 v4, v4, v5
	v_exp_f32_e32 v4, v4
	v_cvt_i32_f32_e32 v5, v6
	v_cmp_ngt_f32_e64 s[62:63], s43, v3
	v_ldexp_f32 v4, v4, v5
	s_nop 0
	v_cndmask_b32_e64 v4, 0, v4, s[62:63]
	v_cmp_nlt_f32_e64 s[62:63], s87, v3
	s_nop 1
	v_cndmask_b32_e64 v3, v132, v4, s[62:63]
	v_mov_b32_e32 v4, s37
	v_add_f32_e32 v5, v3, v1
	v_cndmask_b32_e64 v4, v4, v3, s[60:61]
	v_sub_f32_e32 v3, v7, v12
	v_cndmask_b32_e64 v1, v1, v5, s[60:61]
	v_mul_f32_e32 v5, 0x3fb8aa3b, v3
	v_fma_f32 v6, v3, s97, -v5
	v_rndne_f32_e32 v7, v5
	v_fmac_f32_e32 v6, 0x32a5705f, v3
	v_sub_f32_e32 v5, v5, v7
	v_add_f32_e32 v5, v5, v6
	v_exp_f32_e32 v5, v5
	v_cvt_i32_f32_e32 v6, v7
	v_cmp_ngt_f32_e64 s[60:61], s43, v3
	v_cvt_f16_f32_e32 v4, v4
	v_ldexp_f32 v5, v5, v6
	v_cndmask_b32_e64 v5, 0, v5, s[60:61]
	v_cmp_nlt_f32_e64 s[60:61], s87, v3
	v_mov_b32_e32 v3, s37
	s_nop 0
	v_cndmask_b32_e64 v5, v132, v5, s[60:61]
	v_add_f32_e32 v6, v5, v1
	v_cndmask_b32_e32 v40, v1, v6, vcc
	v_sub_f32_e32 v1, v42, v12
	v_cndmask_b32_e32 v3, v3, v5, vcc
	v_mul_f32_e32 v5, 0x3fb8aa3b, v1
	v_fma_f32 v6, v1, s97, -v5
	v_rndne_f32_e32 v7, v5
	v_fmac_f32_e32 v6, 0x32a5705f, v1
	v_sub_f32_e32 v5, v5, v7
	v_add_f32_e32 v5, v5, v6
	v_exp_f32_e32 v5, v5
	v_cvt_i32_f32_e32 v6, v7
	v_cmp_ngt_f32_e32 vcc, s43, v1
	v_cvt_f16_f32_e32 v3, v3
	s_mul_hi_i32 s61, s90, s98
	v_ldexp_f32 v5, v5, v6
	v_cndmask_b32_e32 v5, 0, v5, vcc
	v_cmp_nlt_f32_e32 vcc, s87, v1
	v_cvt_f16_f32_e32 v6, v19
	s_mul_i32 s60, s90, s98
	v_cndmask_b32_e32 v5, v132, v5, vcc
	v_cmp_le_f32_e32 vcc, s36, v1
	s_lshl_b64 s[60:61], s[60:61], 2
	v_pack_b32_f16 v7, v4, v3
	v_cndmask_b32_e32 v1, 0, v5, vcc
	v_cvt_f16_f32_e32 v5, v1
	v_fmac_f32_e32 v40, v43, v1
	v_mov_b32_e32 v3, s81
	ds_bpermute_b32 v13, v13, v40
	v_pk_mul_f16 v46, v5, v66 op_sel_hi:[0,1]
	v_pk_mul_f16 v1, v5, v65 op_sel_hi:[0,1]
	;; [unrolled: 1-line block ×32, first 2 shown]
	v_cvt_f16_f32_e32 v5, v18
	s_waitcnt lgkmcnt(0)
	v_add_f32_e32 v13, v40, v13
	v_cmp_eq_u64_e32 vcc, 0, v[216:217]
	v_pack_b32_f16 v18, v5, v6
	v_cvt_f16_f32_e32 v5, v39
	v_cvt_f16_f32_e32 v6, v47
	v_mov_b32_e32 v39, v2
	v_mov_b32_e32 v47, s80
	v_pack_b32_f16 v19, v5, v6
	v_cvt_f16_f32_e32 v5, v48
	v_cvt_f16_f32_e32 v6, v49
	v_accvgpr_read_b32 v48, a74
	v_accvgpr_read_b32 v49, a75
	v_pack_b32_f16 v6, v5, v6
	v_lshl_add_u64 v[4:5], v[134:135], 0, s[60:61]
	v_lshl_add_u64 v[50:51], v[50:51], 2, v[4:5]
	;; [unrolled: 1-line block ×3, first 2 shown]
	v_cndmask_b32_e64 v53, v3, v51, s[46:47]
	v_cndmask_b32_e64 v52, v47, v50, s[46:47]
	v_accvgpr_read_b32 v50, a78
	v_accvgpr_read_b32 v51, a79
	v_lshl_add_u64 v[50:51], v[50:51], 2, v[4:5]
	v_lshl_add_u64 v[50:51], v[50:51], 0, v[38:39]
	v_cndmask_b32_e64 v63, v3, v51, s[48:49]
	v_cndmask_b32_e64 v62, v47, v50, s[48:49]
	v_accvgpr_read_b32 v50, a80
	v_accvgpr_read_b32 v51, a81
	v_lshl_add_u64 v[50:51], v[50:51], 2, v[4:5]
	v_lshl_add_u64 v[50:51], v[50:51], 0, v[38:39]
	;; [unrolled: 6-line block ×6, first 2 shown]
	v_lshl_add_u64 v[48:49], v[48:49], 0, v[38:39]
	v_lshl_add_u64 v[4:5], v[4:5], 0, v[38:39]
	v_cndmask_b32_e64 v49, v3, v49, s[44:45]
	v_cndmask_b32_e64 v39, v3, v5, s[58:59]
	;; [unrolled: 1-line block ×3, first 2 shown]
	v_mov_b32_e32 v3, v2
	v_mov_b32_e32 v4, v2
	;; [unrolled: 1-line block ×3, first 2 shown]
	v_cndmask_b32_e64 v48, v47, v48, s[44:45]
	scratch_store_dwordx4 off, v[2:5], off
	flat_load_dwordx4 v[48:51], v[48:49]
	v_readlane_b32 s50, v255, 0
	v_add_u32_e32 v3, v203, v101
	v_readlane_b32 s51, v255, 1
	s_xor_b64 s[44:45], s[50:51], -1
	s_or_b64 s[44:45], s[44:45], vcc
	s_waitcnt vmcnt(0) lgkmcnt(0)
	ds_write_b128 v202, v[48:51]
	flat_load_dwordx4 v[48:51], v[52:53]
	s_waitcnt vmcnt(0) lgkmcnt(0)
	ds_write_b128 v200, v[48:51]
	flat_load_dwordx4 v[48:51], v[62:63]
	;; [unrolled: 3-line block ×7, first 2 shown]
	v_add_u32_e32 v39, v203, v102
	s_waitcnt vmcnt(0) lgkmcnt(0)
	ds_write_b128 v252, v[48:51]
	s_waitcnt lgkmcnt(0)
	s_barrier
	ds_read_u16 v3, v3 offset:528
	ds_read_u16 v4, v119 offset:1056
	v_cvt_f32_f16_e32 v50, v1
	v_cvt_f32_f16_sdwa v51, v1 dst_sel:DWORD dst_unused:UNUSED_PAD src0_sel:WORD_1
	ds_read_u16 v1, v39
	ds_read_u16 v38, v39 offset:32
	v_cvt_f32_f16_e32 v48, v46
	v_cvt_f32_f16_sdwa v49, v46 dst_sel:DWORD dst_unused:UNUSED_PAD src0_sel:WORD_1
	v_add_u32_e32 v46, v103, v101
	s_waitcnt lgkmcnt(1)
	v_perm_b32 v5, v1, v4, s33
	ds_read_u16 v1, v219
	ds_read_u16 v52, v219 offset:32
	v_accvgpr_write_b32 a0, v48
	v_accvgpr_write_b32 a1, v49
	;; [unrolled: 1-line block ×3, first 2 shown]
	s_waitcnt lgkmcnt(1)
	v_perm_b32 v4, v3, v1, s33
	v_accvgpr_write_b32 a3, v51
	ds_read_u16 v50, v219 offset:16896
	ds_read_u16 v51, v46 offset:528
	;; [unrolled: 1-line block ×4, first 2 shown]
	v_mfma_f32_16x16x16_f16 a[0:3], v[4:5], v[18:19], a[0:3]
	s_nop 6
	v_accvgpr_read_b32 v1, a0
	v_cvt_f16_f32_e32 v1, v1
	v_accvgpr_read_b32 v3, a1
	v_accvgpr_read_b32 v4, a2
	;; [unrolled: 1-line block ×3, first 2 shown]
	v_cvt_f16_f32_e32 v3, v3
	v_cvt_f16_f32_e32 v4, v4
	;; [unrolled: 1-line block ×3, first 2 shown]
	v_cvt_f32_f16_e32 v46, v1
	v_cvt_f32_f16_e32 v47, v3
	;; [unrolled: 1-line block ×4, first 2 shown]
	s_waitcnt lgkmcnt(0)
	v_perm_b32 v5, v57, v53, s33
	v_perm_b32 v4, v51, v50, s33
	v_accvgpr_write_b32 a0, v46
	v_accvgpr_write_b32 a1, v47
	;; [unrolled: 1-line block ×4, first 2 shown]
	v_cvt_f32_f16_sdwa v47, v45 dst_sel:DWORD dst_unused:UNUSED_PAD src0_sel:WORD_1
	v_cvt_f32_f16_e32 v48, v8
	v_mfma_f32_16x16x16_f16 a[0:3], v[4:5], v[6:7], a[0:3]
	v_cvt_f32_f16_sdwa v49, v8 dst_sel:DWORD dst_unused:UNUSED_PAD src0_sel:WORD_1
	s_nop 5
	v_accvgpr_read_b32 v1, a0
	v_accvgpr_read_b32 v3, a1
	;; [unrolled: 1-line block ×3, first 2 shown]
	v_cvt_f16_f32_e32 v1, v1
	v_cvt_f16_f32_e32 v3, v3
	;; [unrolled: 1-line block ×3, first 2 shown]
	v_accvgpr_read_b32 v4, a3
	v_cvt_f16_f32_e32 v46, v4
	v_pack_b32_f16 v4, v1, v3
	v_add_u32_e32 v3, v104, v101
	v_pack_b32_f16 v1, v5, v46
	ds_read_u16 v3, v3 offset:528
	ds_read_u16 v5, v121 offset:1056
	v_cvt_f32_f16_e32 v46, v45
	ds_read_u16 v45, v220 offset:16896
	s_waitcnt lgkmcnt(2)
	v_perm_b32 v50, v3, v52, s33
	s_waitcnt lgkmcnt(1)
	v_perm_b32 v51, v38, v5, s33
	v_accvgpr_write_b32 a0, v46
	v_accvgpr_write_b32 a1, v47
	;; [unrolled: 1-line block ×4, first 2 shown]
	v_add_u32_e32 v46, v204, v101
	s_nop 0
	v_mfma_f32_16x16x16_f16 a[0:3], v[50:51], v[18:19], a[0:3]
	ds_read_u16 v50, v46 offset:528
	ds_read_u16 v51, v221 offset:1056
	v_add_u32_e32 v46, v104, v102
	ds_read_u16 v52, v46 offset:16896
	s_waitcnt lgkmcnt(2)
	v_perm_b32 v50, v50, v45, s33
	s_waitcnt lgkmcnt(0)
	v_perm_b32 v51, v52, v51, s33
	v_accvgpr_read_b32 v3, a0
	v_cvt_f16_f32_e32 v3, v3
	v_accvgpr_read_b32 v5, a1
	v_accvgpr_read_b32 v8, a2
	;; [unrolled: 1-line block ×3, first 2 shown]
	v_cvt_f16_f32_e32 v5, v5
	v_cvt_f16_f32_e32 v8, v8
	;; [unrolled: 1-line block ×3, first 2 shown]
	v_cvt_f32_f16_e32 v46, v3
	v_cvt_f32_f16_e32 v47, v5
	;; [unrolled: 1-line block ×4, first 2 shown]
	v_accvgpr_write_b32 a0, v46
	v_accvgpr_write_b32 a1, v47
	;; [unrolled: 1-line block ×4, first 2 shown]
	v_cvt_f32_f16_e32 v46, v44
	v_cvt_f32_f16_sdwa v47, v44 dst_sel:DWORD dst_unused:UNUSED_PAD src0_sel:WORD_1
	v_mfma_f32_16x16x16_f16 a[0:3], v[50:51], v[6:7], a[0:3]
	v_cvt_f32_f16_e32 v48, v10
	v_cvt_f32_f16_sdwa v49, v10 dst_sel:DWORD dst_unused:UNUSED_PAD src0_sel:WORD_1
	s_nop 4
	v_accvgpr_read_b32 v8, a2
	v_accvgpr_read_b32 v3, a0
	;; [unrolled: 1-line block ×3, first 2 shown]
	v_cvt_f16_f32_e32 v38, v8
	v_accvgpr_read_b32 v8, a3
	v_cvt_f16_f32_e32 v3, v3
	v_cvt_f16_f32_e32 v5, v5
	;; [unrolled: 1-line block ×3, first 2 shown]
	v_accvgpr_write_b32 a0, v46
	v_accvgpr_write_b32 a1, v47
	v_pack_b32_f16 v8, v3, v5
	v_pack_b32_f16 v3, v38, v45
	v_add_u32_e32 v38, v105, v101
	ds_read_u16 v5, v219 offset:64
	ds_read_u16 v38, v38 offset:528
	;; [unrolled: 1-line block ×4, first 2 shown]
	v_accvgpr_write_b32 a2, v48
	v_accvgpr_write_b32 a3, v49
	ds_read_u16 v48, v222 offset:16896
	s_waitcnt lgkmcnt(3)
	v_perm_b32 v44, v38, v5, s33
	s_waitcnt lgkmcnt(1)
	v_perm_b32 v45, v50, v45, s33
	s_nop 1
	v_mfma_f32_16x16x16_f16 a[0:3], v[44:45], v[18:19], a[0:3]
	s_nop 6
	v_accvgpr_read_b32 v44, a3
	v_cvt_f16_f32_e32 v47, v44
	v_add_u32_e32 v44, v205, v101
	v_accvgpr_read_b32 v5, a0
	ds_read_u16 v50, v44 offset:528
	ds_read_u16 v49, v223 offset:1056
	v_add_u32_e32 v44, v105, v102
	v_cvt_f16_f32_e32 v5, v5
	v_accvgpr_read_b32 v10, a1
	v_accvgpr_read_b32 v38, a2
	ds_read_u16 v51, v44 offset:16896
	v_cvt_f16_f32_e32 v10, v10
	v_cvt_f16_f32_e32 v38, v38
	v_cvt_f32_f16_e32 v44, v5
	v_cvt_f32_f16_e32 v47, v47
	v_cvt_f32_f16_e32 v45, v10
	v_cvt_f32_f16_e32 v46, v38
	s_waitcnt lgkmcnt(0)
	v_perm_b32 v49, v51, v49, s33
	v_perm_b32 v48, v50, v48, s33
	v_accvgpr_write_b32 a0, v44
	v_accvgpr_write_b32 a1, v45
	v_accvgpr_write_b32 a2, v46
	v_accvgpr_write_b32 a3, v47
	v_cvt_f32_f16_sdwa v45, v14 dst_sel:DWORD dst_unused:UNUSED_PAD src0_sel:WORD_1
	v_cvt_f32_f16_e32 v46, v9
	v_mfma_f32_16x16x16_f16 a[0:3], v[48:49], v[6:7], a[0:3]
	v_cvt_f32_f16_sdwa v47, v9 dst_sel:DWORD dst_unused:UNUSED_PAD src0_sel:WORD_1
	s_nop 5
	v_accvgpr_read_b32 v5, a0
	v_accvgpr_read_b32 v10, a1
	v_accvgpr_read_b32 v38, a2
	v_accvgpr_read_b32 v44, a3
	v_cvt_f16_f32_e32 v5, v5
	v_cvt_f16_f32_e32 v10, v10
	v_cvt_f16_f32_e32 v38, v38
	v_cvt_f16_f32_e32 v44, v44
	v_pack_b32_f16 v10, v5, v10
	v_pack_b32_f16 v5, v38, v44
	v_add_u32_e32 v44, v106, v101
	ds_read_u16 v38, v219 offset:96
	ds_read_u16 v48, v44 offset:528
	ds_read_u16 v49, v123 offset:1056
	ds_read_u16 v50, v39 offset:96
	v_cvt_f32_f16_e32 v44, v14
	s_waitcnt lgkmcnt(2)
	v_perm_b32 v48, v48, v38, s33
	s_waitcnt lgkmcnt(0)
	v_perm_b32 v49, v50, v49, s33
	v_accvgpr_write_b32 a0, v44
	v_accvgpr_write_b32 a1, v45
	v_accvgpr_write_b32 a2, v46
	v_accvgpr_write_b32 a3, v47
	s_nop 1
	v_mfma_f32_16x16x16_f16 a[0:3], v[48:49], v[18:19], a[0:3]
	ds_read_u16 v48, v224 offset:16896
	s_nop 5
	v_accvgpr_read_b32 v44, a3
	v_cvt_f16_f32_e32 v47, v44
	v_add_u32_e32 v44, v206, v101
	v_accvgpr_read_b32 v9, a0
	ds_read_u16 v50, v44 offset:528
	ds_read_u16 v49, v225 offset:1056
	v_add_u32_e32 v44, v106, v102
	v_cvt_f16_f32_e32 v9, v9
	v_accvgpr_read_b32 v14, a1
	v_accvgpr_read_b32 v38, a2
	ds_read_u16 v51, v44 offset:16896
	v_cvt_f16_f32_e32 v14, v14
	v_cvt_f16_f32_e32 v38, v38
	v_cvt_f32_f16_e32 v44, v9
	v_cvt_f32_f16_e32 v47, v47
	v_cvt_f32_f16_e32 v45, v14
	v_cvt_f32_f16_e32 v46, v38
	s_waitcnt lgkmcnt(0)
	v_perm_b32 v49, v51, v49, s33
	v_perm_b32 v48, v50, v48, s33
	v_accvgpr_write_b32 a0, v44
	v_accvgpr_write_b32 a1, v45
	v_accvgpr_write_b32 a2, v46
	v_accvgpr_write_b32 a3, v47
	v_cvt_f32_f16_sdwa v45, v16 dst_sel:DWORD dst_unused:UNUSED_PAD src0_sel:WORD_1
	v_cvt_f32_f16_e32 v46, v11
	v_mfma_f32_16x16x16_f16 a[0:3], v[48:49], v[6:7], a[0:3]
	v_cvt_f32_f16_sdwa v47, v11 dst_sel:DWORD dst_unused:UNUSED_PAD src0_sel:WORD_1
	s_nop 5
	v_accvgpr_read_b32 v9, a0
	v_accvgpr_read_b32 v14, a1
	v_accvgpr_read_b32 v38, a2
	v_accvgpr_read_b32 v44, a3
	v_cvt_f16_f32_e32 v9, v9
	v_cvt_f16_f32_e32 v14, v14
	v_cvt_f16_f32_e32 v38, v38
	v_cvt_f16_f32_e32 v44, v44
	v_pack_b32_f16 v14, v9, v14
	v_pack_b32_f16 v9, v38, v44
	v_add_u32_e32 v44, v107, v101
	ds_read_u16 v38, v219 offset:128
	ds_read_u16 v48, v44 offset:528
	ds_read_u16 v49, v124 offset:1056
	ds_read_u16 v50, v39 offset:128
	v_cvt_f32_f16_e32 v44, v16
	s_waitcnt lgkmcnt(2)
	v_perm_b32 v48, v48, v38, s33
	s_waitcnt lgkmcnt(0)
	v_perm_b32 v49, v50, v49, s33
	v_accvgpr_write_b32 a0, v44
	v_accvgpr_write_b32 a1, v45
	v_accvgpr_write_b32 a2, v46
	v_accvgpr_write_b32 a3, v47
	s_nop 1
	v_mfma_f32_16x16x16_f16 a[0:3], v[48:49], v[18:19], a[0:3]
	ds_read_u16 v48, v226 offset:16896
	;; [unrolled: 57-line block ×5, first 2 shown]
	s_nop 5
	v_accvgpr_read_b32 v44, a3
	v_cvt_f16_f32_e32 v47, v44
	v_add_u32_e32 v44, v210, v101
	v_accvgpr_read_b32 v21, a0
	ds_read_u16 v50, v44 offset:528
	ds_read_u16 v49, v233 offset:1056
	v_add_u32_e32 v44, v110, v102
	v_cvt_f16_f32_e32 v21, v21
	v_accvgpr_read_b32 v24, a1
	v_accvgpr_read_b32 v38, a2
	ds_read_u16 v51, v44 offset:16896
	v_cvt_f16_f32_e32 v24, v24
	v_cvt_f16_f32_e32 v38, v38
	v_cvt_f32_f16_e32 v44, v21
	v_cvt_f32_f16_e32 v47, v47
	;; [unrolled: 1-line block ×4, first 2 shown]
	s_waitcnt lgkmcnt(0)
	v_perm_b32 v49, v51, v49, s33
	v_perm_b32 v48, v50, v48, s33
	v_accvgpr_write_b32 a0, v44
	v_accvgpr_write_b32 a1, v45
	;; [unrolled: 1-line block ×4, first 2 shown]
	v_cvt_f32_f16_e32 v46, v26
	v_cvt_f32_f16_sdwa v47, v26 dst_sel:DWORD dst_unused:UNUSED_PAD src0_sel:WORD_1
	v_mfma_f32_16x16x16_f16 a[0:3], v[48:49], v[6:7], a[0:3]
	v_cvt_f32_f16_e32 v48, v23
	v_cvt_f32_f16_sdwa v49, v23 dst_sel:DWORD dst_unused:UNUSED_PAD src0_sel:WORD_1
	s_nop 4
	v_accvgpr_read_b32 v21, a0
	v_accvgpr_read_b32 v24, a1
	;; [unrolled: 1-line block ×4, first 2 shown]
	v_cvt_f16_f32_e32 v21, v21
	v_cvt_f16_f32_e32 v24, v24
	;; [unrolled: 1-line block ×4, first 2 shown]
	v_accvgpr_write_b32 a0, v46
	v_pack_b32_f16 v24, v21, v24
	v_accvgpr_write_b32 a1, v47
	v_pack_b32_f16 v21, v38, v44
	v_add_u32_e32 v44, v111, v101
	ds_read_u16 v38, v219 offset:256
	ds_read_u16 v44, v44 offset:528
	;; [unrolled: 1-line block ×4, first 2 shown]
	v_accvgpr_write_b32 a2, v48
	v_accvgpr_write_b32 a3, v49
	ds_read_u16 v48, v234 offset:16896
	s_waitcnt lgkmcnt(3)
	v_perm_b32 v44, v44, v38, s33
	s_waitcnt lgkmcnt(1)
	v_perm_b32 v45, v50, v45, s33
	s_nop 1
	v_mfma_f32_16x16x16_f16 a[0:3], v[44:45], v[18:19], a[0:3]
	s_nop 6
	v_accvgpr_read_b32 v44, a3
	v_cvt_f16_f32_e32 v47, v44
	v_add_u32_e32 v44, v211, v101
	v_accvgpr_read_b32 v23, a0
	ds_read_u16 v50, v44 offset:528
	ds_read_u16 v49, v235 offset:1056
	v_add_u32_e32 v44, v111, v102
	v_cvt_f16_f32_e32 v23, v23
	v_accvgpr_read_b32 v26, a1
	v_accvgpr_read_b32 v38, a2
	ds_read_u16 v51, v44 offset:16896
	v_cvt_f16_f32_e32 v26, v26
	v_cvt_f16_f32_e32 v38, v38
	v_cvt_f32_f16_e32 v44, v23
	v_cvt_f32_f16_e32 v47, v47
	v_cvt_f32_f16_e32 v45, v26
	v_cvt_f32_f16_e32 v46, v38
	s_waitcnt lgkmcnt(0)
	v_perm_b32 v49, v51, v49, s33
	v_perm_b32 v48, v50, v48, s33
	v_accvgpr_write_b32 a0, v44
	v_accvgpr_write_b32 a1, v45
	v_accvgpr_write_b32 a2, v46
	v_accvgpr_write_b32 a3, v47
	v_cvt_f32_f16_sdwa v45, v28 dst_sel:DWORD dst_unused:UNUSED_PAD src0_sel:WORD_1
	v_cvt_f32_f16_e32 v46, v25
	v_mfma_f32_16x16x16_f16 a[0:3], v[48:49], v[6:7], a[0:3]
	v_cvt_f32_f16_sdwa v47, v25 dst_sel:DWORD dst_unused:UNUSED_PAD src0_sel:WORD_1
	s_nop 5
	v_accvgpr_read_b32 v23, a0
	v_accvgpr_read_b32 v26, a1
	v_accvgpr_read_b32 v38, a2
	v_accvgpr_read_b32 v44, a3
	v_cvt_f16_f32_e32 v23, v23
	v_cvt_f16_f32_e32 v26, v26
	v_cvt_f16_f32_e32 v38, v38
	v_cvt_f16_f32_e32 v44, v44
	v_pack_b32_f16 v26, v23, v26
	v_pack_b32_f16 v23, v38, v44
	v_add_u32_e32 v44, v112, v101
	ds_read_u16 v38, v219 offset:288
	ds_read_u16 v48, v44 offset:528
	ds_read_u16 v49, v129 offset:1056
	ds_read_u16 v50, v39 offset:288
	v_cvt_f32_f16_e32 v44, v28
	s_waitcnt lgkmcnt(2)
	v_perm_b32 v48, v48, v38, s33
	s_waitcnt lgkmcnt(0)
	v_perm_b32 v49, v50, v49, s33
	v_accvgpr_write_b32 a0, v44
	v_accvgpr_write_b32 a1, v45
	v_accvgpr_write_b32 a2, v46
	v_accvgpr_write_b32 a3, v47
	s_nop 1
	v_mfma_f32_16x16x16_f16 a[0:3], v[48:49], v[18:19], a[0:3]
	ds_read_u16 v48, v236 offset:16896
	s_nop 5
	v_accvgpr_read_b32 v44, a3
	v_cvt_f16_f32_e32 v47, v44
	v_add_u32_e32 v44, v212, v101
	v_accvgpr_read_b32 v25, a0
	ds_read_u16 v50, v44 offset:528
	ds_read_u16 v49, v237 offset:1056
	v_add_u32_e32 v44, v112, v102
	v_cvt_f16_f32_e32 v25, v25
	v_accvgpr_read_b32 v28, a1
	v_accvgpr_read_b32 v38, a2
	ds_read_u16 v51, v44 offset:16896
	v_cvt_f16_f32_e32 v28, v28
	v_cvt_f16_f32_e32 v38, v38
	v_cvt_f32_f16_e32 v44, v25
	v_cvt_f32_f16_e32 v47, v47
	v_cvt_f32_f16_e32 v45, v28
	v_cvt_f32_f16_e32 v46, v38
	s_waitcnt lgkmcnt(0)
	v_perm_b32 v49, v51, v49, s33
	v_perm_b32 v48, v50, v48, s33
	v_accvgpr_write_b32 a0, v44
	v_accvgpr_write_b32 a1, v45
	v_accvgpr_write_b32 a2, v46
	v_accvgpr_write_b32 a3, v47
	v_cvt_f32_f16_sdwa v45, v30 dst_sel:DWORD dst_unused:UNUSED_PAD src0_sel:WORD_1
	v_cvt_f32_f16_e32 v46, v27
	v_mfma_f32_16x16x16_f16 a[0:3], v[48:49], v[6:7], a[0:3]
	v_cvt_f32_f16_sdwa v47, v27 dst_sel:DWORD dst_unused:UNUSED_PAD src0_sel:WORD_1
	s_nop 5
	v_accvgpr_read_b32 v25, a0
	v_accvgpr_read_b32 v28, a1
	v_accvgpr_read_b32 v38, a2
	v_accvgpr_read_b32 v44, a3
	v_cvt_f16_f32_e32 v25, v25
	v_cvt_f16_f32_e32 v28, v28
	v_cvt_f16_f32_e32 v38, v38
	v_cvt_f16_f32_e32 v44, v44
	v_pack_b32_f16 v28, v25, v28
	v_pack_b32_f16 v25, v38, v44
	v_add_u32_e32 v44, v113, v101
	ds_read_u16 v38, v219 offset:320
	ds_read_u16 v48, v44 offset:528
	ds_read_u16 v49, v193 offset:1056
	ds_read_u16 v50, v39 offset:320
	v_cvt_f32_f16_e32 v44, v30
	s_waitcnt lgkmcnt(2)
	v_perm_b32 v48, v48, v38, s33
	s_waitcnt lgkmcnt(0)
	v_perm_b32 v49, v50, v49, s33
	v_accvgpr_write_b32 a0, v44
	v_accvgpr_write_b32 a1, v45
	v_accvgpr_write_b32 a2, v46
	v_accvgpr_write_b32 a3, v47
	s_nop 1
	v_mfma_f32_16x16x16_f16 a[0:3], v[48:49], v[18:19], a[0:3]
	ds_read_u16 v48, v238 offset:16896
	s_nop 5
	v_accvgpr_read_b32 v44, a3
	v_cvt_f16_f32_e32 v47, v44
	v_add_u32_e32 v44, v213, v101
	v_accvgpr_read_b32 v27, a0
	ds_read_u16 v50, v44 offset:528
	ds_read_u16 v49, v239 offset:1056
	v_add_u32_e32 v44, v113, v102
	v_cvt_f16_f32_e32 v27, v27
	v_accvgpr_read_b32 v30, a1
	v_accvgpr_read_b32 v38, a2
	ds_read_u16 v51, v44 offset:16896
	v_cvt_f16_f32_e32 v30, v30
	v_cvt_f16_f32_e32 v38, v38
	v_cvt_f32_f16_e32 v44, v27
	v_cvt_f32_f16_e32 v47, v47
	v_cvt_f32_f16_e32 v45, v30
	v_cvt_f32_f16_e32 v46, v38
	s_waitcnt lgkmcnt(0)
	v_perm_b32 v49, v51, v49, s33
	v_perm_b32 v48, v50, v48, s33
	v_accvgpr_write_b32 a0, v44
	v_accvgpr_write_b32 a1, v45
	v_accvgpr_write_b32 a2, v46
	v_accvgpr_write_b32 a3, v47
	v_cvt_f32_f16_sdwa v45, v32 dst_sel:DWORD dst_unused:UNUSED_PAD src0_sel:WORD_1
	v_cvt_f32_f16_e32 v46, v29
	v_mfma_f32_16x16x16_f16 a[0:3], v[48:49], v[6:7], a[0:3]
	v_cvt_f32_f16_sdwa v47, v29 dst_sel:DWORD dst_unused:UNUSED_PAD src0_sel:WORD_1
	s_nop 5
	v_accvgpr_read_b32 v27, a0
	v_accvgpr_read_b32 v30, a1
	v_accvgpr_read_b32 v38, a2
	v_accvgpr_read_b32 v44, a3
	v_cvt_f16_f32_e32 v27, v27
	v_cvt_f16_f32_e32 v30, v30
	v_cvt_f16_f32_e32 v38, v38
	v_cvt_f16_f32_e32 v44, v44
	v_pack_b32_f16 v30, v27, v30
	v_pack_b32_f16 v27, v38, v44
	v_add_u32_e32 v44, v114, v101
	ds_read_u16 v38, v219 offset:352
	ds_read_u16 v48, v44 offset:528
	ds_read_u16 v49, v195 offset:1056
	ds_read_u16 v50, v39 offset:352
	v_cvt_f32_f16_e32 v44, v32
	s_waitcnt lgkmcnt(2)
	v_perm_b32 v48, v48, v38, s33
	s_waitcnt lgkmcnt(0)
	v_perm_b32 v49, v50, v49, s33
	v_accvgpr_write_b32 a0, v44
	v_accvgpr_write_b32 a1, v45
	v_accvgpr_write_b32 a2, v46
	v_accvgpr_write_b32 a3, v47
	s_nop 1
	v_mfma_f32_16x16x16_f16 a[0:3], v[48:49], v[18:19], a[0:3]
	ds_read_u16 v48, v240 offset:16896
	s_nop 5
	v_accvgpr_read_b32 v44, a3
	v_cvt_f16_f32_e32 v47, v44
	v_add_u32_e32 v44, v214, v101
	v_accvgpr_read_b32 v29, a0
	ds_read_u16 v50, v44 offset:528
	ds_read_u16 v49, v241 offset:1056
	v_add_u32_e32 v44, v114, v102
	v_cvt_f16_f32_e32 v29, v29
	v_accvgpr_read_b32 v32, a1
	v_accvgpr_read_b32 v38, a2
	ds_read_u16 v51, v44 offset:16896
	v_cvt_f16_f32_e32 v32, v32
	v_cvt_f16_f32_e32 v38, v38
	v_cvt_f32_f16_e32 v44, v29
	v_cvt_f32_f16_e32 v47, v47
	v_cvt_f32_f16_e32 v45, v32
	v_cvt_f32_f16_e32 v46, v38
	s_waitcnt lgkmcnt(0)
	v_perm_b32 v49, v51, v49, s33
	v_perm_b32 v48, v50, v48, s33
	v_accvgpr_write_b32 a0, v44
	v_accvgpr_write_b32 a1, v45
	v_accvgpr_write_b32 a2, v46
	v_accvgpr_write_b32 a3, v47
	v_cvt_f32_f16_sdwa v45, v34 dst_sel:DWORD dst_unused:UNUSED_PAD src0_sel:WORD_1
	v_cvt_f32_f16_e32 v46, v31
	v_mfma_f32_16x16x16_f16 a[0:3], v[48:49], v[6:7], a[0:3]
	v_cvt_f32_f16_sdwa v47, v31 dst_sel:DWORD dst_unused:UNUSED_PAD src0_sel:WORD_1
	s_nop 5
	v_accvgpr_read_b32 v29, a0
	v_accvgpr_read_b32 v32, a1
	v_accvgpr_read_b32 v38, a2
	v_accvgpr_read_b32 v44, a3
	v_cvt_f16_f32_e32 v29, v29
	v_cvt_f16_f32_e32 v32, v32
	v_cvt_f16_f32_e32 v38, v38
	v_cvt_f16_f32_e32 v44, v44
	v_pack_b32_f16 v32, v29, v32
	v_pack_b32_f16 v29, v38, v44
	v_add_u32_e32 v44, v115, v101
	ds_read_u16 v38, v219 offset:384
	ds_read_u16 v48, v44 offset:528
	ds_read_u16 v49, v253 offset:1056
	ds_read_u16 v50, v39 offset:384
	v_cvt_f32_f16_e32 v44, v34
	s_waitcnt lgkmcnt(2)
	v_perm_b32 v48, v48, v38, s33
	s_waitcnt lgkmcnt(0)
	v_perm_b32 v49, v50, v49, s33
	v_accvgpr_write_b32 a0, v44
	v_accvgpr_write_b32 a1, v45
	v_accvgpr_write_b32 a2, v46
	v_accvgpr_write_b32 a3, v47
	s_nop 1
	v_mfma_f32_16x16x16_f16 a[0:3], v[48:49], v[18:19], a[0:3]
	ds_read_u16 v48, v242 offset:16896
	s_nop 5
	v_accvgpr_read_b32 v44, a3
	v_cvt_f16_f32_e32 v47, v44
	v_add_u32_e32 v44, v192, v101
	v_accvgpr_read_b32 v31, a0
	ds_read_u16 v50, v44 offset:528
	ds_read_u16 v49, v243 offset:1056
	v_add_u32_e32 v44, v115, v102
	v_cvt_f16_f32_e32 v31, v31
	v_accvgpr_read_b32 v34, a1
	v_accvgpr_read_b32 v38, a2
	ds_read_u16 v51, v44 offset:16896
	v_cvt_f16_f32_e32 v34, v34
	v_cvt_f16_f32_e32 v38, v38
	v_cvt_f32_f16_e32 v44, v31
	v_cvt_f32_f16_e32 v47, v47
	v_cvt_f32_f16_e32 v45, v34
	v_cvt_f32_f16_e32 v46, v38
	s_waitcnt lgkmcnt(0)
	v_perm_b32 v49, v51, v49, s33
	v_perm_b32 v48, v50, v48, s33
	v_accvgpr_write_b32 a0, v44
	v_accvgpr_write_b32 a1, v45
	v_accvgpr_write_b32 a2, v46
	v_accvgpr_write_b32 a3, v47
	v_cvt_f32_f16_sdwa v45, v36 dst_sel:DWORD dst_unused:UNUSED_PAD src0_sel:WORD_1
	v_cvt_f32_f16_e32 v46, v33
	v_mfma_f32_16x16x16_f16 a[0:3], v[48:49], v[6:7], a[0:3]
	v_cvt_f32_f16_sdwa v47, v33 dst_sel:DWORD dst_unused:UNUSED_PAD src0_sel:WORD_1
	s_nop 5
	v_accvgpr_read_b32 v31, a0
	v_accvgpr_read_b32 v34, a1
	v_accvgpr_read_b32 v38, a2
	v_accvgpr_read_b32 v44, a3
	v_cvt_f16_f32_e32 v31, v31
	v_cvt_f16_f32_e32 v34, v34
	v_cvt_f16_f32_e32 v38, v38
	v_cvt_f16_f32_e32 v44, v44
	v_pack_b32_f16 v34, v31, v34
	v_pack_b32_f16 v31, v38, v44
	v_add_u32_e32 v44, v116, v101
	ds_read_u16 v38, v219 offset:416
	ds_read_u16 v48, v44 offset:528
	ds_read_u16 v49, v250 offset:1056
	ds_read_u16 v50, v39 offset:416
	v_cvt_f32_f16_e32 v44, v36
	s_waitcnt lgkmcnt(2)
	v_perm_b32 v48, v48, v38, s33
	s_waitcnt lgkmcnt(0)
	v_perm_b32 v49, v50, v49, s33
	v_accvgpr_write_b32 a0, v44
	v_accvgpr_write_b32 a1, v45
	v_accvgpr_write_b32 a2, v46
	v_accvgpr_write_b32 a3, v47
	s_nop 1
	v_mfma_f32_16x16x16_f16 a[0:3], v[48:49], v[18:19], a[0:3]
	ds_read_u16 v48, v244 offset:16896
	s_nop 5
	v_accvgpr_read_b32 v44, a3
	v_cvt_f16_f32_e32 v47, v44
	v_add_u32_e32 v44, v76, v101
	v_accvgpr_read_b32 v33, a0
	ds_read_u16 v50, v44 offset:528
	ds_read_u16 v49, v245 offset:1056
	v_add_u32_e32 v44, v116, v102
	v_cvt_f16_f32_e32 v33, v33
	v_accvgpr_read_b32 v36, a1
	v_accvgpr_read_b32 v38, a2
	ds_read_u16 v51, v44 offset:16896
	v_cvt_f16_f32_e32 v36, v36
	v_cvt_f16_f32_e32 v38, v38
	v_cvt_f32_f16_e32 v44, v33
	v_cvt_f32_f16_e32 v47, v47
	v_cvt_f32_f16_e32 v45, v36
	v_cvt_f32_f16_e32 v46, v38
	s_waitcnt lgkmcnt(0)
	v_perm_b32 v49, v51, v49, s33
	v_perm_b32 v48, v50, v48, s33
	v_accvgpr_write_b32 a0, v44
	v_accvgpr_write_b32 a1, v45
	v_accvgpr_write_b32 a2, v46
	v_accvgpr_write_b32 a3, v47
	v_cvt_f32_f16_sdwa v45, v43 dst_sel:DWORD dst_unused:UNUSED_PAD src0_sel:WORD_1
	v_cvt_f32_f16_e32 v46, v35
	v_mfma_f32_16x16x16_f16 a[0:3], v[48:49], v[6:7], a[0:3]
	v_cvt_f32_f16_sdwa v47, v35 dst_sel:DWORD dst_unused:UNUSED_PAD src0_sel:WORD_1
	s_nop 5
	v_accvgpr_read_b32 v33, a0
	v_accvgpr_read_b32 v36, a1
	v_accvgpr_read_b32 v38, a2
	v_accvgpr_read_b32 v44, a3
	v_cvt_f16_f32_e32 v33, v33
	v_cvt_f16_f32_e32 v36, v36
	v_cvt_f16_f32_e32 v38, v38
	v_cvt_f16_f32_e32 v44, v44
	v_pack_b32_f16 v36, v33, v36
	v_pack_b32_f16 v33, v38, v44
	v_add_u32_e32 v44, v117, v101
	ds_read_u16 v38, v219 offset:448
	ds_read_u16 v48, v44 offset:528
	ds_read_u16 v49, v95 offset:1056
	ds_read_u16 v50, v39 offset:448
	v_cvt_f32_f16_e32 v44, v43
	s_waitcnt lgkmcnt(2)
	v_perm_b32 v48, v48, v38, s33
	s_waitcnt lgkmcnt(0)
	v_perm_b32 v49, v50, v49, s33
	v_accvgpr_write_b32 a0, v44
	v_accvgpr_write_b32 a1, v45
	v_accvgpr_write_b32 a2, v46
	v_accvgpr_write_b32 a3, v47
	s_nop 1
	v_mfma_f32_16x16x16_f16 a[0:3], v[48:49], v[18:19], a[0:3]
	ds_read_u16 v48, v246 offset:16896
	s_nop 5
	v_accvgpr_read_b32 v44, a3
	v_cvt_f16_f32_e32 v47, v44
	v_add_u32_e32 v44, v55, v101
	v_accvgpr_read_b32 v35, a0
	ds_read_u16 v50, v44 offset:528
	ds_read_u16 v49, v247 offset:1056
	v_add_u32_e32 v44, v117, v102
	v_cvt_f16_f32_e32 v35, v35
	v_accvgpr_read_b32 v38, a1
	v_accvgpr_read_b32 v43, a2
	ds_read_u16 v51, v44 offset:16896
	v_cvt_f16_f32_e32 v38, v38
	v_cvt_f16_f32_e32 v43, v43
	v_cvt_f32_f16_e32 v44, v35
	v_cvt_f32_f16_e32 v47, v47
	;; [unrolled: 1-line block ×4, first 2 shown]
	s_waitcnt lgkmcnt(0)
	v_perm_b32 v49, v51, v49, s33
	v_perm_b32 v48, v50, v48, s33
	v_accvgpr_write_b32 a0, v44
	v_accvgpr_write_b32 a1, v45
	;; [unrolled: 1-line block ×4, first 2 shown]
	v_cvt_f32_f16_sdwa v45, v42 dst_sel:DWORD dst_unused:UNUSED_PAD src0_sel:WORD_1
	v_cvt_f32_f16_e32 v46, v41
	v_mfma_f32_16x16x16_f16 a[0:3], v[48:49], v[6:7], a[0:3]
	ds_read_u16 v48, v219 offset:480
	v_cvt_f32_f16_sdwa v47, v41 dst_sel:DWORD dst_unused:UNUSED_PAD src0_sel:WORD_1
	s_nop 4
	v_accvgpr_read_b32 v35, a0
	v_accvgpr_read_b32 v38, a1
	;; [unrolled: 1-line block ×4, first 2 shown]
	v_cvt_f16_f32_e32 v35, v35
	v_cvt_f16_f32_e32 v38, v38
	;; [unrolled: 1-line block ×4, first 2 shown]
	v_pack_b32_f16 v38, v35, v38
	v_pack_b32_f16 v35, v43, v44
	v_add_u32_e32 v43, v118, v101
	ds_read_u16 v49, v43 offset:528
	ds_read_u16 v43, v99 offset:1056
	;; [unrolled: 1-line block ×3, first 2 shown]
	v_cvt_f32_f16_e32 v44, v42
	s_waitcnt lgkmcnt(2)
	v_perm_b32 v42, v49, v48, s33
	s_waitcnt lgkmcnt(0)
	v_perm_b32 v43, v39, v43, s33
	v_accvgpr_write_b32 a0, v44
	v_accvgpr_write_b32 a1, v45
	;; [unrolled: 1-line block ×4, first 2 shown]
	v_add_u32_e32 v44, v118, v102
	s_nop 0
	v_mfma_f32_16x16x16_f16 a[0:3], v[42:43], v[18:19], a[0:3]
	v_add_u32_e32 v43, v218, v101
	s_nop 5
	v_accvgpr_read_b32 v18, a0
	v_cvt_f16_f32_e32 v19, v18
	v_accvgpr_read_b32 v18, a1
	v_cvt_f16_f32_e32 v39, v18
	;; [unrolled: 2-line block ×4, first 2 shown]
	ds_read_u16 v18, v248 offset:16896
	ds_read_u16 v43, v43 offset:528
	;; [unrolled: 1-line block ×4, first 2 shown]
	v_cvt_f32_f16_e32 v44, v19
	v_cvt_f32_f16_e32 v45, v39
	;; [unrolled: 1-line block ×4, first 2 shown]
	s_waitcnt lgkmcnt(0)
	v_perm_b32 v19, v49, v48, s33
	v_perm_b32 v18, v43, v18, s33
	v_accvgpr_write_b32 a0, v44
	v_accvgpr_write_b32 a1, v45
	;; [unrolled: 1-line block ×4, first 2 shown]
	s_barrier
	s_nop 0
	v_mfma_f32_16x16x16_f16 a[0:3], v[18:19], v[6:7], a[0:3]
	s_nop 6
	v_accvgpr_read_b32 v6, a0
	v_accvgpr_read_b32 v7, a1
	;; [unrolled: 1-line block ×4, first 2 shown]
	v_cvt_f16_f32_e32 v6, v6
	v_cvt_f16_f32_e32 v7, v7
	;; [unrolled: 1-line block ×4, first 2 shown]
	v_pack_b32_f16 v6, v6, v7
	v_pack_b32_f16 v7, v18, v19
	ds_bpermute_b32 v18, v37, v13
	s_waitcnt lgkmcnt(0)
	v_add_f32_e32 v13, v13, v18
	s_and_saveexec_b64 s[46:47], s[44:45]
	s_xor_b64 s[44:45], exec, s[46:47]
	s_or_saveexec_b64 s[44:45], s[44:45]
	s_mov_b32 s90, s68
	v_mov_b32_e32 v72, v215
	v_accvgpr_read_b32 v45, a13
	s_xor_b64 exec, exec, s[44:45]
	s_cbranch_execz .LBB30_151
; %bb.150:                              ;   in Loop: Header=BB30_16 Depth=1
	global_load_dword v19, v[216:217], off
	v_max_f32_e32 v39, v12, v12
	s_waitcnt vmcnt(0)
	v_max_f32_e32 v18, v19, v19
	v_max_f32_e32 v18, v39, v18
	v_sub_f32_e32 v12, v12, v18
	v_mul_f32_e32 v39, 0x3fb8aa3b, v12
	v_fma_f32 v40, v12, s97, -v39
	v_rndne_f32_e32 v41, v39
	v_fmac_f32_e32 v40, 0x32a5705f, v12
	v_sub_f32_e32 v39, v39, v41
	v_add_f32_e32 v39, v39, v40
	v_exp_f32_e32 v39, v39
	v_cvt_i32_f32_e32 v40, v41
	v_cmp_ngt_f32_e32 vcc, s43, v12
	v_sub_f32_e32 v19, v19, v18
	v_ldexp_f32 v39, v39, v40
	v_cndmask_b32_e32 v39, 0, v39, vcc
	v_cmp_nlt_f32_e32 vcc, s87, v12
	s_nop 1
	v_cndmask_b32_e32 v39, v132, v39, vcc
	v_cmp_le_f32_e32 vcc, s36, v12
	s_nop 1
	v_cndmask_b32_e32 v12, 0, v39, vcc
	v_cvt_f16_f32_e32 v39, v12
	v_cmp_ngt_f32_e32 vcc, s43, v19
	v_pk_mul_f16 v4, v39, v4 op_sel_hi:[0,1]
	v_pk_mul_f16 v1, v39, v1 op_sel_hi:[0,1]
	;; [unrolled: 1-line block ×32, first 2 shown]
	v_mul_f32_e32 v39, 0x3fb8aa3b, v19
	v_fma_f32 v40, v19, s97, -v39
	v_rndne_f32_e32 v41, v39
	v_fmac_f32_e32 v40, 0x32a5705f, v19
	v_sub_f32_e32 v39, v39, v41
	v_add_f32_e32 v39, v39, v40
	v_exp_f32_e32 v39, v39
	v_cvt_i32_f32_e32 v40, v41
	v_ldexp_f32 v39, v39, v40
	v_cndmask_b32_e32 v39, 0, v39, vcc
	v_cmp_nlt_f32_e32 vcc, s87, v19
	s_nop 1
	v_cndmask_b32_e32 v19, v132, v39, vcc
	v_fmac_f32_e32 v19, v13, v12
	v_mov_b64_e32 v[12:13], v[18:19]
.LBB30_151:                             ;   in Loop: Header=BB30_16 Depth=1
	s_or_b64 exec, exec, s[44:45]
	s_mov_b64 s[44:45], exec
	v_readlane_b32 s46, v255, 4
	v_readlane_b32 s47, v255, 5
	s_and_b64 s[46:47], s[44:45], s[46:47]
	s_mov_b64 exec, s[46:47]
	s_cbranch_execz .LBB30_153
; %bb.152:                              ;   in Loop: Header=BB30_16 Depth=1
	v_accvgpr_read_b32 v18, a90
	v_add_u32_e32 v18, 0, v18
	ds_write2_b32 v18, v12, v13 offset0:128 offset1:129
.LBB30_153:                             ;   in Loop: Header=BB30_16 Depth=1
	s_or_b64 exec, exec, s[44:45]
	s_waitcnt lgkmcnt(0)
	s_barrier
	s_mov_b64 s[44:45], exec
	v_readlane_b32 s46, v255, 2
	v_readlane_b32 s47, v255, 3
	s_and_b64 s[46:47], s[44:45], s[46:47]
	s_xor_b64 s[44:45], s[46:47], s[44:45]
	s_mov_b64 exec, s[46:47]
	s_cbranch_execz .LBB30_155
; %bb.154:                              ;   in Loop: Header=BB30_16 Depth=1
	s_barrier
	s_waitcnt lgkmcnt(0)
                                        ; implicit-def: $vgpr37
.LBB30_155:                             ;   in Loop: Header=BB30_16 Depth=1
	s_andn2_saveexec_b64 s[44:45], s[44:45]
	s_cbranch_execz .LBB30_161
; %bb.156:                              ;   in Loop: Header=BB30_16 Depth=1
	v_accvgpr_read_b32 v12, a91
	v_add_u32_e32 v13, 0, v12
	ds_read_b64 v[40:41], v13 offset:512
	s_waitcnt lgkmcnt(0)
	s_barrier
	ds_bpermute_b32 v12, v37, v40
	v_max_f32_e32 v18, v40, v40
	s_waitcnt lgkmcnt(0)
	v_max_f32_e32 v12, v12, v12
	v_max_f32_e32 v12, v18, v12
	v_sub_f32_e32 v18, v40, v12
	v_mul_f32_e32 v19, 0x3fb8aa3b, v18
	v_fma_f32 v39, v18, s97, -v19
	v_rndne_f32_e32 v40, v19
	v_fmac_f32_e32 v39, 0x32a5705f, v18
	v_sub_f32_e32 v19, v19, v40
	v_add_f32_e32 v19, v19, v39
	v_cvt_i32_f32_e32 v40, v40
	v_exp_f32_e32 v19, v19
	v_cmp_ngt_f32_e32 vcc, s43, v18
	v_ldexp_f32 v19, v19, v40
	s_nop 0
	v_cndmask_b32_e32 v19, 0, v19, vcc
	v_cmp_nlt_f32_e32 vcc, s87, v18
	s_nop 1
	v_cndmask_b32_e32 v18, v132, v19, vcc
	v_mul_f32_e32 v19, v41, v18
	ds_bpermute_b32 v19, v37, v19
	s_waitcnt lgkmcnt(0)
	v_fmac_f32_e32 v19, v41, v18
	s_mov_b64 s[46:47], exec
	v_readlane_b32 s48, v255, 6
	v_readlane_b32 s49, v255, 7
	s_and_b64 s[48:49], s[46:47], s[48:49]
	s_mov_b64 exec, s[48:49]
	s_cbranch_execz .LBB30_158
; %bb.157:                              ;   in Loop: Header=BB30_16 Depth=1
	ds_write_b64 v13, v[18:19] offset:512
.LBB30_158:                             ;   in Loop: Header=BB30_16 Depth=1
	s_or_b64 exec, exec, s[46:47]
	s_mov_b64 s[46:47], exec
	v_readlane_b32 s48, v255, 4
	v_readlane_b32 s49, v255, 5
	s_and_b64 s[48:49], s[46:47], s[48:49]
	s_mov_b64 exec, s[48:49]
	s_cbranch_execz .LBB30_160
; %bb.159:                              ;   in Loop: Header=BB30_16 Depth=1
	v_mov_b32_e32 v13, v19
	v_accvgpr_read_b32 v18, a92
	v_accvgpr_read_b32 v19, a93
	global_store_dwordx2 v[18:19], v[12:13], off
.LBB30_160:                             ;   in Loop: Header=BB30_16 Depth=1
	s_or_b64 exec, exec, s[46:47]
.LBB30_161:                             ;   in Loop: Header=BB30_16 Depth=1
	s_or_b64 exec, exec, s[44:45]
	ds_write2_b32 v137, v4, v1 offset1:1
	ds_write2_b32 v137, v8, v3 offset0:8 offset1:9
	ds_write2_b32 v137, v10, v5 offset0:16 offset1:17
	;; [unrolled: 1-line block ×15, first 2 shown]
	s_waitcnt lgkmcnt(0)
	s_barrier
	s_and_saveexec_b64 s[44:45], s[50:51]
	s_cbranch_execz .LBB30_239
; %bb.162:                              ;   in Loop: Header=BB30_16 Depth=1
	v_accvgpr_read_b32 v1, a32
	v_add_u32_e32 v1, v1, v72
	v_cmp_gt_i32_e32 vcc, s96, v1
	v_mov_b32_e32 v3, 0x47
	s_and_saveexec_b64 s[46:47], vcc
	s_cbranch_execz .LBB30_164
; %bb.163:                              ;   in Loop: Header=BB30_16 Depth=1
	v_accvgpr_read_b32 v3, a98
	v_add_u32_e32 v3, 0, v3
	ds_read2st64_b32 v[4:5], v3 offset0:2 offset1:35
	v_accvgpr_read_b32 v3, a97
	ds_read2st64_b32 v[6:7], v3 offset1:1
	ds_read_b32 v3, v3 offset:8448
	v_readlane_b32 s41, v254, 59
	v_accvgpr_read_b32 v10, a198
	v_accvgpr_read_b32 v11, a199
	v_mad_u64_u32 v[8:9], s[48:49], s41, v1, v[158:159]
	v_ashrrev_i32_e32 v9, 31, v8
	v_lshl_add_u64 v[8:9], v[8:9], 3, v[10:11]
	s_waitcnt lgkmcnt(1)
	v_cvt_f32_f16_sdwa v11, v6 dst_sel:DWORD dst_unused:UNUSED_PAD src0_sel:WORD_1
	v_cvt_f32_f16_e32 v10, v6
	s_waitcnt lgkmcnt(0)
	v_cvt_f32_f16_sdwa v13, v3 dst_sel:DWORD dst_unused:UNUSED_PAD src0_sel:WORD_1
	v_cvt_f32_f16_e32 v12, v3
	v_mov_b32_e32 v6, v5
	v_pk_fma_f32 v[10:11], v[4:5], v[10:11], 0 op_sel_hi:[0,1,0]
	v_accvgpr_read_b32 v1, a99
	v_pk_fma_f32 v[10:11], v[6:7], v[12:13], v[10:11] op_sel_hi:[0,1,1]
	ds_read_b32 v1, v1 offset:8448
	global_store_dwordx2 v[8:9], v[10:11], off
	v_cvt_f32_f16_sdwa v11, v7 dst_sel:DWORD dst_unused:UNUSED_PAD src0_sel:WORD_1
	v_cvt_f32_f16_e32 v10, v7
	v_mov_b32_e32 v3, 0
	v_pk_fma_f32 v[4:5], v[4:5], v[10:11], 0 op_sel_hi:[0,1,0]
	s_waitcnt lgkmcnt(0)
	v_cvt_f32_f16_sdwa v11, v1 dst_sel:DWORD dst_unused:UNUSED_PAD src0_sel:WORD_1
	v_cvt_f32_f16_e32 v10, v1
	v_pk_fma_f32 v[4:5], v[6:7], v[10:11], v[4:5] op_sel_hi:[0,1,1]
	global_store_dwordx2 v[8:9], v[4:5], off offset:512
.LBB30_164:                             ;   in Loop: Header=BB30_16 Depth=1
	s_or_b64 exec, exec, s[46:47]
	s_movk_i32 s41, 0x47
	v_cmp_gt_i32_e32 vcc, s41, v3
	s_mov_b64 s[46:47], -1
	s_and_saveexec_b64 s[48:49], vcc
; %bb.165:                              ;   in Loop: Header=BB30_16 Depth=1
	v_cmp_eq_u32_e32 vcc, 0, v3
	s_orn2_b64 s[46:47], vcc, exec
; %bb.166:                              ;   in Loop: Header=BB30_16 Depth=1
	s_or_b64 exec, exec, s[48:49]
	s_and_b64 exec, exec, s[46:47]
	s_cbranch_execz .LBB30_239
; %bb.167:                              ;   in Loop: Header=BB30_16 Depth=1
	v_accvgpr_read_b32 v1, a33
	v_add_u32_e32 v1, v1, v72
	v_cmp_gt_i32_e32 vcc, s96, v1
	v_mov_b32_e32 v3, 0x47
	s_and_saveexec_b64 s[46:47], vcc
	s_cbranch_execz .LBB30_169
; %bb.168:                              ;   in Loop: Header=BB30_16 Depth=1
	v_accvgpr_read_b32 v3, a101
	v_add_u32_e32 v3, 0, v3
	ds_read2st64_b32 v[4:5], v3 offset0:2 offset1:35
	v_accvgpr_read_b32 v3, a100
	ds_read2st64_b32 v[6:7], v3 offset1:1
	ds_read_b32 v3, v3 offset:8448
	v_readlane_b32 s41, v254, 59
	v_accvgpr_read_b32 v10, a198
	v_accvgpr_read_b32 v11, a199
	v_mad_u64_u32 v[8:9], s[48:49], s41, v1, v[158:159]
	v_ashrrev_i32_e32 v9, 31, v8
	v_lshl_add_u64 v[8:9], v[8:9], 3, v[10:11]
	s_waitcnt lgkmcnt(1)
	v_cvt_f32_f16_sdwa v11, v6 dst_sel:DWORD dst_unused:UNUSED_PAD src0_sel:WORD_1
	v_cvt_f32_f16_e32 v10, v6
	s_waitcnt lgkmcnt(0)
	v_cvt_f32_f16_sdwa v13, v3 dst_sel:DWORD dst_unused:UNUSED_PAD src0_sel:WORD_1
	v_cvt_f32_f16_e32 v12, v3
	v_mov_b32_e32 v6, v5
	v_pk_fma_f32 v[10:11], v[4:5], v[10:11], 0 op_sel_hi:[0,1,0]
	v_accvgpr_read_b32 v1, a102
	v_pk_fma_f32 v[10:11], v[6:7], v[12:13], v[10:11] op_sel_hi:[0,1,1]
	ds_read_b32 v1, v1 offset:8448
	global_store_dwordx2 v[8:9], v[10:11], off
	v_cvt_f32_f16_sdwa v11, v7 dst_sel:DWORD dst_unused:UNUSED_PAD src0_sel:WORD_1
	v_cvt_f32_f16_e32 v10, v7
	v_mov_b32_e32 v3, 0
	v_pk_fma_f32 v[4:5], v[4:5], v[10:11], 0 op_sel_hi:[0,1,0]
	s_waitcnt lgkmcnt(0)
	v_cvt_f32_f16_sdwa v11, v1 dst_sel:DWORD dst_unused:UNUSED_PAD src0_sel:WORD_1
	v_cvt_f32_f16_e32 v10, v1
	v_pk_fma_f32 v[4:5], v[6:7], v[10:11], v[4:5] op_sel_hi:[0,1,1]
	global_store_dwordx2 v[8:9], v[4:5], off offset:512
.LBB30_169:                             ;   in Loop: Header=BB30_16 Depth=1
	s_or_b64 exec, exec, s[46:47]
	s_movk_i32 s41, 0x47
	v_cmp_gt_i32_e32 vcc, s41, v3
	s_mov_b64 s[46:47], -1
	s_and_saveexec_b64 s[48:49], vcc
; %bb.170:                              ;   in Loop: Header=BB30_16 Depth=1
	v_cmp_eq_u32_e32 vcc, 0, v3
	s_orn2_b64 s[46:47], vcc, exec
; %bb.171:                              ;   in Loop: Header=BB30_16 Depth=1
	s_or_b64 exec, exec, s[48:49]
	s_and_b64 exec, exec, s[46:47]
	;; [unrolled: 54-line block ×15, first 2 shown]
	s_cbranch_execz .LBB30_239
; %bb.237:                              ;   in Loop: Header=BB30_16 Depth=1
	v_accvgpr_read_b32 v1, a46
	v_add_u32_e32 v1, v1, v72
	v_cmp_gt_i32_e32 vcc, s96, v1
	s_and_b64 exec, exec, vcc
	s_cbranch_execz .LBB30_239
; %bb.238:                              ;   in Loop: Header=BB30_16 Depth=1
	v_accvgpr_read_b32 v3, a142
	v_add_u32_e32 v3, 0, v3
	ds_read2st64_b32 v[4:5], v3 offset0:2 offset1:35
	v_accvgpr_read_b32 v3, a143
	ds_read2st64_b32 v[6:7], v3 offset1:1
	ds_read_b32 v3, v3 offset:8448
	v_readlane_b32 s41, v254, 59
	v_accvgpr_read_b32 v10, a198
	v_accvgpr_read_b32 v11, a199
	v_mad_u64_u32 v[8:9], s[46:47], s41, v1, v[158:159]
	v_ashrrev_i32_e32 v9, 31, v8
	v_lshl_add_u64 v[8:9], v[8:9], 3, v[10:11]
	s_waitcnt lgkmcnt(1)
	v_cvt_f32_f16_sdwa v11, v6 dst_sel:DWORD dst_unused:UNUSED_PAD src0_sel:WORD_1
	v_cvt_f32_f16_e32 v10, v6
	s_waitcnt lgkmcnt(0)
	v_cvt_f32_f16_sdwa v13, v3 dst_sel:DWORD dst_unused:UNUSED_PAD src0_sel:WORD_1
	v_cvt_f32_f16_e32 v12, v3
	v_mov_b32_e32 v6, v5
	v_pk_fma_f32 v[10:11], v[4:5], v[10:11], 0 op_sel_hi:[0,1,0]
	v_accvgpr_read_b32 v1, a144
	v_pk_fma_f32 v[10:11], v[6:7], v[12:13], v[10:11] op_sel_hi:[0,1,1]
	ds_read_b32 v1, v1 offset:8448
	global_store_dwordx2 v[8:9], v[10:11], off
	v_cvt_f32_f16_sdwa v11, v7 dst_sel:DWORD dst_unused:UNUSED_PAD src0_sel:WORD_1
	v_cvt_f32_f16_e32 v10, v7
	v_pk_fma_f32 v[4:5], v[4:5], v[10:11], 0 op_sel_hi:[0,1,0]
	s_waitcnt lgkmcnt(0)
	v_cvt_f32_f16_sdwa v11, v1 dst_sel:DWORD dst_unused:UNUSED_PAD src0_sel:WORD_1
	v_cvt_f32_f16_e32 v10, v1
	v_pk_fma_f32 v[4:5], v[6:7], v[10:11], v[4:5] op_sel_hi:[0,1,1]
	global_store_dwordx2 v[8:9], v[4:5], off offset:512
.LBB30_239:                             ;   in Loop: Header=BB30_16 Depth=1
	s_or_b64 exec, exec, s[44:45]
	s_barrier
	s_branch .LBB30_15
.LBB30_240:                             ;   in Loop: Header=BB30_16 Depth=1
	v_cmp_le_i32_e32 vcc, s96, v45
	s_and_saveexec_b64 s[44:45], vcc
	s_xor_b64 s[44:45], exec, s[44:45]
	s_cbranch_execz .LBB30_242
; %bb.241:                              ;   in Loop: Header=BB30_16 Depth=1
	ds_write2st64_b32 v162, v2, v2 offset1:1
.LBB30_242:                             ;   in Loop: Header=BB30_16 Depth=1
	s_andn2_saveexec_b64 s[44:45], s[44:45]
	s_cbranch_execz .LBB30_244
; %bb.243:                              ;   in Loop: Header=BB30_16 Depth=1
	v_mad_u64_u32 v[4:5], s[46:47], v45, s93, v[158:159]
	v_ashrrev_i32_e32 v5, 31, v4
	v_lshl_add_u64 v[4:5], v[4:5], 3, v[150:151]
	global_load_dwordx2 v[6:7], v[4:5], off
	s_waitcnt vmcnt(0)
	v_cvt_f16_f32_e32 v1, v6
	global_load_dwordx2 v[4:5], v[4:5], off offset:512
	v_cvt_f16_f32_e32 v3, v7
	v_pack_b32_f16 v1, v1, v3
	v_pk_mul_f16 v1, v196, v1
	s_waitcnt vmcnt(0)
	v_cvt_f16_f32_e32 v3, v4
	v_cvt_f16_f32_e32 v4, v5
	v_pack_b32_f16 v3, v3, v4
	v_pk_mul_f16 v3, v196, v3
	ds_write2st64_b32 v162, v1, v3 offset1:1
.LBB30_244:                             ;   in Loop: Header=BB30_16 Depth=1
	s_or_b64 exec, exec, s[44:45]
	v_add_u32_e32 v1, v154, v72
	v_cmp_le_i32_e32 vcc, s96, v1
	s_and_saveexec_b64 s[44:45], vcc
	s_xor_b64 s[44:45], exec, s[44:45]
	s_cbranch_execz .LBB30_246
; %bb.245:                              ;   in Loop: Header=BB30_16 Depth=1
	ds_write2st64_b32 v171, v2, v2 offset1:1
.LBB30_246:                             ;   in Loop: Header=BB30_16 Depth=1
	s_andn2_saveexec_b64 s[44:45], s[44:45]
	s_cbranch_execz .LBB30_248
; %bb.247:                              ;   in Loop: Header=BB30_16 Depth=1
	v_mad_u64_u32 v[4:5], s[46:47], v1, s93, v[158:159]
	v_ashrrev_i32_e32 v5, 31, v4
	v_lshl_add_u64 v[4:5], v[4:5], 3, v[150:151]
	global_load_dwordx2 v[6:7], v[4:5], off
	s_waitcnt vmcnt(0)
	v_cvt_f16_f32_e32 v3, v6
	global_load_dwordx2 v[4:5], v[4:5], off offset:512
	v_cvt_f16_f32_e32 v6, v7
	v_pack_b32_f16 v3, v3, v6
	v_pk_mul_f16 v3, v196, v3
	s_waitcnt vmcnt(0)
	v_cvt_f16_f32_e32 v4, v4
	v_cvt_f16_f32_e32 v5, v5
	v_pack_b32_f16 v4, v4, v5
	v_pk_mul_f16 v4, v196, v4
	ds_write2st64_b32 v171, v3, v4 offset1:1
.LBB30_248:                             ;   in Loop: Header=BB30_16 Depth=1
	s_or_b64 exec, exec, s[44:45]
	v_add_u32_e32 v92, v153, v72
	v_cmp_le_i32_e32 vcc, s96, v92
	s_and_saveexec_b64 s[44:45], vcc
	s_xor_b64 s[44:45], exec, s[44:45]
	s_cbranch_execz .LBB30_250
; %bb.249:                              ;   in Loop: Header=BB30_16 Depth=1
	v_add_u32_e32 v3, 64, v171
	ds_write2st64_b32 v3, v2, v2 offset0:8 offset1:9
.LBB30_250:                             ;   in Loop: Header=BB30_16 Depth=1
	s_andn2_saveexec_b64 s[44:45], s[44:45]
	s_cbranch_execz .LBB30_252
; %bb.251:                              ;   in Loop: Header=BB30_16 Depth=1
	v_mad_u64_u32 v[4:5], s[46:47], v92, s93, v[158:159]
	v_ashrrev_i32_e32 v5, 31, v4
	v_lshl_add_u64 v[4:5], v[4:5], 3, v[150:151]
	global_load_dwordx2 v[6:7], v[4:5], off
	s_waitcnt vmcnt(0)
	v_cvt_f16_f32_e32 v3, v6
	global_load_dwordx2 v[4:5], v[4:5], off offset:512
	v_cvt_f16_f32_e32 v6, v7
	v_pack_b32_f16 v3, v3, v6
	v_pk_mul_f16 v3, v196, v3
	s_waitcnt vmcnt(0)
	v_cvt_f16_f32_e32 v4, v4
	v_cvt_f16_f32_e32 v5, v5
	v_pack_b32_f16 v4, v4, v5
	v_pk_mul_f16 v4, v196, v4
	v_add_u32_e32 v5, 64, v171
	ds_write2st64_b32 v5, v3, v4 offset0:8 offset1:9
.LBB30_252:                             ;   in Loop: Header=BB30_16 Depth=1
	s_or_b64 exec, exec, s[44:45]
	v_add_u32_e32 v62, v152, v72
	v_cmp_le_i32_e32 vcc, s96, v62
	s_and_saveexec_b64 s[44:45], vcc
	s_xor_b64 s[44:45], exec, s[44:45]
	s_cbranch_execz .LBB30_254
; %bb.253:                              ;   in Loop: Header=BB30_16 Depth=1
	v_add_u32_e32 v3, 0x80, v171
	ds_write2st64_b32 v3, v2, v2 offset0:16 offset1:17
.LBB30_254:                             ;   in Loop: Header=BB30_16 Depth=1
	s_andn2_saveexec_b64 s[44:45], s[44:45]
	s_cbranch_execz .LBB30_256
; %bb.255:                              ;   in Loop: Header=BB30_16 Depth=1
	v_mad_u64_u32 v[4:5], s[46:47], v62, s93, v[158:159]
	v_ashrrev_i32_e32 v5, 31, v4
	v_lshl_add_u64 v[4:5], v[4:5], 3, v[150:151]
	global_load_dwordx2 v[6:7], v[4:5], off
	s_waitcnt vmcnt(0)
	v_cvt_f16_f32_e32 v3, v6
	global_load_dwordx2 v[4:5], v[4:5], off offset:512
	v_cvt_f16_f32_e32 v6, v7
	v_pack_b32_f16 v3, v3, v6
	v_pk_mul_f16 v3, v196, v3
	s_waitcnt vmcnt(0)
	v_cvt_f16_f32_e32 v4, v4
	v_cvt_f16_f32_e32 v5, v5
	v_pack_b32_f16 v4, v4, v5
	v_pk_mul_f16 v4, v196, v4
	v_add_u32_e32 v5, 0x80, v171
	ds_write2st64_b32 v5, v3, v4 offset0:16 offset1:17
.LBB30_256:                             ;   in Loop: Header=BB30_16 Depth=1
	;; [unrolled: 31-line block ×3, first 2 shown]
	s_or_b64 exec, exec, s[44:45]
	v_add_u32_e32 v63, v199, v72
	v_cmp_le_i32_e32 vcc, s96, v63
	s_and_saveexec_b64 s[44:45], vcc
	s_xor_b64 s[44:45], exec, s[44:45]
	s_cbranch_execz .LBB30_262
; %bb.261:                              ;   in Loop: Header=BB30_16 Depth=1
	ds_write2st64_b32 v171, v2, v2 offset0:33 offset1:34
.LBB30_262:                             ;   in Loop: Header=BB30_16 Depth=1
	s_andn2_saveexec_b64 s[44:45], s[44:45]
	s_cbranch_execz .LBB30_264
; %bb.263:                              ;   in Loop: Header=BB30_16 Depth=1
	v_mad_u64_u32 v[4:5], s[46:47], v63, s93, v[158:159]
	v_ashrrev_i32_e32 v5, 31, v4
	v_lshl_add_u64 v[4:5], v[4:5], 3, v[150:151]
	global_load_dwordx2 v[6:7], v[4:5], off
	s_waitcnt vmcnt(0)
	v_cvt_f16_f32_e32 v3, v6
	global_load_dwordx2 v[4:5], v[4:5], off offset:512
	v_cvt_f16_f32_e32 v6, v7
	v_pack_b32_f16 v3, v3, v6
	v_pk_mul_f16 v3, v196, v3
	s_waitcnt vmcnt(0)
	v_cvt_f16_f32_e32 v4, v4
	v_cvt_f16_f32_e32 v5, v5
	v_pack_b32_f16 v4, v4, v5
	v_pk_mul_f16 v4, v196, v4
	ds_write2st64_b32 v171, v3, v4 offset0:33 offset1:34
.LBB30_264:                             ;   in Loop: Header=BB30_16 Depth=1
	s_or_b64 exec, exec, s[44:45]
	v_add_u32_e32 v64, v198, v72
	v_cmp_le_i32_e32 vcc, s96, v64
	s_and_saveexec_b64 s[44:45], vcc
	s_xor_b64 s[44:45], exec, s[44:45]
	s_cbranch_execz .LBB30_266
; %bb.265:                              ;   in Loop: Header=BB30_16 Depth=1
	v_add_u32_e32 v3, 64, v171
	ds_write2st64_b32 v3, v2, v2 offset0:41 offset1:42
.LBB30_266:                             ;   in Loop: Header=BB30_16 Depth=1
	s_andn2_saveexec_b64 s[44:45], s[44:45]
	s_cbranch_execz .LBB30_268
; %bb.267:                              ;   in Loop: Header=BB30_16 Depth=1
	v_mad_u64_u32 v[4:5], s[46:47], v64, s93, v[158:159]
	v_ashrrev_i32_e32 v5, 31, v4
	v_lshl_add_u64 v[4:5], v[4:5], 3, v[150:151]
	global_load_dwordx2 v[6:7], v[4:5], off
	s_waitcnt vmcnt(0)
	v_cvt_f16_f32_e32 v3, v6
	global_load_dwordx2 v[4:5], v[4:5], off offset:512
	v_cvt_f16_f32_e32 v6, v7
	v_pack_b32_f16 v3, v3, v6
	v_pk_mul_f16 v3, v196, v3
	s_waitcnt vmcnt(0)
	v_cvt_f16_f32_e32 v4, v4
	v_cvt_f16_f32_e32 v5, v5
	v_pack_b32_f16 v4, v4, v5
	v_pk_mul_f16 v4, v196, v4
	v_add_u32_e32 v5, 64, v171
	ds_write2st64_b32 v5, v3, v4 offset0:41 offset1:42
.LBB30_268:                             ;   in Loop: Header=BB30_16 Depth=1
	s_or_b64 exec, exec, s[44:45]
	v_add_u32_e32 v65, v197, v72
	v_cmp_le_i32_e32 vcc, s96, v65
	s_and_saveexec_b64 s[44:45], vcc
	s_xor_b64 s[44:45], exec, s[44:45]
	s_cbranch_execz .LBB30_270
; %bb.269:                              ;   in Loop: Header=BB30_16 Depth=1
	v_add_u32_e32 v3, 0x80, v171
	ds_write2st64_b32 v3, v2, v2 offset0:49 offset1:50
                                        ; implicit-def: $vgpr150_vgpr151
.LBB30_270:                             ;   in Loop: Header=BB30_16 Depth=1
	s_andn2_saveexec_b64 s[44:45], s[44:45]
	s_cbranch_execz .LBB30_272
; %bb.271:                              ;   in Loop: Header=BB30_16 Depth=1
	v_mad_u64_u32 v[4:5], s[46:47], v65, s93, v[158:159]
	v_ashrrev_i32_e32 v5, 31, v4
	v_lshl_add_u64 v[4:5], v[4:5], 3, v[150:151]
	global_load_dwordx2 v[6:7], v[4:5], off
	s_nop 0
	global_load_dwordx2 v[4:5], v[4:5], off offset:512
	s_waitcnt vmcnt(1)
	v_cvt_f16_f32_e32 v3, v6
	v_cvt_f16_f32_e32 v6, v7
	s_waitcnt vmcnt(0)
	v_cvt_f16_f32_e32 v4, v4
	v_cvt_f16_f32_e32 v5, v5
	v_pack_b32_f16 v3, v3, v6
	v_pk_mul_f16 v3, v196, v3
	v_pack_b32_f16 v4, v4, v5
	v_pk_mul_f16 v4, v196, v4
	v_add_u32_e32 v5, 0x80, v171
	ds_write2st64_b32 v5, v3, v4 offset0:49 offset1:50
.LBB30_272:                             ;   in Loop: Header=BB30_16 Depth=1
	s_or_b64 exec, exec, s[44:45]
	s_waitcnt lgkmcnt(0)
	s_barrier
	ds_read2_b64 v[34:37], v157 offset1:4
	ds_read2_b64 v[30:33], v157 offset0:8 offset1:12
	ds_read2_b64 v[26:29], v157 offset0:16 offset1:20
	;; [unrolled: 1-line block ×7, first 2 shown]
	v_cmp_gt_i32_e32 vcc, 2, v77
	v_accvgpr_write_b32 a17, v201
	v_accvgpr_write_b32 a16, v199
	;; [unrolled: 1-line block ×5, first 2 shown]
	s_and_b64 vcc, exec, vcc
	v_mov_b32_e32 v66, 0
	v_cmp_ne_u64_e64 s[44:45], 0, v[138:139]
	s_waitcnt lgkmcnt(0)
	s_barrier
	s_cbranch_vccnz .LBB30_318
; %bb.273:                              ;   in Loop: Header=BB30_16 Depth=1
	v_readlane_b32 s46, v254, 10
	v_readlane_b32 s47, v254, 11
	v_xor_b32_e32 v5, 32, v170
	v_mul_hi_u32 v4, s46, v1
	v_add_u32_e32 v4, v1, v4
	v_lshrrev_b32_e32 v4, s47, v4
	v_mul_lo_u32 v4, v4, s96
	v_sub_u32_e32 v38, v1, v4
	v_mul_hi_u32 v4, s46, v92
	v_add_u32_e32 v4, v92, v4
	v_lshrrev_b32_e32 v4, s47, v4
	v_mul_lo_u32 v4, v4, s96
	v_sub_u32_e32 v39, v92, v4
	;; [unrolled: 5-line block ×7, first 2 shown]
	v_and_b32_e32 v4, 64, v170
	v_add_u32_e32 v4, 64, v4
	v_cmp_lt_i32_e32 vcc, v5, v4
	v_accvgpr_read_b32 v46, a166
	v_accvgpr_read_b32 v47, a167
	v_cndmask_b32_e32 v5, v170, v5, vcc
	v_lshlrev_b32_e32 v70, 2, v5
	v_xor_b32_e32 v5, 16, v170
	v_cmp_lt_i32_e32 vcc, v5, v4
	v_mul_hi_u32 v3, s46, v45
	v_add_u32_e32 v3, v45, v3
	v_cndmask_b32_e32 v4, v170, v5, vcc
	v_lshlrev_b32_e32 v71, 2, v4
	v_lshl_add_u64 v[4:5], v[142:143], 0, v[144:145]
	v_lshl_add_u64 v[142:143], v[46:47], 0, v[4:5]
	v_accvgpr_read_b32 v46, a168
	v_accvgpr_read_b32 v47, a169
	v_lshl_add_u64 v[144:145], v[46:47], 0, v[4:5]
	v_accvgpr_read_b32 v46, a170
	v_accvgpr_read_b32 v47, a171
	;; [unrolled: 3-line block ×7, first 2 shown]
	v_lshl_add_u64 v[162:163], v[46:47], 0, v[4:5]
	v_accvgpr_read_b32 v46, a182
	v_lshl_add_u64 v[4:5], v[146:147], 0, v[148:149]
	v_accvgpr_read_b32 v47, a183
	;; [unrolled: 2-line block ×3, first 2 shown]
	v_accvgpr_read_b32 v47, a185
	v_lshl_add_u64 v[148:149], v[46:47], 0, v[4:5]
	v_accvgpr_read_b32 v46, a186
	v_accvgpr_read_b32 v47, a187
	v_lshl_add_u64 v[164:165], v[46:47], 0, v[4:5]
	v_accvgpr_read_b32 v46, a188
	;; [unrolled: 3-line block ×5, first 2 shown]
	v_lshrrev_b32_e32 v3, s47, v3
	v_accvgpr_read_b32 v47, a195
	v_mul_lo_u32 v3, v3, s96
	v_lshl_add_u64 v[172:173], v[46:47], 0, v[4:5]
	v_accvgpr_read_b32 v46, a196
	v_readlane_b32 s46, v255, 8
	v_accvgpr_write_b32 a202, v216
	v_add_u32_e32 v77, -1, v77
	v_sub_u32_e32 v3, v45, v3
	v_accvgpr_read_b32 v47, a197
	v_readlane_b32 s47, v255, 9
	s_mov_b32 s48, s46
	v_accvgpr_write_b32 a203, v217
	v_accvgpr_write_b32 a200, v72
	;; [unrolled: 1-line block ×3, first 2 shown]
	v_mov_b32_e32 v198, 0
	v_mov_b32_e32 v150, v136
	;; [unrolled: 1-line block ×3, first 2 shown]
	v_lshl_add_u64 v[174:175], v[46:47], 0, v[4:5]
	v_mad_i64_i32 v[176:177], s[46:47], s48, v40, v[138:139]
	v_mad_i64_i32 v[178:179], s[46:47], s48, v39, v[138:139]
	;; [unrolled: 1-line block ×8, first 2 shown]
	v_mov_b32_e32 v194, 0
	v_mov_b32_e32 v72, 0xfeffffff
	v_accvgpr_write_b32 a204, v77
	v_mov_b32_e32 v199, 0
	v_mov_b32_e32 v197, 0
	;; [unrolled: 1-line block ×31, first 2 shown]
	s_andn2_b64 vcc, exec, s[44:45]
	s_cbranch_vccnz .LBB30_279
.LBB30_274:                             ;   in Loop: Header=BB30_16 Depth=1
                                        ; implicit-def: $sgpr41
	s_and_saveexec_b64 s[46:47], s[0:1]
	s_xor_b64 s[46:47], exec, s[46:47]
	s_cbranch_execz .LBB30_276
; %bb.275:                              ;   in Loop: Header=BB30_16 Depth=1
	v_accvgpr_read_b32 v3, a51
	ds_write_b16 v3, v2 offset:33792
	v_accvgpr_read_b32 v3, a146
	ds_write_b16 v3, v2 offset:33792
	;; [unrolled: 2-line block ×4, first 2 shown]
	s_mov_b32 s41, 0
.LBB30_276:                             ;   in Loop: Header=BB30_16 Depth=1
	s_or_saveexec_b64 s[46:47], s[46:47]
	v_mov_b32_e32 v3, s41
	v_mov_b32_e32 v4, s41
	;; [unrolled: 1-line block ×4, first 2 shown]
	s_xor_b64 exec, exec, s[46:47]
	s_cbranch_execz .LBB30_278
; %bb.277:                              ;   in Loop: Header=BB30_16 Depth=1
	v_lshl_add_u64 v[4:5], v[182:183], 0, v[60:61]
	flat_load_ushort v3, v[4:5]
	v_lshl_add_u64 v[4:5], v[180:181], 0, v[60:61]
	flat_load_ushort v38, v[4:5]
	;; [unrolled: 2-line block ×4, first 2 shown]
	v_accvgpr_read_b32 v5, a51
	s_waitcnt vmcnt(0) lgkmcnt(0)
	ds_write_b16 v5, v3 offset:33792
	v_accvgpr_read_b32 v3, a146
	ds_write_b16 v3, v38 offset:33792
	v_accvgpr_read_b32 v3, a147
	;; [unrolled: 2-line block ×3, first 2 shown]
	ds_write_b16 v3, v4 offset:33792
	v_lshl_add_u64 v[4:5], v[190:191], 0, v[60:61]
	flat_load_ushort v3, v[4:5]
	v_lshl_add_u64 v[4:5], v[188:189], 0, v[60:61]
	v_lshl_add_u64 v[38:39], v[186:187], 0, v[60:61]
	flat_load_ushort v4, v[4:5]
	s_nop 0
	flat_load_ushort v5, v[38:39]
	v_lshl_add_u64 v[38:39], v[184:185], 0, v[60:61]
	flat_load_ushort v38, v[38:39]
.LBB30_278:                             ;   in Loop: Header=BB30_16 Depth=1
	s_or_b64 exec, exec, s[46:47]
	v_accvgpr_read_b32 v39, a149
	s_waitcnt vmcnt(0) lgkmcnt(0)
	ds_write_b16 v39, v3 offset:33792
	v_accvgpr_read_b32 v3, a150
	ds_write_b16 v3, v4 offset:33792
	v_accvgpr_read_b32 v3, a151
	;; [unrolled: 2-line block ×3, first 2 shown]
	ds_write_b16 v3, v38 offset:33792
.LBB30_279:                             ;   Parent Loop BB30_16 Depth=1
                                        ; =>  This Inner Loop Header: Depth=2
	v_mov_b32_e32 v3, v2
	v_mov_b32_e32 v4, v2
	;; [unrolled: 1-line block ×3, first 2 shown]
	scratch_store_dwordx4 off, v[2:5], off
	v_mov_b32_e32 v42, s80
	s_nop 0
	v_lshl_add_u64 v[4:5], v[146:147], 0, v[96:97]
	v_mov_b32_e32 v3, s81
	v_cndmask_b32_e64 v5, v3, v5, s[38:39]
	v_cndmask_b32_e64 v4, v42, v4, s[38:39]
	flat_load_dwordx4 v[38:41], v[4:5]
	v_lshl_add_u64 v[4:5], v[148:149], 0, v[96:97]
	v_cndmask_b32_e64 v5, v3, v5, s[4:5]
	v_cndmask_b32_e64 v4, v42, v4, s[4:5]
	s_waitcnt vmcnt(0) lgkmcnt(0)
	ds_write_b128 v202, v[38:41]
	flat_load_dwordx4 v[38:41], v[4:5]
	v_lshl_add_u64 v[4:5], v[164:165], 0, v[96:97]
	v_cndmask_b32_e64 v5, v3, v5, s[6:7]
	v_cndmask_b32_e64 v4, v42, v4, s[6:7]
	s_waitcnt vmcnt(0) lgkmcnt(0)
	ds_write_b128 v200, v[38:41]
	flat_load_dwordx4 v[38:41], v[4:5]
	v_lshl_add_u64 v[4:5], v[166:167], 0, v[96:97]
	v_cndmask_b32_e64 v5, v3, v5, s[8:9]
	v_cndmask_b32_e64 v4, v42, v4, s[8:9]
	s_waitcnt vmcnt(0) lgkmcnt(0)
	ds_write_b128 v130, v[38:41]
	flat_load_dwordx4 v[38:41], v[4:5]
	v_lshl_add_u64 v[4:5], v[168:169], 0, v[96:97]
	v_cndmask_b32_e64 v5, v3, v5, s[10:11]
	v_cndmask_b32_e64 v4, v42, v4, s[10:11]
	s_waitcnt vmcnt(0) lgkmcnt(0)
	ds_write_b128 v131, v[38:41]
	flat_load_dwordx4 v[38:41], v[4:5]
	v_lshl_add_u64 v[4:5], v[170:171], 0, v[96:97]
	v_cndmask_b32_e64 v5, v3, v5, s[12:13]
	v_cndmask_b32_e64 v4, v42, v4, s[12:13]
	s_waitcnt vmcnt(0) lgkmcnt(0)
	ds_write_b128 v54, v[38:41]
	flat_load_dwordx4 v[38:41], v[4:5]
	v_lshl_add_u64 v[4:5], v[172:173], 0, v[96:97]
	v_cndmask_b32_e64 v5, v3, v5, s[14:15]
	v_cndmask_b32_e64 v4, v42, v4, s[14:15]
	s_waitcnt vmcnt(0) lgkmcnt(0)
	ds_write_b128 v56, v[38:41]
	flat_load_dwordx4 v[38:41], v[4:5]
	v_lshl_add_u64 v[4:5], v[174:175], 0, v[96:97]
	v_cndmask_b32_e64 v5, v3, v5, s[16:17]
	v_cndmask_b32_e64 v4, v42, v4, s[16:17]
	v_add_u32_e32 v3, 0x4000, v251
	s_waitcnt vmcnt(0) lgkmcnt(0)
	ds_write_b128 v0, v[38:41]
	flat_load_dwordx4 v[38:41], v[4:5]
                                        ; implicit-def: $vgpr4
	s_waitcnt vmcnt(0) lgkmcnt(0)
	ds_write_b128 v252, v[38:41]
	s_waitcnt lgkmcnt(0)
	s_barrier
	ds_read2_b64 v[38:41], v251 offset1:4
	s_waitcnt lgkmcnt(0)
	v_mfma_f32_16x16x16_f16 a[0:3], v[38:39], v[34:35], 0
	v_mfma_f32_16x16x16_f16 a[0:3], v[40:41], v[36:37], a[0:3]
	ds_read2_b64 v[38:41], v251 offset0:8 offset1:12
	s_waitcnt lgkmcnt(0)
	v_mfma_f32_16x16x16_f16 a[0:3], v[38:39], v[30:31], a[0:3]
	v_mfma_f32_16x16x16_f16 a[0:3], v[40:41], v[32:33], a[0:3]
	ds_read2_b64 v[38:41], v251 offset0:16 offset1:20
	;; [unrolled: 4-line block ×15, first 2 shown]
	v_accvgpr_read_b32 v3, a0
	v_cmp_nlt_f32_e64 s[46:47], |v3|, s94
	s_waitcnt lgkmcnt(0)
	v_mfma_f32_16x16x16_f16 a[4:7], v[38:39], v[6:7], a[4:7]
	s_barrier
	v_mfma_f32_16x16x16_f16 a[4:7], v[40:41], v[8:9], a[4:7]
	s_and_saveexec_b64 s[48:49], s[46:47]
	s_xor_b64 s[46:47], exec, s[48:49]
	s_cbranch_execz .LBB30_281
; %bb.280:                              ;   in Loop: Header=BB30_279 Depth=2
	v_add_f32_e64 v4, |v3|, |v3|
	v_mul_f32_e32 v5, 0x3fb8aa3b, v4
	v_rndne_f32_e32 v38, v5
	v_sub_f32_e32 v39, v5, v38
	v_fma_f32 v5, v4, s97, -v5
	v_fmac_f32_e32 v5, 0x32a5705f, v4
	v_add_f32_e32 v5, v39, v5
	v_cvt_i32_f32_e32 v38, v38
	v_exp_f32_e32 v5, v5
	v_cmp_ngt_f32_e32 vcc, s43, v4
	v_ldexp_f32 v5, v5, v38
	s_nop 0
	v_cndmask_b32_e32 v5, 0, v5, vcc
	v_cmp_nlt_f32_e32 vcc, s87, v4
	s_nop 1
	v_cndmask_b32_e32 v4, v132, v5, vcc
	v_add_f32_e32 v4, 1.0, v4
	v_rcp_f32_e32 v4, v4
	s_nop 0
	v_fma_f32 v4, v4, -2.0, 1.0
.LBB30_281:                             ;   in Loop: Header=BB30_279 Depth=2
	s_andn2_saveexec_b64 s[46:47], s[46:47]
; %bb.282:                              ;   in Loop: Header=BB30_279 Depth=2
	v_mul_f32_e32 v4, v3, v3
	v_fmamk_f32 v5, v4, 0xbbbac73d, v58
	v_fmaak_f32 v5, v4, v5, 0xbd5c1c4e
	v_fmaak_f32 v5, v4, v5, 0x3e088382
	;; [unrolled: 1-line block ×3, first 2 shown]
	v_mul_f32_e64 v5, |v3|, v5
	v_fma_f32 v4, v4, v5, |v3|
; %bb.283:                              ;   in Loop: Header=BB30_279 Depth=2
	s_or_b64 exec, exec, s[46:47]
	v_accvgpr_read_b32 v41, a3
	v_accvgpr_read_b32 v39, a1
	v_accvgpr_read_b32 v40, a2
	v_cmp_nlt_f32_e64 s[46:47], |v39|, s94
	v_accvgpr_read_b32 v38, a0
                                        ; implicit-def: $vgpr5
	s_and_saveexec_b64 s[48:49], s[46:47]
	s_xor_b64 s[46:47], exec, s[48:49]
	s_cbranch_execz .LBB30_285
; %bb.284:                              ;   in Loop: Header=BB30_279 Depth=2
	v_add_f32_e64 v5, |v39|, |v39|
	v_mul_f32_e32 v38, 0x3fb8aa3b, v5
	v_rndne_f32_e32 v42, v38
	v_sub_f32_e32 v43, v38, v42
	v_fma_f32 v38, v5, s97, -v38
	v_fmac_f32_e32 v38, 0x32a5705f, v5
	v_add_f32_e32 v38, v43, v38
	v_cvt_i32_f32_e32 v42, v42
	v_exp_f32_e32 v38, v38
	v_cmp_ngt_f32_e32 vcc, s43, v5
	v_ldexp_f32 v38, v38, v42
	s_nop 0
	v_cndmask_b32_e32 v38, 0, v38, vcc
	v_cmp_nlt_f32_e32 vcc, s87, v5
	s_nop 1
	v_cndmask_b32_e32 v5, v132, v38, vcc
	v_add_f32_e32 v5, 1.0, v5
	v_rcp_f32_e32 v5, v5
	s_nop 0
	v_fma_f32 v5, v5, -2.0, 1.0
.LBB30_285:                             ;   in Loop: Header=BB30_279 Depth=2
	s_andn2_saveexec_b64 s[46:47], s[46:47]
; %bb.286:                              ;   in Loop: Header=BB30_279 Depth=2
	v_mul_f32_e32 v5, v39, v39
	v_fmamk_f32 v38, v5, 0xbbbac73d, v58
	v_fmaak_f32 v38, v5, v38, 0xbd5c1c4e
	v_fmaak_f32 v38, v5, v38, 0x3e088382
	;; [unrolled: 1-line block ×3, first 2 shown]
	v_mul_f32_e64 v38, |v39|, v38
	v_fma_f32 v5, v5, v38, |v39|
; %bb.287:                              ;   in Loop: Header=BB30_279 Depth=2
	s_or_b64 exec, exec, s[46:47]
	v_cmp_nlt_f32_e64 s[46:47], |v40|, s94
                                        ; implicit-def: $vgpr38
	s_and_saveexec_b64 s[48:49], s[46:47]
	s_xor_b64 s[46:47], exec, s[48:49]
	s_cbranch_execz .LBB30_289
; %bb.288:                              ;   in Loop: Header=BB30_279 Depth=2
	v_add_f32_e64 v38, |v40|, |v40|
	v_mul_f32_e32 v42, 0x3fb8aa3b, v38
	v_rndne_f32_e32 v43, v42
	v_sub_f32_e32 v44, v42, v43
	v_fma_f32 v42, v38, s97, -v42
	v_fmac_f32_e32 v42, 0x32a5705f, v38
	v_add_f32_e32 v42, v44, v42
	v_cvt_i32_f32_e32 v43, v43
	v_exp_f32_e32 v42, v42
	v_cmp_ngt_f32_e32 vcc, s43, v38
	v_ldexp_f32 v42, v42, v43
	s_nop 0
	v_cndmask_b32_e32 v42, 0, v42, vcc
	v_cmp_nlt_f32_e32 vcc, s87, v38
	s_nop 1
	v_cndmask_b32_e32 v38, v132, v42, vcc
	v_add_f32_e32 v38, 1.0, v38
	v_rcp_f32_e32 v38, v38
	s_nop 0
	v_fma_f32 v38, v38, -2.0, 1.0
.LBB30_289:                             ;   in Loop: Header=BB30_279 Depth=2
	s_andn2_saveexec_b64 s[46:47], s[46:47]
; %bb.290:                              ;   in Loop: Header=BB30_279 Depth=2
	v_mul_f32_e32 v38, v40, v40
	v_fmamk_f32 v42, v38, 0xbbbac73d, v58
	v_fmaak_f32 v42, v38, v42, 0xbd5c1c4e
	v_fmaak_f32 v42, v38, v42, 0x3e088382
	v_fmaak_f32 v42, v38, v42, 0xbeaaaa99
	v_mul_f32_e64 v42, |v40|, v42
	v_fma_f32 v38, v38, v42, |v40|
; %bb.291:                              ;   in Loop: Header=BB30_279 Depth=2
	s_or_b64 exec, exec, s[46:47]
	v_cmp_nlt_f32_e64 s[46:47], |v41|, s94
                                        ; implicit-def: $vgpr46
	s_and_saveexec_b64 s[48:49], s[46:47]
	s_xor_b64 s[46:47], exec, s[48:49]
	s_cbranch_execz .LBB30_293
; %bb.292:                              ;   in Loop: Header=BB30_279 Depth=2
	v_add_f32_e64 v42, |v41|, |v41|
	v_mul_f32_e32 v43, 0x3fb8aa3b, v42
	v_rndne_f32_e32 v44, v43
	v_sub_f32_e32 v45, v43, v44
	v_fma_f32 v43, v42, s97, -v43
	v_fmac_f32_e32 v43, 0x32a5705f, v42
	v_add_f32_e32 v43, v45, v43
	v_cvt_i32_f32_e32 v44, v44
	v_exp_f32_e32 v43, v43
	v_cmp_ngt_f32_e32 vcc, s43, v42
	v_ldexp_f32 v43, v43, v44
	s_nop 0
	v_cndmask_b32_e32 v43, 0, v43, vcc
	v_cmp_nlt_f32_e32 vcc, s87, v42
	s_nop 1
	v_cndmask_b32_e32 v42, v132, v43, vcc
	v_add_f32_e32 v42, 1.0, v42
	v_rcp_f32_e32 v42, v42
	s_nop 0
	v_fma_f32 v46, v42, -2.0, 1.0
.LBB30_293:                             ;   in Loop: Header=BB30_279 Depth=2
	s_andn2_saveexec_b64 s[46:47], s[46:47]
; %bb.294:                              ;   in Loop: Header=BB30_279 Depth=2
	v_mul_f32_e32 v42, v41, v41
	v_fmamk_f32 v43, v42, 0xbbbac73d, v58
	v_fmaak_f32 v43, v42, v43, 0xbd5c1c4e
	v_fmaak_f32 v43, v42, v43, 0x3e088382
	;; [unrolled: 1-line block ×3, first 2 shown]
	v_mul_f32_e64 v43, |v41|, v43
	v_fma_f32 v46, v42, v43, |v41|
; %bb.295:                              ;   in Loop: Header=BB30_279 Depth=2
	s_or_b64 exec, exec, s[46:47]
	v_accvgpr_read_b32 v45, a7
	v_accvgpr_read_b32 v42, a4
	;; [unrolled: 1-line block ×4, first 2 shown]
	v_cmp_nlt_f32_e64 s[46:47], |v42|, s94
                                        ; implicit-def: $vgpr47
	s_and_saveexec_b64 s[48:49], s[46:47]
	s_xor_b64 s[46:47], exec, s[48:49]
	s_cbranch_execz .LBB30_297
; %bb.296:                              ;   in Loop: Header=BB30_279 Depth=2
	v_add_f32_e64 v47, |v42|, |v42|
	v_mul_f32_e32 v48, 0x3fb8aa3b, v47
	v_rndne_f32_e32 v49, v48
	v_sub_f32_e32 v50, v48, v49
	v_fma_f32 v48, v47, s97, -v48
	v_fmac_f32_e32 v48, 0x32a5705f, v47
	v_add_f32_e32 v48, v50, v48
	v_cvt_i32_f32_e32 v49, v49
	v_exp_f32_e32 v48, v48
	v_cmp_ngt_f32_e32 vcc, s43, v47
	v_ldexp_f32 v48, v48, v49
	s_nop 0
	v_cndmask_b32_e32 v48, 0, v48, vcc
	v_cmp_nlt_f32_e32 vcc, s87, v47
	s_nop 1
	v_cndmask_b32_e32 v47, v132, v48, vcc
	v_add_f32_e32 v47, 1.0, v47
	v_rcp_f32_e32 v47, v47
	s_nop 0
	v_fma_f32 v47, v47, -2.0, 1.0
.LBB30_297:                             ;   in Loop: Header=BB30_279 Depth=2
	s_andn2_saveexec_b64 s[46:47], s[46:47]
; %bb.298:                              ;   in Loop: Header=BB30_279 Depth=2
	v_mul_f32_e32 v47, v42, v42
	v_fmamk_f32 v48, v47, 0xbbbac73d, v58
	v_fmaak_f32 v48, v47, v48, 0xbd5c1c4e
	v_fmaak_f32 v48, v47, v48, 0x3e088382
	;; [unrolled: 1-line block ×3, first 2 shown]
	v_mul_f32_e64 v48, |v42|, v48
	v_fma_f32 v47, v47, v48, |v42|
; %bb.299:                              ;   in Loop: Header=BB30_279 Depth=2
	s_or_b64 exec, exec, s[46:47]
	v_cmp_nlt_f32_e64 s[46:47], |v43|, s94
                                        ; implicit-def: $vgpr48
	s_and_saveexec_b64 s[48:49], s[46:47]
	s_xor_b64 s[46:47], exec, s[48:49]
	s_cbranch_execz .LBB30_301
; %bb.300:                              ;   in Loop: Header=BB30_279 Depth=2
	v_add_f32_e64 v48, |v43|, |v43|
	v_mul_f32_e32 v49, 0x3fb8aa3b, v48
	v_rndne_f32_e32 v50, v49
	v_sub_f32_e32 v51, v49, v50
	v_fma_f32 v49, v48, s97, -v49
	v_fmac_f32_e32 v49, 0x32a5705f, v48
	v_add_f32_e32 v49, v51, v49
	v_cvt_i32_f32_e32 v50, v50
	v_exp_f32_e32 v49, v49
	v_cmp_ngt_f32_e32 vcc, s43, v48
	v_ldexp_f32 v49, v49, v50
	s_nop 0
	v_cndmask_b32_e32 v49, 0, v49, vcc
	v_cmp_nlt_f32_e32 vcc, s87, v48
	s_nop 1
	v_cndmask_b32_e32 v48, v132, v49, vcc
	v_add_f32_e32 v48, 1.0, v48
	v_rcp_f32_e32 v48, v48
	s_nop 0
	v_fma_f32 v48, v48, -2.0, 1.0
.LBB30_301:                             ;   in Loop: Header=BB30_279 Depth=2
	s_andn2_saveexec_b64 s[46:47], s[46:47]
; %bb.302:                              ;   in Loop: Header=BB30_279 Depth=2
	v_mul_f32_e32 v48, v43, v43
	v_fmamk_f32 v49, v48, 0xbbbac73d, v58
	v_fmaak_f32 v49, v48, v49, 0xbd5c1c4e
	v_fmaak_f32 v49, v48, v49, 0x3e088382
	;; [unrolled: 1-line block ×3, first 2 shown]
	v_mul_f32_e64 v49, |v43|, v49
	v_fma_f32 v48, v48, v49, |v43|
; %bb.303:                              ;   in Loop: Header=BB30_279 Depth=2
	s_or_b64 exec, exec, s[46:47]
	v_cmp_nlt_f32_e64 s[46:47], |v44|, s94
                                        ; implicit-def: $vgpr49
	s_and_saveexec_b64 s[48:49], s[46:47]
	s_xor_b64 s[46:47], exec, s[48:49]
	s_cbranch_execz .LBB30_305
; %bb.304:                              ;   in Loop: Header=BB30_279 Depth=2
	v_add_f32_e64 v49, |v44|, |v44|
	v_mul_f32_e32 v50, 0x3fb8aa3b, v49
	v_rndne_f32_e32 v51, v50
	v_sub_f32_e32 v52, v50, v51
	v_fma_f32 v50, v49, s97, -v50
	v_fmac_f32_e32 v50, 0x32a5705f, v49
	v_add_f32_e32 v50, v52, v50
	v_cvt_i32_f32_e32 v51, v51
	v_exp_f32_e32 v50, v50
	v_cmp_ngt_f32_e32 vcc, s43, v49
	v_ldexp_f32 v50, v50, v51
	s_nop 0
	v_cndmask_b32_e32 v50, 0, v50, vcc
	v_cmp_nlt_f32_e32 vcc, s87, v49
	s_nop 1
	v_cndmask_b32_e32 v49, v132, v50, vcc
	v_add_f32_e32 v49, 1.0, v49
	v_rcp_f32_e32 v49, v49
	s_nop 0
	v_fma_f32 v49, v49, -2.0, 1.0
.LBB30_305:                             ;   in Loop: Header=BB30_279 Depth=2
	s_andn2_saveexec_b64 s[46:47], s[46:47]
; %bb.306:                              ;   in Loop: Header=BB30_279 Depth=2
	v_mul_f32_e32 v49, v44, v44
	v_fmamk_f32 v50, v49, 0xbbbac73d, v58
	v_fmaak_f32 v50, v49, v50, 0xbd5c1c4e
	v_fmaak_f32 v50, v49, v50, 0x3e088382
	;; [unrolled: 1-line block ×3, first 2 shown]
	v_mul_f32_e64 v50, |v44|, v50
	v_fma_f32 v49, v49, v50, |v44|
; %bb.307:                              ;   in Loop: Header=BB30_279 Depth=2
	s_or_b64 exec, exec, s[46:47]
	v_cmp_nlt_f32_e64 s[46:47], |v45|, s94
                                        ; implicit-def: $vgpr137
	s_and_saveexec_b64 s[48:49], s[46:47]
	s_xor_b64 s[46:47], exec, s[48:49]
	s_cbranch_execz .LBB30_309
; %bb.308:                              ;   in Loop: Header=BB30_279 Depth=2
	v_add_f32_e64 v50, |v45|, |v45|
	v_mul_f32_e32 v51, 0x3fb8aa3b, v50
	v_rndne_f32_e32 v52, v51
	v_sub_f32_e32 v53, v51, v52
	v_fma_f32 v51, v50, s97, -v51
	v_fmac_f32_e32 v51, 0x32a5705f, v50
	v_add_f32_e32 v51, v53, v51
	v_cvt_i32_f32_e32 v52, v52
	v_exp_f32_e32 v51, v51
	v_cmp_ngt_f32_e32 vcc, s43, v50
	v_ldexp_f32 v51, v51, v52
	s_nop 0
	v_cndmask_b32_e32 v51, 0, v51, vcc
	v_cmp_nlt_f32_e32 vcc, s87, v50
	s_nop 1
	v_cndmask_b32_e32 v50, v132, v51, vcc
	v_add_f32_e32 v50, 1.0, v50
	v_rcp_f32_e32 v50, v50
	s_nop 0
	v_fma_f32 v137, v50, -2.0, 1.0
.LBB30_309:                             ;   in Loop: Header=BB30_279 Depth=2
	s_andn2_saveexec_b64 s[46:47], s[46:47]
; %bb.310:                              ;   in Loop: Header=BB30_279 Depth=2
	v_mul_f32_e32 v50, v45, v45
	v_fmamk_f32 v51, v50, 0xbbbac73d, v58
	v_fmaak_f32 v51, v50, v51, 0xbd5c1c4e
	v_fmaak_f32 v51, v50, v51, 0x3e088382
	;; [unrolled: 1-line block ×3, first 2 shown]
	v_mul_f32_e64 v51, |v45|, v51
	v_fma_f32 v137, v50, v51, |v45|
; %bb.311:                              ;   in Loop: Header=BB30_279 Depth=2
	s_or_b64 exec, exec, s[46:47]
	v_bfi_b32 v3, s86, v4, v3
	v_mul_f32_e32 v50, s3, v3
	v_bfi_b32 v3, s86, v5, v39
	v_mul_f32_e32 v51, s3, v3
	;; [unrolled: 2-line block ×3, first 2 shown]
	v_bfi_b32 v3, s86, v46, v41
	v_bfi_b32 v42, s86, v47, v42
	;; [unrolled: 1-line block ×4, first 2 shown]
	v_mul_f32_e32 v53, s3, v3
	v_bfi_b32 v3, s86, v137, v45
	v_accvgpr_write_b32 a5, v205
	v_accvgpr_write_b32 a4, v204
	v_mul_f32_e32 v42, s3, v42
	v_mul_f32_e32 v43, s3, v43
	;; [unrolled: 1-line block ×4, first 2 shown]
	s_and_b64 vcc, exec, s[44:45]
	s_cbranch_vccz .LBB30_313
; %bb.312:                              ;   in Loop: Header=BB30_279 Depth=2
	v_accvgpr_read_b32 v3, a69
	v_add_u32_e32 v3, 0x8400, v3
	ds_read2_b32 v[4:5], v3 offset1:1
	v_accvgpr_read_b32 v3, a71
	v_accvgpr_read_b32 v38, a73
	ds_read_b32 v3, v3 offset:33792
	ds_read_b32 v40, v38 offset:33792
	s_waitcnt lgkmcnt(2)
	v_cvt_f32_f16_e32 v38, v4
	v_cvt_f32_f16_sdwa v39, v4 dst_sel:DWORD dst_unused:UNUSED_PAD src0_sel:WORD_1
	v_cvt_f32_f16_e32 v4, v5
	v_cvt_f32_f16_sdwa v5, v5 dst_sel:DWORD dst_unused:UNUSED_PAD src0_sel:WORD_1
	s_waitcnt lgkmcnt(1)
	v_cvt_f32_f16_sdwa v205, v3 dst_sel:DWORD dst_unused:UNUSED_PAD src0_sel:WORD_1
	s_waitcnt lgkmcnt(0)
	v_cvt_f32_f16_sdwa v41, v40 dst_sel:DWORD dst_unused:UNUSED_PAD src0_sel:WORD_1
	v_cvt_f32_f16_e32 v40, v40
	v_cvt_f32_f16_e32 v204, v3
	v_mov_b32_e32 v137, v136
	v_pk_fma_f32 v[48:49], v[136:137], v[4:5], v[52:53]
	v_pk_fma_f32 v[46:47], v[150:151], v[38:39], v[50:51]
	;; [unrolled: 1-line block ×4, first 2 shown]
	s_mov_b64 s[46:47], 0
	s_branch .LBB30_314
.LBB30_313:                             ;   in Loop: Header=BB30_279 Depth=2
	s_mov_b64 s[46:47], -1
                                        ; implicit-def: $vgpr46_vgpr47_vgpr48_vgpr49
                                        ; implicit-def: $vgpr38_vgpr39_vgpr40_vgpr41
.LBB30_314:                             ;   in Loop: Header=BB30_279 Depth=2
	v_accvgpr_write_b32 a31, v214
	v_accvgpr_write_b32 a30, v213
	;; [unrolled: 1-line block ×9, first 2 shown]
	s_andn2_b64 vcc, exec, s[46:47]
	s_cbranch_vccnz .LBB30_316
; %bb.315:                              ;   in Loop: Header=BB30_279 Depth=2
	v_mov_b64_e32 v[38:39], v[42:43]
	v_mov_b64_e32 v[46:47], v[50:51]
	;; [unrolled: 1-line block ×4, first 2 shown]
.LBB30_316:                             ;   in Loop: Header=BB30_279 Depth=2
	v_add_f32_e32 v3, 0x40051340, v46
	v_max_f32_e32 v4, v72, v72
	v_max_f32_e32 v3, v4, v3
	v_cndmask_b32_e64 v3, v72, v3, s[18:19]
	v_add_f32_e32 v4, 0x40051340, v47
	v_max_f32_e32 v5, v3, v3
	v_max_f32_e32 v4, v5, v4
	v_cndmask_b32_e64 v3, v3, v4, s[20:21]
	;; [unrolled: 4-line block ×8, first 2 shown]
	ds_bpermute_b32 v4, v70, v3
	v_max_f32_e32 v3, v3, v3
	v_cndmask_b32_e64 v45, v49, v49, s[20:21]
	v_cndmask_b32_e64 v39, v39, v39, s[26:27]
	v_cndmask_b32_e64 v40, v40, v40, s[26:27]
	s_waitcnt lgkmcnt(0)
	v_max_f32_e32 v4, v4, v4
	v_max_f32_e32 v3, v3, v4
	ds_bpermute_b32 v4, v71, v3
	v_cndmask_b32_e64 v41, v41, v41, s[26:27]
	v_add_u32_e32 v77, -1, v77
	v_lshl_add_u64 v[146:147], v[146:147], 0, s[84:85]
	v_lshl_add_u64 v[148:149], v[148:149], 0, s[84:85]
	s_waitcnt lgkmcnt(0)
	v_max_f32_e32 v4, v4, v4
	v_max_f32_e32 v42, v3, v4
	v_sub_f32_e32 v3, v46, v42
	v_mul_f32_e32 v4, 0x3fb8aa3b, v3
	v_fma_f32 v5, v3, s97, -v4
	v_rndne_f32_e32 v43, v4
	v_fmac_f32_e32 v5, 0x32a5705f, v3
	v_sub_f32_e32 v4, v4, v43
	v_add_f32_e32 v4, v4, v5
	v_exp_f32_e32 v4, v4
	v_cvt_i32_f32_e32 v5, v43
	v_cmp_ngt_f32_e32 vcc, s43, v3
	v_sub_f32_e32 v38, v38, v42
	v_lshl_add_u64 v[164:165], v[164:165], 0, s[84:85]
	v_ldexp_f32 v4, v4, v5
	v_cndmask_b32_e32 v4, 0, v4, vcc
	v_cmp_nlt_f32_e32 vcc, s87, v3
	v_lshl_add_u64 v[166:167], v[166:167], 0, s[84:85]
	v_lshl_add_u64 v[168:169], v[168:169], 0, s[84:85]
	v_cndmask_b32_e32 v3, v132, v4, vcc
	v_cndmask_b32_e64 v4, 0, v3, s[18:19]
	v_sub_f32_e32 v3, v47, v42
	v_mul_f32_e32 v5, 0x3fb8aa3b, v3
	v_fma_f32 v43, v3, s97, -v5
	v_rndne_f32_e32 v44, v5
	v_fmac_f32_e32 v43, 0x32a5705f, v3
	v_sub_f32_e32 v5, v5, v44
	v_add_f32_e32 v5, v5, v43
	v_exp_f32_e32 v5, v5
	v_cvt_i32_f32_e32 v43, v44
	v_cmp_ngt_f32_e32 vcc, s43, v3
	v_cndmask_b32_e64 v44, v48, v48, s[20:21]
	v_lshl_add_u64 v[170:171], v[170:171], 0, s[84:85]
	v_ldexp_f32 v5, v5, v43
	v_cndmask_b32_e32 v5, 0, v5, vcc
	v_cmp_nlt_f32_e32 vcc, s87, v3
	v_mov_b32_e32 v3, s37
	v_lshl_add_u64 v[172:173], v[172:173], 0, s[84:85]
	v_cndmask_b32_e32 v5, v132, v5, vcc
	v_add_f32_e32 v43, v5, v4
	v_cndmask_b32_e64 v5, v3, v5, s[20:21]
	v_cndmask_b32_e64 v3, v4, v43, s[20:21]
	v_sub_f32_e32 v43, v44, v42
	v_mul_f32_e32 v44, 0x3fb8aa3b, v43
	v_fma_f32 v46, v43, s97, -v44
	v_rndne_f32_e32 v47, v44
	v_fmac_f32_e32 v46, 0x32a5705f, v43
	v_sub_f32_e32 v44, v44, v47
	v_add_f32_e32 v44, v44, v46
	v_exp_f32_e32 v44, v44
	v_cvt_i32_f32_e32 v46, v47
	v_cmp_ngt_f32_e32 vcc, s43, v43
	v_cvt_f16_f32_e32 v4, v4
	v_cvt_f16_f32_e32 v5, v5
	v_ldexp_f32 v44, v44, v46
	v_cndmask_b32_e32 v44, 0, v44, vcc
	v_cmp_nlt_f32_e32 vcc, s87, v43
	v_lshl_add_u64 v[174:175], v[174:175], 0, s[84:85]
	v_lshl_add_u64 v[176:177], v[176:177], 0, s[88:89]
	v_cndmask_b32_e32 v43, v132, v44, vcc
	v_add_f32_e32 v46, v3, v43
	v_mov_b32_e32 v44, s37
	v_cndmask_b32_e64 v137, v44, v43, s[22:23]
	v_cndmask_b32_e64 v43, v3, v46, s[22:23]
	v_sub_f32_e32 v3, v45, v42
	v_mul_f32_e32 v44, 0x3fb8aa3b, v3
	v_fma_f32 v45, v3, s97, -v44
	v_rndne_f32_e32 v46, v44
	v_fmac_f32_e32 v45, 0x32a5705f, v3
	v_sub_f32_e32 v44, v44, v46
	v_add_f32_e32 v44, v44, v45
	v_exp_f32_e32 v44, v44
	v_cvt_i32_f32_e32 v45, v46
	v_cmp_ngt_f32_e32 vcc, s43, v3
	v_lshl_add_u64 v[178:179], v[178:179], 0, s[88:89]
	v_lshl_add_u64 v[180:181], v[180:181], 0, s[88:89]
	v_ldexp_f32 v44, v44, v45
	v_cndmask_b32_e32 v44, 0, v44, vcc
	v_cmp_nlt_f32_e32 vcc, s87, v3
	v_mov_b32_e32 v3, s37
	v_lshl_add_u64 v[182:183], v[182:183], 0, s[88:89]
	v_cndmask_b32_e32 v44, v132, v44, vcc
	v_add_f32_e32 v45, v43, v44
	v_cndmask_b32_e64 v204, v3, v44, s[24:25]
	v_cndmask_b32_e64 v3, v43, v45, s[24:25]
	v_mul_f32_e32 v43, 0x3fb8aa3b, v38
	v_fma_f32 v44, v38, s97, -v43
	v_rndne_f32_e32 v45, v43
	v_fmac_f32_e32 v44, 0x32a5705f, v38
	v_sub_f32_e32 v43, v43, v45
	v_add_f32_e32 v43, v43, v44
	v_exp_f32_e32 v43, v43
	v_cvt_i32_f32_e32 v44, v45
	v_cmp_ngt_f32_e32 vcc, s43, v38
	v_lshl_add_u64 v[184:185], v[184:185], 0, s[88:89]
	v_lshl_add_u64 v[186:187], v[186:187], 0, s[88:89]
	v_ldexp_f32 v43, v43, v44
	v_cndmask_b32_e32 v43, 0, v43, vcc
	v_cmp_nlt_f32_e32 vcc, s87, v38
	v_mov_b32_e32 v38, s37
	v_lshl_add_u64 v[188:189], v[188:189], 0, s[88:89]
	v_cndmask_b32_e32 v43, v132, v43, vcc
	v_add_f32_e32 v44, v43, v3
	v_cndmask_b32_e64 v205, v38, v43, s[26:27]
	v_cndmask_b32_e64 v38, v3, v44, s[26:27]
	v_sub_f32_e32 v3, v39, v42
	v_mul_f32_e32 v39, 0x3fb8aa3b, v3
	v_fma_f32 v43, v3, s97, -v39
	v_rndne_f32_e32 v44, v39
	v_fmac_f32_e32 v43, 0x32a5705f, v3
	v_sub_f32_e32 v39, v39, v44
	v_add_f32_e32 v39, v39, v43
	v_exp_f32_e32 v39, v39
	v_cvt_i32_f32_e32 v43, v44
	v_cmp_ngt_f32_e32 vcc, s43, v3
	v_lshl_add_u64 v[190:191], v[190:191], 0, s[88:89]
	v_ldexp_f32 v39, v39, v43
	v_cndmask_b32_e32 v39, 0, v39, vcc
	v_cmp_nlt_f32_e32 vcc, s87, v3
	v_mov_b32_e32 v3, s37
	s_nop 0
	v_cndmask_b32_e32 v39, v132, v39, vcc
	v_add_f32_e32 v43, v39, v38
	v_cndmask_b32_e64 v39, v3, v39, s[28:29]
	v_cndmask_b32_e64 v3, v38, v43, s[28:29]
	v_sub_f32_e32 v38, v40, v42
	v_mul_f32_e32 v40, 0x3fb8aa3b, v38
	v_fma_f32 v43, v38, s97, -v40
	v_rndne_f32_e32 v44, v40
	v_fmac_f32_e32 v43, 0x32a5705f, v38
	v_sub_f32_e32 v40, v40, v44
	v_add_f32_e32 v40, v40, v43
	v_exp_f32_e32 v40, v40
	v_cvt_i32_f32_e32 v43, v44
	v_cmp_ngt_f32_e32 vcc, s43, v38
	v_ldexp_f32 v40, v40, v43
	s_nop 0
	v_cndmask_b32_e32 v40, 0, v40, vcc
	v_cmp_nlt_f32_e32 vcc, s87, v38
	v_mov_b32_e32 v38, s37
	s_nop 0
	v_cndmask_b32_e32 v40, v132, v40, vcc
	v_add_f32_e32 v43, v40, v3
	v_cndmask_b32_e64 v206, v38, v40, s[30:31]
	v_cndmask_b32_e64 v38, v3, v43, s[30:31]
	v_sub_f32_e32 v3, v41, v42
	v_mul_f32_e32 v40, 0x3fb8aa3b, v3
	v_fma_f32 v41, v3, s97, -v40
	v_rndne_f32_e32 v43, v40
	v_fmac_f32_e32 v41, 0x32a5705f, v3
	v_sub_f32_e32 v40, v40, v43
	v_add_f32_e32 v40, v40, v41
	v_exp_f32_e32 v40, v40
	v_cvt_i32_f32_e32 v41, v43
	v_cmp_ngt_f32_e32 vcc, s43, v3
	v_ldexp_f32 v40, v40, v41
	s_nop 0
	v_cndmask_b32_e32 v40, 0, v40, vcc
	v_cmp_nlt_f32_e32 vcc, s87, v3
	v_mov_b32_e32 v3, s37
	s_nop 0
	v_cndmask_b32_e32 v40, v132, v40, vcc
	v_add_f32_e32 v41, v40, v38
	v_cndmask_b32_e64 v43, v38, v41, s[34:35]
	v_sub_f32_e32 v38, v72, v42
	v_cndmask_b32_e64 v3, v3, v40, s[34:35]
	v_mul_f32_e32 v40, 0x3fb8aa3b, v38
	v_fma_f32 v41, v38, s97, -v40
	v_rndne_f32_e32 v44, v40
	v_fmac_f32_e32 v41, 0x32a5705f, v38
	v_sub_f32_e32 v40, v40, v44
	v_add_f32_e32 v40, v40, v41
	v_exp_f32_e32 v40, v40
	v_cvt_i32_f32_e32 v41, v44
	v_cmp_ngt_f32_e32 vcc, s43, v38
	v_cvt_f16_f32_e32 v3, v3
	v_ldexp_f32 v40, v40, v41
	v_cndmask_b32_e32 v40, 0, v40, vcc
	v_cmp_nlt_f32_e32 vcc, s87, v38
	s_nop 1
	v_cndmask_b32_e32 v40, v132, v40, vcc
	v_cmp_le_f32_e32 vcc, s36, v38
	s_nop 1
	v_cndmask_b32_e32 v38, 0, v40, vcc
	v_pack_b32_f16 v40, v4, v5
	v_cvt_f16_f32_e32 v4, v137
	v_cvt_f16_f32_e32 v5, v204
	v_fmac_f32_e32 v43, v194, v38
	v_cvt_f16_f32_e32 v38, v38
	v_cmp_ne_u32_e32 vcc, 0, v77
	v_pack_b32_f16 v41, v4, v5
	v_cvt_f16_f32_e32 v4, v205
	v_cvt_f16_f32_e32 v5, v39
	v_pk_mul_f16 v67, v38, v67 op_sel_hi:[0,1]
	v_pk_mul_f16 v66, v38, v66 op_sel_hi:[0,1]
	;; [unrolled: 1-line block ×32, first 2 shown]
	v_pack_b32_f16 v38, v4, v5
	v_cvt_f16_f32_e32 v4, v206
	v_mov_b32_e32 v57, s80
	v_add_u32_e32 v94, v103, v101
	s_and_b64 vcc, exec, vcc
	v_pack_b32_f16 v39, v4, v3
	v_lshl_add_u64 v[4:5], v[142:143], 0, v[96:97]
	v_mov_b32_e32 v3, s81
	v_cndmask_b32_e64 v197, v3, v5, s[38:39]
	v_cndmask_b32_e64 v196, v57, v4, s[38:39]
	v_lshl_add_u64 v[4:5], v[144:145], 0, v[96:97]
	v_cndmask_b32_e64 v205, v3, v5, s[4:5]
	v_cndmask_b32_e64 v204, v57, v4, s[4:5]
	v_lshl_add_u64 v[4:5], v[152:153], 0, v[96:97]
	;; [unrolled: 3-line block ×7, first 2 shown]
	v_cndmask_b32_e64 v217, v3, v5, s[16:17]
	v_cndmask_b32_e64 v216, v57, v4, s[16:17]
	v_mov_b32_e32 v3, v2
	v_mov_b32_e32 v4, v2
	;; [unrolled: 1-line block ×3, first 2 shown]
	scratch_store_dwordx4 off, v[2:5], off
	flat_load_dwordx4 v[196:199], v[196:197]
	v_lshl_add_u64 v[142:143], v[142:143], 0, s[82:83]
	v_add_u32_e32 v3, v203, v101
	v_lshl_add_u64 v[144:145], v[144:145], 0, s[82:83]
	v_lshl_add_u64 v[152:153], v[152:153], 0, s[82:83]
	;; [unrolled: 1-line block ×7, first 2 shown]
	s_waitcnt vmcnt(0) lgkmcnt(0)
	ds_write_b128 v202, v[196:199]
	flat_load_dwordx4 v[196:199], v[204:205]
	v_accvgpr_read_b32 v204, a4
	v_accvgpr_read_b32 v205, a5
	s_waitcnt vmcnt(0) lgkmcnt(0)
	ds_write_b128 v200, v[196:199]
	flat_load_dwordx4 v[196:199], v[206:207]
	v_accvgpr_read_b32 v206, a6
	v_accvgpr_read_b32 v207, a7
	;; [unrolled: 5-line block ×5, first 2 shown]
	s_waitcnt vmcnt(0) lgkmcnt(0)
	ds_write_b128 v56, v[196:199]
	flat_load_dwordx4 v[196:199], v[214:215]
	v_accvgpr_read_b32 v214, a31
	s_waitcnt vmcnt(0) lgkmcnt(0)
	ds_write_b128 v0, v[196:199]
	flat_load_dwordx4 v[196:199], v[216:217]
	s_waitcnt vmcnt(0) lgkmcnt(0)
	ds_write_b128 v252, v[196:199]
	s_waitcnt lgkmcnt(0)
	s_barrier
	ds_read_u16 v4, v3 offset:528
	ds_read_u16 v5, v119 offset:1056
	v_add_u32_e32 v3, v203, v102
	ds_read_u16 v57, v3
	ds_read_u16 v59, v3 offset:32
	v_cvt_f32_f16_e32 v196, v67
	v_cvt_f32_f16_sdwa v197, v67 dst_sel:DWORD dst_unused:UNUSED_PAD src0_sel:WORD_1
	v_cvt_f32_f16_e32 v198, v66
	s_waitcnt lgkmcnt(1)
	v_perm_b32 v5, v57, v5, s33
	ds_read_u16 v57, v219
	ds_read_u16 v72, v219 offset:32
	v_cvt_f32_f16_sdwa v199, v66 dst_sel:DWORD dst_unused:UNUSED_PAD src0_sel:WORD_1
	v_accvgpr_write_b32 a0, v196
	v_accvgpr_write_b32 a1, v197
	s_waitcnt lgkmcnt(1)
	v_perm_b32 v4, v4, v57, s33
	v_accvgpr_write_b32 a2, v198
	v_accvgpr_write_b32 a3, v199
	ds_read_u16 v67, v219 offset:16896
	ds_read_u16 v94, v94 offset:528
	;; [unrolled: 1-line block ×4, first 2 shown]
	v_mfma_f32_16x16x16_f16 a[0:3], v[4:5], v[40:41], a[0:3]
	s_nop 6
	v_accvgpr_read_b32 v4, a0
	v_cvt_f16_f32_e32 v4, v4
	v_accvgpr_read_b32 v5, a1
	v_accvgpr_read_b32 v57, a2
	;; [unrolled: 1-line block ×3, first 2 shown]
	v_cvt_f16_f32_e32 v5, v5
	v_cvt_f16_f32_e32 v57, v57
	;; [unrolled: 1-line block ×3, first 2 shown]
	v_cvt_f32_f16_e32 v196, v4
	v_cvt_f32_f16_e32 v197, v5
	;; [unrolled: 1-line block ×4, first 2 shown]
	s_waitcnt lgkmcnt(0)
	v_perm_b32 v5, v100, v98, s33
	v_perm_b32 v4, v94, v67, s33
	v_accvgpr_write_b32 a0, v196
	v_accvgpr_write_b32 a1, v197
	v_accvgpr_write_b32 a2, v198
	v_accvgpr_write_b32 a3, v199
	v_cvt_f32_f16_e32 v196, v69
	v_cvt_f32_f16_sdwa v197, v69 dst_sel:DWORD dst_unused:UNUSED_PAD src0_sel:WORD_1
	v_mfma_f32_16x16x16_f16 a[0:3], v[4:5], v[38:39], a[0:3]
	v_cvt_f32_f16_e32 v198, v68
	v_cvt_f32_f16_sdwa v199, v68 dst_sel:DWORD dst_unused:UNUSED_PAD src0_sel:WORD_1
	v_add_u32_e32 v69, v204, v101
	v_add_u32_e32 v94, v104, v102
	;; [unrolled: 1-line block ×3, first 2 shown]
	s_nop 1
	v_accvgpr_read_b32 v4, a0
	v_accvgpr_read_b32 v5, a1
	v_cvt_f16_f32_e32 v4, v4
	v_cvt_f16_f32_e32 v5, v5
	v_accvgpr_read_b32 v57, a2
	v_accvgpr_read_b32 v66, a3
	v_accvgpr_write_b32 a0, v196
	v_pack_b32_f16 v67, v4, v5
	v_add_u32_e32 v4, v104, v101
	ds_read_u16 v4, v4 offset:528
	ds_read_u16 v5, v121 offset:1056
	v_accvgpr_write_b32 a1, v197
	v_accvgpr_write_b32 a2, v198
	;; [unrolled: 1-line block ×3, first 2 shown]
	s_waitcnt lgkmcnt(1)
	v_perm_b32 v4, v4, v72, s33
	s_waitcnt lgkmcnt(0)
	v_perm_b32 v5, v59, v5, s33
	v_cvt_f16_f32_e32 v57, v57
	v_cvt_f16_f32_e32 v66, v66
	v_mfma_f32_16x16x16_f16 a[0:3], v[4:5], v[40:41], a[0:3]
	v_pack_b32_f16 v66, v57, v66
	ds_read_u16 v68, v220 offset:16896
	ds_read_u16 v69, v69 offset:528
	;; [unrolled: 1-line block ×4, first 2 shown]
	s_nop 1
	v_accvgpr_read_b32 v4, a0
	v_cvt_f16_f32_e32 v4, v4
	v_accvgpr_read_b32 v5, a1
	v_accvgpr_read_b32 v57, a2
	v_accvgpr_read_b32 v59, a3
	v_cvt_f16_f32_e32 v5, v5
	v_cvt_f16_f32_e32 v57, v57
	v_cvt_f16_f32_e32 v59, v59
	v_cvt_f32_f16_e32 v196, v4
	v_cvt_f32_f16_e32 v197, v5
	v_cvt_f32_f16_e32 v198, v57
	v_cvt_f32_f16_e32 v199, v59
	s_waitcnt lgkmcnt(0)
	v_perm_b32 v5, v94, v72, s33
	v_perm_b32 v4, v69, v68, s33
	v_accvgpr_write_b32 a0, v196
	v_accvgpr_write_b32 a1, v197
	v_accvgpr_write_b32 a2, v198
	v_accvgpr_write_b32 a3, v199
	v_cvt_f32_f16_e32 v196, v74
	v_cvt_f32_f16_sdwa v197, v74 dst_sel:DWORD dst_unused:UNUSED_PAD src0_sel:WORD_1
	v_mfma_f32_16x16x16_f16 a[0:3], v[4:5], v[38:39], a[0:3]
	v_cvt_f32_f16_e32 v198, v73
	v_cvt_f32_f16_sdwa v199, v73 dst_sel:DWORD dst_unused:UNUSED_PAD src0_sel:WORD_1
	v_add_u32_e32 v73, v205, v101
	v_add_u32_e32 v94, v105, v102
	s_nop 2
	v_accvgpr_read_b32 v4, a0
	v_accvgpr_read_b32 v5, a1
	v_cvt_f16_f32_e32 v4, v4
	v_cvt_f16_f32_e32 v5, v5
	v_accvgpr_read_b32 v57, a2
	v_accvgpr_read_b32 v59, a3
	v_cvt_f16_f32_e32 v57, v57
	v_cvt_f16_f32_e32 v59, v59
	v_pack_b32_f16 v69, v4, v5
	v_add_u32_e32 v5, v105, v101
	ds_read_u16 v4, v219 offset:64
	v_pack_b32_f16 v68, v57, v59
	ds_read_u16 v57, v5 offset:528
	ds_read_u16 v5, v122 offset:1056
	ds_read_u16 v59, v3 offset:64
	v_accvgpr_write_b32 a0, v196
	v_accvgpr_write_b32 a1, v197
	s_waitcnt lgkmcnt(2)
	v_perm_b32 v4, v57, v4, s33
	v_accvgpr_write_b32 a2, v198
	s_waitcnt lgkmcnt(0)
	v_perm_b32 v5, v59, v5, s33
	v_accvgpr_write_b32 a3, v199
	ds_read_u16 v72, v222 offset:16896
	ds_read_u16 v73, v73 offset:528
	ds_read_u16 v74, v223 offset:1056
	v_mfma_f32_16x16x16_f16 a[0:3], v[4:5], v[40:41], a[0:3]
	ds_read_u16 v94, v94 offset:16896
	s_nop 5
	v_accvgpr_read_b32 v4, a0
	v_cvt_f16_f32_e32 v4, v4
	v_accvgpr_read_b32 v5, a1
	v_accvgpr_read_b32 v57, a2
	v_accvgpr_read_b32 v59, a3
	v_cvt_f16_f32_e32 v5, v5
	v_cvt_f16_f32_e32 v57, v57
	v_cvt_f16_f32_e32 v59, v59
	v_cvt_f32_f16_e32 v196, v4
	v_cvt_f32_f16_e32 v197, v5
	v_cvt_f32_f16_e32 v198, v57
	v_cvt_f32_f16_e32 v199, v59
	s_waitcnt lgkmcnt(0)
	v_perm_b32 v5, v94, v74, s33
	v_perm_b32 v4, v73, v72, s33
	v_accvgpr_write_b32 a0, v196
	v_accvgpr_write_b32 a1, v197
	v_accvgpr_write_b32 a2, v198
	v_accvgpr_write_b32 a3, v199
	v_cvt_f32_f16_e32 v196, v78
	v_cvt_f32_f16_sdwa v197, v78 dst_sel:DWORD dst_unused:UNUSED_PAD src0_sel:WORD_1
	v_mfma_f32_16x16x16_f16 a[0:3], v[4:5], v[38:39], a[0:3]
	v_cvt_f32_f16_e32 v198, v75
	v_cvt_f32_f16_sdwa v199, v75 dst_sel:DWORD dst_unused:UNUSED_PAD src0_sel:WORD_1
	v_add_u32_e32 v75, v206, v101
	v_add_u32_e32 v94, v106, v102
	s_nop 2
	v_accvgpr_read_b32 v4, a0
	v_accvgpr_read_b32 v5, a1
	v_cvt_f16_f32_e32 v4, v4
	v_cvt_f16_f32_e32 v5, v5
	v_accvgpr_read_b32 v57, a2
	v_accvgpr_read_b32 v59, a3
	v_cvt_f16_f32_e32 v57, v57
	v_cvt_f16_f32_e32 v59, v59
	v_pack_b32_f16 v74, v4, v5
	v_add_u32_e32 v5, v106, v101
	ds_read_u16 v4, v219 offset:96
	v_pack_b32_f16 v73, v57, v59
	ds_read_u16 v57, v5 offset:528
	ds_read_u16 v5, v123 offset:1056
	ds_read_u16 v59, v3 offset:96
	v_accvgpr_write_b32 a0, v196
	v_accvgpr_write_b32 a1, v197
	s_waitcnt lgkmcnt(2)
	v_perm_b32 v4, v57, v4, s33
	v_accvgpr_write_b32 a2, v198
	s_waitcnt lgkmcnt(0)
	v_perm_b32 v5, v59, v5, s33
	v_accvgpr_write_b32 a3, v199
	ds_read_u16 v72, v224 offset:16896
	ds_read_u16 v75, v75 offset:528
	ds_read_u16 v78, v225 offset:1056
	v_mfma_f32_16x16x16_f16 a[0:3], v[4:5], v[40:41], a[0:3]
	ds_read_u16 v94, v94 offset:16896
	s_nop 5
	v_accvgpr_read_b32 v4, a0
	v_cvt_f16_f32_e32 v4, v4
	v_accvgpr_read_b32 v5, a1
	v_accvgpr_read_b32 v57, a2
	v_accvgpr_read_b32 v59, a3
	v_cvt_f16_f32_e32 v5, v5
	v_cvt_f16_f32_e32 v57, v57
	v_cvt_f16_f32_e32 v59, v59
	v_cvt_f32_f16_e32 v196, v4
	v_cvt_f32_f16_e32 v197, v5
	v_cvt_f32_f16_e32 v198, v57
	v_cvt_f32_f16_e32 v199, v59
	s_waitcnt lgkmcnt(0)
	v_perm_b32 v5, v94, v78, s33
	v_perm_b32 v4, v75, v72, s33
	v_accvgpr_write_b32 a0, v196
	v_accvgpr_write_b32 a1, v197
	v_accvgpr_write_b32 a2, v198
	v_accvgpr_write_b32 a3, v199
	v_cvt_f32_f16_e32 v196, v80
	v_cvt_f32_f16_sdwa v197, v80 dst_sel:DWORD dst_unused:UNUSED_PAD src0_sel:WORD_1
	v_mfma_f32_16x16x16_f16 a[0:3], v[4:5], v[38:39], a[0:3]
	v_cvt_f32_f16_e32 v198, v79
	v_cvt_f32_f16_sdwa v199, v79 dst_sel:DWORD dst_unused:UNUSED_PAD src0_sel:WORD_1
	v_add_u32_e32 v79, v207, v101
	v_add_u32_e32 v94, v107, v102
	s_nop 2
	v_accvgpr_read_b32 v4, a0
	v_accvgpr_read_b32 v5, a1
	v_cvt_f16_f32_e32 v4, v4
	v_cvt_f16_f32_e32 v5, v5
	v_accvgpr_read_b32 v57, a2
	v_accvgpr_read_b32 v59, a3
	v_cvt_f16_f32_e32 v57, v57
	v_cvt_f16_f32_e32 v59, v59
	v_pack_b32_f16 v78, v4, v5
	v_add_u32_e32 v5, v107, v101
	ds_read_u16 v4, v219 offset:128
	v_pack_b32_f16 v75, v57, v59
	ds_read_u16 v57, v5 offset:528
	ds_read_u16 v5, v124 offset:1056
	ds_read_u16 v59, v3 offset:128
	v_accvgpr_write_b32 a0, v196
	v_accvgpr_write_b32 a1, v197
	s_waitcnt lgkmcnt(2)
	v_perm_b32 v4, v57, v4, s33
	v_accvgpr_write_b32 a2, v198
	s_waitcnt lgkmcnt(0)
	v_perm_b32 v5, v59, v5, s33
	v_accvgpr_write_b32 a3, v199
	ds_read_u16 v72, v226 offset:16896
	ds_read_u16 v79, v79 offset:528
	ds_read_u16 v80, v227 offset:1056
	v_mfma_f32_16x16x16_f16 a[0:3], v[4:5], v[40:41], a[0:3]
	ds_read_u16 v94, v94 offset:16896
	s_nop 5
	v_accvgpr_read_b32 v4, a0
	v_cvt_f16_f32_e32 v4, v4
	v_accvgpr_read_b32 v5, a1
	v_accvgpr_read_b32 v57, a2
	v_accvgpr_read_b32 v59, a3
	v_cvt_f16_f32_e32 v5, v5
	v_cvt_f16_f32_e32 v57, v57
	v_cvt_f16_f32_e32 v59, v59
	v_cvt_f32_f16_e32 v196, v4
	v_cvt_f32_f16_e32 v197, v5
	v_cvt_f32_f16_e32 v198, v57
	v_cvt_f32_f16_e32 v199, v59
	s_waitcnt lgkmcnt(0)
	v_perm_b32 v5, v94, v80, s33
	v_perm_b32 v4, v79, v72, s33
	v_accvgpr_write_b32 a0, v196
	v_accvgpr_write_b32 a1, v197
	v_accvgpr_write_b32 a2, v198
	v_accvgpr_write_b32 a3, v199
	v_cvt_f32_f16_e32 v196, v82
	v_cvt_f32_f16_sdwa v197, v82 dst_sel:DWORD dst_unused:UNUSED_PAD src0_sel:WORD_1
	v_mfma_f32_16x16x16_f16 a[0:3], v[4:5], v[38:39], a[0:3]
	v_cvt_f32_f16_e32 v198, v81
	v_cvt_f32_f16_sdwa v199, v81 dst_sel:DWORD dst_unused:UNUSED_PAD src0_sel:WORD_1
	v_add_u32_e32 v81, v208, v101
	v_add_u32_e32 v94, v108, v102
	s_nop 2
	v_accvgpr_read_b32 v4, a0
	v_accvgpr_read_b32 v5, a1
	v_cvt_f16_f32_e32 v4, v4
	v_cvt_f16_f32_e32 v5, v5
	v_accvgpr_read_b32 v57, a2
	v_accvgpr_read_b32 v59, a3
	v_cvt_f16_f32_e32 v57, v57
	v_cvt_f16_f32_e32 v59, v59
	v_pack_b32_f16 v80, v4, v5
	v_add_u32_e32 v5, v108, v101
	ds_read_u16 v4, v219 offset:160
	v_pack_b32_f16 v79, v57, v59
	ds_read_u16 v57, v5 offset:528
	ds_read_u16 v5, v125 offset:1056
	ds_read_u16 v59, v3 offset:160
	v_accvgpr_write_b32 a0, v196
	v_accvgpr_write_b32 a1, v197
	s_waitcnt lgkmcnt(2)
	v_perm_b32 v4, v57, v4, s33
	v_accvgpr_write_b32 a2, v198
	s_waitcnt lgkmcnt(0)
	v_perm_b32 v5, v59, v5, s33
	v_accvgpr_write_b32 a3, v199
	ds_read_u16 v72, v228 offset:16896
	ds_read_u16 v81, v81 offset:528
	ds_read_u16 v82, v229 offset:1056
	v_mfma_f32_16x16x16_f16 a[0:3], v[4:5], v[40:41], a[0:3]
	ds_read_u16 v94, v94 offset:16896
	s_nop 5
	v_accvgpr_read_b32 v4, a0
	v_cvt_f16_f32_e32 v4, v4
	v_accvgpr_read_b32 v5, a1
	v_accvgpr_read_b32 v57, a2
	v_accvgpr_read_b32 v59, a3
	v_cvt_f16_f32_e32 v5, v5
	v_cvt_f16_f32_e32 v57, v57
	v_cvt_f16_f32_e32 v59, v59
	v_cvt_f32_f16_e32 v196, v4
	v_cvt_f32_f16_e32 v197, v5
	v_cvt_f32_f16_e32 v198, v57
	v_cvt_f32_f16_e32 v199, v59
	s_waitcnt lgkmcnt(0)
	v_perm_b32 v5, v94, v82, s33
	v_perm_b32 v4, v81, v72, s33
	v_accvgpr_write_b32 a0, v196
	v_accvgpr_write_b32 a1, v197
	v_accvgpr_write_b32 a2, v198
	v_accvgpr_write_b32 a3, v199
	v_cvt_f32_f16_e32 v196, v84
	v_cvt_f32_f16_sdwa v197, v84 dst_sel:DWORD dst_unused:UNUSED_PAD src0_sel:WORD_1
	v_mfma_f32_16x16x16_f16 a[0:3], v[4:5], v[38:39], a[0:3]
	v_cvt_f32_f16_e32 v198, v83
	v_cvt_f32_f16_sdwa v199, v83 dst_sel:DWORD dst_unused:UNUSED_PAD src0_sel:WORD_1
	v_add_u32_e32 v83, v209, v101
	v_add_u32_e32 v94, v109, v102
	s_nop 2
	v_accvgpr_read_b32 v4, a0
	v_accvgpr_read_b32 v5, a1
	v_cvt_f16_f32_e32 v4, v4
	v_cvt_f16_f32_e32 v5, v5
	v_accvgpr_read_b32 v57, a2
	v_accvgpr_read_b32 v59, a3
	v_cvt_f16_f32_e32 v57, v57
	v_cvt_f16_f32_e32 v59, v59
	v_pack_b32_f16 v82, v4, v5
	v_add_u32_e32 v5, v109, v101
	ds_read_u16 v4, v219 offset:192
	v_pack_b32_f16 v81, v57, v59
	ds_read_u16 v57, v5 offset:528
	ds_read_u16 v5, v126 offset:1056
	ds_read_u16 v59, v3 offset:192
	v_accvgpr_write_b32 a0, v196
	v_accvgpr_write_b32 a1, v197
	s_waitcnt lgkmcnt(2)
	v_perm_b32 v4, v57, v4, s33
	v_accvgpr_write_b32 a2, v198
	s_waitcnt lgkmcnt(0)
	v_perm_b32 v5, v59, v5, s33
	v_accvgpr_write_b32 a3, v199
	ds_read_u16 v72, v230 offset:16896
	ds_read_u16 v83, v83 offset:528
	ds_read_u16 v84, v231 offset:1056
	v_mfma_f32_16x16x16_f16 a[0:3], v[4:5], v[40:41], a[0:3]
	ds_read_u16 v94, v94 offset:16896
	s_nop 5
	v_accvgpr_read_b32 v4, a0
	v_cvt_f16_f32_e32 v4, v4
	v_accvgpr_read_b32 v5, a1
	v_accvgpr_read_b32 v57, a2
	v_accvgpr_read_b32 v59, a3
	v_cvt_f16_f32_e32 v5, v5
	v_cvt_f16_f32_e32 v57, v57
	v_cvt_f16_f32_e32 v59, v59
	v_cvt_f32_f16_e32 v196, v4
	v_cvt_f32_f16_e32 v197, v5
	v_cvt_f32_f16_e32 v198, v57
	v_cvt_f32_f16_e32 v199, v59
	s_waitcnt lgkmcnt(0)
	v_perm_b32 v5, v94, v84, s33
	v_perm_b32 v4, v83, v72, s33
	v_accvgpr_write_b32 a0, v196
	v_accvgpr_write_b32 a1, v197
	v_accvgpr_write_b32 a2, v198
	v_accvgpr_write_b32 a3, v199
	v_cvt_f32_f16_e32 v196, v86
	v_cvt_f32_f16_sdwa v197, v86 dst_sel:DWORD dst_unused:UNUSED_PAD src0_sel:WORD_1
	v_mfma_f32_16x16x16_f16 a[0:3], v[4:5], v[38:39], a[0:3]
	v_cvt_f32_f16_e32 v198, v85
	v_cvt_f32_f16_sdwa v199, v85 dst_sel:DWORD dst_unused:UNUSED_PAD src0_sel:WORD_1
	v_add_u32_e32 v85, v210, v101
	v_add_u32_e32 v94, v110, v102
	s_nop 2
	v_accvgpr_read_b32 v4, a0
	v_accvgpr_read_b32 v5, a1
	v_cvt_f16_f32_e32 v4, v4
	v_cvt_f16_f32_e32 v5, v5
	v_accvgpr_read_b32 v57, a2
	v_accvgpr_read_b32 v59, a3
	v_cvt_f16_f32_e32 v57, v57
	v_cvt_f16_f32_e32 v59, v59
	v_pack_b32_f16 v84, v4, v5
	v_add_u32_e32 v5, v110, v101
	ds_read_u16 v4, v219 offset:224
	v_pack_b32_f16 v83, v57, v59
	ds_read_u16 v57, v5 offset:528
	ds_read_u16 v5, v127 offset:1056
	ds_read_u16 v59, v3 offset:224
	v_accvgpr_write_b32 a0, v196
	v_accvgpr_write_b32 a1, v197
	s_waitcnt lgkmcnt(2)
	v_perm_b32 v4, v57, v4, s33
	v_accvgpr_write_b32 a2, v198
	s_waitcnt lgkmcnt(0)
	v_perm_b32 v5, v59, v5, s33
	v_accvgpr_write_b32 a3, v199
	ds_read_u16 v72, v232 offset:16896
	ds_read_u16 v85, v85 offset:528
	ds_read_u16 v86, v233 offset:1056
	v_mfma_f32_16x16x16_f16 a[0:3], v[4:5], v[40:41], a[0:3]
	ds_read_u16 v94, v94 offset:16896
	s_nop 5
	v_accvgpr_read_b32 v4, a0
	v_cvt_f16_f32_e32 v4, v4
	v_accvgpr_read_b32 v5, a1
	v_accvgpr_read_b32 v57, a2
	v_accvgpr_read_b32 v59, a3
	v_cvt_f16_f32_e32 v5, v5
	v_cvt_f16_f32_e32 v57, v57
	v_cvt_f16_f32_e32 v59, v59
	v_cvt_f32_f16_e32 v196, v4
	v_cvt_f32_f16_e32 v197, v5
	v_cvt_f32_f16_e32 v198, v57
	v_cvt_f32_f16_e32 v199, v59
	s_waitcnt lgkmcnt(0)
	v_perm_b32 v5, v94, v86, s33
	v_perm_b32 v4, v85, v72, s33
	v_accvgpr_write_b32 a0, v196
	v_accvgpr_write_b32 a1, v197
	v_accvgpr_write_b32 a2, v198
	v_accvgpr_write_b32 a3, v199
	v_cvt_f32_f16_e32 v196, v88
	v_cvt_f32_f16_sdwa v197, v88 dst_sel:DWORD dst_unused:UNUSED_PAD src0_sel:WORD_1
	v_mfma_f32_16x16x16_f16 a[0:3], v[4:5], v[38:39], a[0:3]
	v_cvt_f32_f16_e32 v198, v87
	v_cvt_f32_f16_sdwa v199, v87 dst_sel:DWORD dst_unused:UNUSED_PAD src0_sel:WORD_1
	v_add_u32_e32 v87, v211, v101
	v_add_u32_e32 v94, v111, v102
	s_nop 2
	v_accvgpr_read_b32 v4, a0
	v_accvgpr_read_b32 v5, a1
	v_cvt_f16_f32_e32 v4, v4
	v_cvt_f16_f32_e32 v5, v5
	v_accvgpr_read_b32 v57, a2
	v_accvgpr_read_b32 v59, a3
	v_cvt_f16_f32_e32 v57, v57
	v_cvt_f16_f32_e32 v59, v59
	v_pack_b32_f16 v86, v4, v5
	v_add_u32_e32 v5, v111, v101
	ds_read_u16 v4, v219 offset:256
	v_pack_b32_f16 v85, v57, v59
	ds_read_u16 v57, v5 offset:528
	ds_read_u16 v5, v128 offset:1056
	ds_read_u16 v59, v3 offset:256
	v_accvgpr_write_b32 a0, v196
	v_accvgpr_write_b32 a1, v197
	s_waitcnt lgkmcnt(2)
	v_perm_b32 v4, v57, v4, s33
	v_accvgpr_write_b32 a2, v198
	s_waitcnt lgkmcnt(0)
	v_perm_b32 v5, v59, v5, s33
	v_accvgpr_write_b32 a3, v199
	ds_read_u16 v72, v234 offset:16896
	ds_read_u16 v87, v87 offset:528
	ds_read_u16 v88, v235 offset:1056
	v_mfma_f32_16x16x16_f16 a[0:3], v[4:5], v[40:41], a[0:3]
	ds_read_u16 v94, v94 offset:16896
	s_nop 5
	v_accvgpr_read_b32 v4, a0
	v_cvt_f16_f32_e32 v4, v4
	v_accvgpr_read_b32 v5, a1
	v_accvgpr_read_b32 v57, a2
	v_accvgpr_read_b32 v59, a3
	v_cvt_f16_f32_e32 v5, v5
	v_cvt_f16_f32_e32 v57, v57
	v_cvt_f16_f32_e32 v59, v59
	v_cvt_f32_f16_e32 v196, v4
	v_cvt_f32_f16_e32 v197, v5
	v_cvt_f32_f16_e32 v198, v57
	v_cvt_f32_f16_e32 v199, v59
	s_waitcnt lgkmcnt(0)
	v_perm_b32 v5, v94, v88, s33
	v_perm_b32 v4, v87, v72, s33
	v_accvgpr_write_b32 a0, v196
	v_accvgpr_write_b32 a1, v197
	v_accvgpr_write_b32 a2, v198
	v_accvgpr_write_b32 a3, v199
	v_cvt_f32_f16_e32 v196, v90
	v_cvt_f32_f16_sdwa v197, v90 dst_sel:DWORD dst_unused:UNUSED_PAD src0_sel:WORD_1
	v_mfma_f32_16x16x16_f16 a[0:3], v[4:5], v[38:39], a[0:3]
	v_cvt_f32_f16_e32 v198, v89
	v_cvt_f32_f16_sdwa v199, v89 dst_sel:DWORD dst_unused:UNUSED_PAD src0_sel:WORD_1
	v_add_u32_e32 v89, v212, v101
	v_add_u32_e32 v94, v112, v102
	s_nop 2
	v_accvgpr_read_b32 v4, a0
	v_accvgpr_read_b32 v5, a1
	v_cvt_f16_f32_e32 v4, v4
	v_cvt_f16_f32_e32 v5, v5
	v_accvgpr_read_b32 v57, a2
	v_accvgpr_read_b32 v59, a3
	v_cvt_f16_f32_e32 v57, v57
	v_cvt_f16_f32_e32 v59, v59
	v_pack_b32_f16 v88, v4, v5
	v_add_u32_e32 v5, v112, v101
	ds_read_u16 v4, v219 offset:288
	v_pack_b32_f16 v87, v57, v59
	ds_read_u16 v57, v5 offset:528
	ds_read_u16 v5, v129 offset:1056
	ds_read_u16 v59, v3 offset:288
	v_accvgpr_write_b32 a0, v196
	v_accvgpr_write_b32 a1, v197
	s_waitcnt lgkmcnt(2)
	v_perm_b32 v4, v57, v4, s33
	v_accvgpr_write_b32 a2, v198
	s_waitcnt lgkmcnt(0)
	v_perm_b32 v5, v59, v5, s33
	v_accvgpr_write_b32 a3, v199
	ds_read_u16 v72, v236 offset:16896
	ds_read_u16 v89, v89 offset:528
	ds_read_u16 v90, v237 offset:1056
	v_mfma_f32_16x16x16_f16 a[0:3], v[4:5], v[40:41], a[0:3]
	ds_read_u16 v94, v94 offset:16896
	s_nop 5
	v_accvgpr_read_b32 v4, a0
	v_cvt_f16_f32_e32 v4, v4
	v_accvgpr_read_b32 v5, a1
	v_accvgpr_read_b32 v57, a2
	;; [unrolled: 1-line block ×3, first 2 shown]
	v_cvt_f16_f32_e32 v5, v5
	v_cvt_f16_f32_e32 v57, v57
	;; [unrolled: 1-line block ×3, first 2 shown]
	v_cvt_f32_f16_e32 v196, v4
	v_cvt_f32_f16_e32 v197, v5
	;; [unrolled: 1-line block ×4, first 2 shown]
	s_waitcnt lgkmcnt(0)
	v_perm_b32 v5, v94, v90, s33
	v_perm_b32 v4, v89, v72, s33
	v_accvgpr_write_b32 a0, v196
	v_accvgpr_write_b32 a1, v197
	v_accvgpr_write_b32 a2, v198
	v_accvgpr_write_b32 a3, v199
	v_cvt_f32_f16_e32 v196, v133
	v_cvt_f32_f16_sdwa v197, v133 dst_sel:DWORD dst_unused:UNUSED_PAD src0_sel:WORD_1
	v_mfma_f32_16x16x16_f16 a[0:3], v[4:5], v[38:39], a[0:3]
	v_cvt_f32_f16_e32 v198, v91
	v_cvt_f32_f16_sdwa v199, v91 dst_sel:DWORD dst_unused:UNUSED_PAD src0_sel:WORD_1
	v_add_u32_e32 v91, v213, v101
	s_nop 3
	v_accvgpr_read_b32 v4, a0
	v_accvgpr_read_b32 v5, a1
	v_cvt_f16_f32_e32 v4, v4
	v_cvt_f16_f32_e32 v5, v5
	v_accvgpr_read_b32 v57, a2
	v_accvgpr_read_b32 v59, a3
	v_cvt_f16_f32_e32 v57, v57
	v_cvt_f16_f32_e32 v59, v59
	v_pack_b32_f16 v90, v4, v5
	v_add_u32_e32 v5, v113, v101
	ds_read_u16 v4, v219 offset:320
	v_pack_b32_f16 v89, v57, v59
	ds_read_u16 v57, v5 offset:528
	ds_read_u16 v5, v193 offset:1056
	;; [unrolled: 1-line block ×3, first 2 shown]
	v_accvgpr_write_b32 a0, v196
	v_accvgpr_write_b32 a1, v197
	s_waitcnt lgkmcnt(2)
	v_perm_b32 v4, v57, v4, s33
	v_accvgpr_write_b32 a2, v198
	s_waitcnt lgkmcnt(0)
	v_perm_b32 v5, v59, v5, s33
	v_accvgpr_write_b32 a3, v199
	ds_read_u16 v72, v238 offset:16896
	ds_read_u16 v91, v91 offset:528
	ds_read_u16 v94, v239 offset:1056
	v_mfma_f32_16x16x16_f16 a[0:3], v[4:5], v[40:41], a[0:3]
	ds_read_u16 v98, v98 offset:16896
	s_nop 5
	v_accvgpr_read_b32 v4, a0
	v_cvt_f16_f32_e32 v4, v4
	v_accvgpr_read_b32 v5, a1
	v_accvgpr_read_b32 v57, a2
	;; [unrolled: 1-line block ×3, first 2 shown]
	v_cvt_f16_f32_e32 v5, v5
	v_cvt_f16_f32_e32 v57, v57
	;; [unrolled: 1-line block ×3, first 2 shown]
	v_cvt_f32_f16_e32 v196, v4
	v_cvt_f32_f16_e32 v197, v5
	;; [unrolled: 1-line block ×4, first 2 shown]
	s_waitcnt lgkmcnt(0)
	v_perm_b32 v5, v98, v94, s33
	v_perm_b32 v4, v91, v72, s33
	v_accvgpr_write_b32 a0, v196
	v_accvgpr_write_b32 a1, v197
	;; [unrolled: 1-line block ×4, first 2 shown]
	v_cvt_f32_f16_e32 v196, v53
	v_cvt_f32_f16_sdwa v197, v53 dst_sel:DWORD dst_unused:UNUSED_PAD src0_sel:WORD_1
	v_mfma_f32_16x16x16_f16 a[0:3], v[4:5], v[38:39], a[0:3]
	v_cvt_f32_f16_e32 v198, v52
	v_cvt_f32_f16_sdwa v199, v52 dst_sel:DWORD dst_unused:UNUSED_PAD src0_sel:WORD_1
	v_add_u32_e32 v94, v114, v102
	s_nop 3
	v_accvgpr_read_b32 v4, a0
	v_accvgpr_read_b32 v5, a1
	v_cvt_f16_f32_e32 v4, v4
	v_cvt_f16_f32_e32 v5, v5
	v_accvgpr_read_b32 v57, a2
	v_accvgpr_read_b32 v59, a3
	v_cvt_f16_f32_e32 v57, v57
	v_cvt_f16_f32_e32 v59, v59
	v_pack_b32_f16 v133, v4, v5
	v_add_u32_e32 v5, v114, v101
	ds_read_u16 v4, v219 offset:352
	v_pack_b32_f16 v91, v57, v59
	ds_read_u16 v57, v5 offset:528
	ds_read_u16 v5, v195 offset:1056
	;; [unrolled: 1-line block ×3, first 2 shown]
	v_accvgpr_write_b32 a0, v196
	v_accvgpr_write_b32 a1, v197
	s_waitcnt lgkmcnt(2)
	v_perm_b32 v4, v57, v4, s33
	v_accvgpr_write_b32 a2, v198
	s_waitcnt lgkmcnt(0)
	v_perm_b32 v5, v59, v5, s33
	v_accvgpr_write_b32 a3, v199
	v_add_u32_e32 v59, v214, v101
	ds_read_u16 v57, v240 offset:16896
	v_mfma_f32_16x16x16_f16 a[0:3], v[4:5], v[40:41], a[0:3]
	ds_read_u16 v59, v59 offset:528
	ds_read_u16 v72, v241 offset:1056
	;; [unrolled: 1-line block ×3, first 2 shown]
	s_nop 3
	v_accvgpr_read_b32 v4, a0
	v_cvt_f16_f32_e32 v4, v4
	v_accvgpr_read_b32 v5, a1
	v_accvgpr_read_b32 v52, a2
	;; [unrolled: 1-line block ×3, first 2 shown]
	v_cvt_f16_f32_e32 v5, v5
	v_cvt_f16_f32_e32 v52, v52
	;; [unrolled: 1-line block ×3, first 2 shown]
	v_cvt_f32_f16_e32 v196, v4
	v_cvt_f32_f16_e32 v197, v5
	;; [unrolled: 1-line block ×4, first 2 shown]
	s_waitcnt lgkmcnt(0)
	v_perm_b32 v5, v94, v72, s33
	v_perm_b32 v4, v59, v57, s33
	v_accvgpr_write_b32 a0, v196
	v_accvgpr_write_b32 a1, v197
	;; [unrolled: 1-line block ×4, first 2 shown]
	v_cvt_f32_f16_e32 v196, v51
	v_cvt_f32_f16_sdwa v197, v51 dst_sel:DWORD dst_unused:UNUSED_PAD src0_sel:WORD_1
	v_mfma_f32_16x16x16_f16 a[0:3], v[4:5], v[38:39], a[0:3]
	v_cvt_f32_f16_e32 v198, v50
	v_cvt_f32_f16_sdwa v199, v50 dst_sel:DWORD dst_unused:UNUSED_PAD src0_sel:WORD_1
	s_nop 4
	v_accvgpr_read_b32 v4, a0
	v_accvgpr_read_b32 v5, a1
	v_cvt_f16_f32_e32 v4, v4
	v_cvt_f16_f32_e32 v5, v5
	v_accvgpr_read_b32 v52, a2
	v_accvgpr_read_b32 v53, a3
	v_cvt_f16_f32_e32 v52, v52
	v_cvt_f16_f32_e32 v53, v53
	v_pack_b32_f16 v98, v4, v5
	v_add_u32_e32 v5, v115, v101
	ds_read_u16 v4, v219 offset:384
	v_pack_b32_f16 v94, v52, v53
	ds_read_u16 v52, v5 offset:528
	ds_read_u16 v5, v253 offset:1056
	;; [unrolled: 1-line block ×3, first 2 shown]
	v_accvgpr_write_b32 a0, v196
	v_accvgpr_write_b32 a1, v197
	s_waitcnt lgkmcnt(2)
	v_perm_b32 v4, v52, v4, s33
	v_accvgpr_write_b32 a2, v198
	s_waitcnt lgkmcnt(0)
	v_perm_b32 v5, v53, v5, s33
	v_accvgpr_write_b32 a3, v199
	ds_read_u16 v57, v242 offset:16896
	s_nop 0
	v_mfma_f32_16x16x16_f16 a[0:3], v[4:5], v[40:41], a[0:3]
	s_nop 6
	v_accvgpr_read_b32 v50, a2
	v_cvt_f16_f32_e32 v52, v50
	v_accvgpr_read_b32 v50, a3
	v_cvt_f16_f32_e32 v53, v50
	v_add_u32_e32 v50, v192, v101
	v_accvgpr_read_b32 v4, a0
	ds_read_u16 v59, v50 offset:528
	ds_read_u16 v72, v243 offset:1056
	v_add_u32_e32 v50, v115, v102
	v_cvt_f16_f32_e32 v4, v4
	v_accvgpr_read_b32 v5, a1
	ds_read_u16 v100, v50 offset:16896
	v_cvt_f16_f32_e32 v5, v5
	v_cvt_f32_f16_e32 v50, v4
	v_cvt_f32_f16_e32 v52, v52
	;; [unrolled: 1-line block ×4, first 2 shown]
	s_waitcnt lgkmcnt(0)
	v_perm_b32 v5, v100, v72, s33
	v_perm_b32 v4, v59, v57, s33
	v_accvgpr_write_b32 a0, v50
	v_accvgpr_write_b32 a1, v51
	;; [unrolled: 1-line block ×4, first 2 shown]
	v_cvt_f32_f16_e32 v52, v48
	v_cvt_f32_f16_sdwa v53, v48 dst_sel:DWORD dst_unused:UNUSED_PAD src0_sel:WORD_1
	v_mfma_f32_16x16x16_f16 a[0:3], v[4:5], v[38:39], a[0:3]
	s_nop 6
	v_accvgpr_read_b32 v4, a0
	v_accvgpr_read_b32 v5, a1
	v_cvt_f16_f32_e32 v4, v4
	v_cvt_f16_f32_e32 v5, v5
	v_accvgpr_read_b32 v50, a2
	v_accvgpr_read_b32 v51, a3
	v_cvt_f16_f32_e32 v50, v50
	v_pack_b32_f16 v201, v4, v5
	v_add_u32_e32 v5, v116, v101
	v_cvt_f16_f32_e32 v51, v51
	ds_read_u16 v4, v219 offset:416
	ds_read_u16 v57, v5 offset:528
	;; [unrolled: 1-line block ×4, first 2 shown]
	v_pack_b32_f16 v100, v50, v51
	v_cvt_f32_f16_e32 v50, v49
	v_cvt_f32_f16_sdwa v51, v49 dst_sel:DWORD dst_unused:UNUSED_PAD src0_sel:WORD_1
	s_waitcnt lgkmcnt(0)
	v_perm_b32 v5, v59, v5, s33
	v_perm_b32 v4, v57, v4, s33
	v_accvgpr_write_b32 a0, v50
	v_accvgpr_write_b32 a1, v51
	;; [unrolled: 1-line block ×4, first 2 shown]
	ds_read_u16 v52, v244 offset:16896
	s_nop 0
	v_mfma_f32_16x16x16_f16 a[0:3], v[4:5], v[40:41], a[0:3]
	s_nop 6
	v_accvgpr_read_b32 v48, a2
	v_cvt_f16_f32_e32 v50, v48
	v_accvgpr_read_b32 v48, a3
	v_cvt_f16_f32_e32 v51, v48
	v_add_u32_e32 v48, v76, v101
	v_accvgpr_read_b32 v4, a0
	ds_read_u16 v53, v48 offset:528
	ds_read_u16 v57, v245 offset:1056
	v_add_u32_e32 v48, v116, v102
	v_cvt_f16_f32_e32 v4, v4
	v_accvgpr_read_b32 v5, a1
	ds_read_u16 v59, v48 offset:16896
	v_cvt_f16_f32_e32 v5, v5
	v_cvt_f32_f16_e32 v48, v4
	v_cvt_f32_f16_e32 v50, v50
	;; [unrolled: 1-line block ×4, first 2 shown]
	s_waitcnt lgkmcnt(0)
	v_perm_b32 v5, v59, v57, s33
	v_perm_b32 v4, v53, v52, s33
	v_accvgpr_write_b32 a0, v48
	v_accvgpr_write_b32 a1, v49
	;; [unrolled: 1-line block ×4, first 2 shown]
	v_cvt_f32_f16_e32 v50, v46
	v_cvt_f32_f16_sdwa v51, v46 dst_sel:DWORD dst_unused:UNUSED_PAD src0_sel:WORD_1
	v_mfma_f32_16x16x16_f16 a[0:3], v[4:5], v[38:39], a[0:3]
	s_nop 6
	v_accvgpr_read_b32 v4, a0
	v_accvgpr_read_b32 v5, a1
	v_cvt_f16_f32_e32 v4, v4
	v_cvt_f16_f32_e32 v5, v5
	v_accvgpr_read_b32 v48, a2
	v_accvgpr_read_b32 v49, a3
	v_cvt_f16_f32_e32 v48, v48
	v_pack_b32_f16 v59, v4, v5
	v_add_u32_e32 v5, v117, v101
	v_cvt_f16_f32_e32 v49, v49
	ds_read_u16 v4, v219 offset:448
	ds_read_u16 v52, v5 offset:528
	;; [unrolled: 1-line block ×4, first 2 shown]
	v_pack_b32_f16 v57, v48, v49
	v_cvt_f32_f16_e32 v48, v47
	v_cvt_f32_f16_sdwa v49, v47 dst_sel:DWORD dst_unused:UNUSED_PAD src0_sel:WORD_1
	s_waitcnt lgkmcnt(0)
	v_perm_b32 v5, v53, v5, s33
	v_perm_b32 v4, v52, v4, s33
	v_accvgpr_write_b32 a0, v48
	v_accvgpr_write_b32 a1, v49
	;; [unrolled: 1-line block ×4, first 2 shown]
	ds_read_u16 v50, v246 offset:16896
	s_nop 0
	v_mfma_f32_16x16x16_f16 a[0:3], v[4:5], v[40:41], a[0:3]
	s_nop 6
	v_accvgpr_read_b32 v46, a2
	v_cvt_f16_f32_e32 v48, v46
	v_accvgpr_read_b32 v46, a3
	v_cvt_f16_f32_e32 v49, v46
	v_add_u32_e32 v46, v55, v101
	v_accvgpr_read_b32 v4, a0
	ds_read_u16 v51, v46 offset:528
	ds_read_u16 v52, v247 offset:1056
	v_add_u32_e32 v46, v117, v102
	v_cvt_f16_f32_e32 v4, v4
	v_accvgpr_read_b32 v5, a1
	ds_read_u16 v53, v46 offset:16896
	v_cvt_f16_f32_e32 v5, v5
	v_cvt_f32_f16_e32 v46, v4
	v_cvt_f32_f16_e32 v48, v48
	;; [unrolled: 1-line block ×4, first 2 shown]
	s_waitcnt lgkmcnt(0)
	v_perm_b32 v5, v53, v52, s33
	v_perm_b32 v4, v51, v50, s33
	v_accvgpr_write_b32 a0, v46
	v_accvgpr_write_b32 a1, v47
	;; [unrolled: 1-line block ×4, first 2 shown]
	v_cvt_f32_f16_e32 v48, v44
	v_cvt_f32_f16_sdwa v49, v44 dst_sel:DWORD dst_unused:UNUSED_PAD src0_sel:WORD_1
	v_mfma_f32_16x16x16_f16 a[0:3], v[4:5], v[38:39], a[0:3]
	v_add_u32_e32 v44, v218, v101
	s_nop 5
	v_accvgpr_read_b32 v4, a0
	v_accvgpr_read_b32 v5, a1
	v_cvt_f16_f32_e32 v4, v4
	v_cvt_f16_f32_e32 v5, v5
	v_accvgpr_read_b32 v46, a2
	v_accvgpr_read_b32 v47, a3
	v_cvt_f16_f32_e32 v46, v46
	v_pack_b32_f16 v197, v4, v5
	v_add_u32_e32 v5, v118, v101
	v_cvt_f16_f32_e32 v47, v47
	ds_read_u16 v4, v219 offset:480
	ds_read_u16 v50, v5 offset:528
	;; [unrolled: 1-line block ×4, first 2 shown]
	v_pack_b32_f16 v196, v46, v47
	v_cvt_f32_f16_e32 v46, v45
	v_cvt_f32_f16_sdwa v47, v45 dst_sel:DWORD dst_unused:UNUSED_PAD src0_sel:WORD_1
	s_waitcnt lgkmcnt(0)
	v_perm_b32 v5, v3, v5, s33
	v_perm_b32 v4, v50, v4, s33
	v_accvgpr_write_b32 a0, v46
	v_accvgpr_write_b32 a1, v47
	;; [unrolled: 1-line block ×4, first 2 shown]
	s_nop 1
	v_mfma_f32_16x16x16_f16 a[0:3], v[4:5], v[40:41], a[0:3]
	s_nop 6
	v_accvgpr_read_b32 v3, a0
	v_cvt_f16_f32_e32 v4, v3
	v_accvgpr_read_b32 v3, a1
	v_cvt_f16_f32_e32 v5, v3
	;; [unrolled: 2-line block ×4, first 2 shown]
	ds_read_u16 v3, v248 offset:16896
	ds_read_u16 v48, v44 offset:528
	;; [unrolled: 1-line block ×3, first 2 shown]
	v_add_u32_e32 v44, v118, v102
	ds_read_u16 v50, v44 offset:16896
	v_cvt_f32_f16_e32 v44, v4
	v_cvt_f32_f16_e32 v45, v5
	;; [unrolled: 1-line block ×4, first 2 shown]
	s_waitcnt lgkmcnt(0)
	v_perm_b32 v5, v50, v49, s33
	v_perm_b32 v4, v48, v3, s33
	v_accvgpr_write_b32 a0, v44
	v_accvgpr_write_b32 a1, v45
	;; [unrolled: 1-line block ×4, first 2 shown]
	s_barrier
	s_nop 0
	v_mfma_f32_16x16x16_f16 a[0:3], v[4:5], v[38:39], a[0:3]
	s_nop 6
	v_accvgpr_read_b32 v3, a0
	v_accvgpr_read_b32 v4, a1
	;; [unrolled: 1-line block ×4, first 2 shown]
	v_cvt_f16_f32_e32 v3, v3
	v_cvt_f16_f32_e32 v4, v4
	;; [unrolled: 1-line block ×4, first 2 shown]
	v_pack_b32_f16 v198, v3, v4
	v_pack_b32_f16 v199, v5, v38
	s_cbranch_vccz .LBB30_319
; %bb.317:                              ;   in Loop: Header=BB30_279 Depth=2
	v_mov_b32_e32 v194, v43
	v_mov_b32_e32 v72, v42
	s_andn2_b64 vcc, exec, s[44:45]
	s_cbranch_vccz .LBB30_274
	s_branch .LBB30_279
.LBB30_318:                             ;   in Loop: Header=BB30_16 Depth=1
	v_mov_b32_e32 v43, 0
	v_mov_b32_e32 v42, 0xfeffffff
	;; [unrolled: 1-line block ×34, first 2 shown]
	s_branch .LBB30_320
.LBB30_319:                             ;   in Loop: Header=BB30_16 Depth=1
	v_accvgpr_read_b32 v217, a203
	v_accvgpr_read_b32 v194, a8
	;; [unrolled: 1-line block ×29, first 2 shown]
.LBB30_320:                             ;   in Loop: Header=BB30_16 Depth=1
	v_lshlrev_b32_e32 v38, 6, v3
	v_readlane_b32 s46, v254, 4
	v_cmp_eq_u64_e32 vcc, 0, v[138:139]
	s_nop 0
	v_sub_u32_e32 v44, s46, v38
	v_readlane_b32 s47, v254, 5
	s_cbranch_vccnz .LBB30_330
; %bb.321:                              ;   in Loop: Header=BB30_16 Depth=1
	v_mov_b32_e32 v39, v2
	v_cmp_ge_i32_e32 vcc, v158, v44
                                        ; implicit-def: $sgpr41
	s_and_saveexec_b64 s[46:47], vcc
	s_xor_b64 s[46:47], exec, s[46:47]
	s_cbranch_execz .LBB30_323
; %bb.322:                              ;   in Loop: Header=BB30_16 Depth=1
	v_accvgpr_read_b32 v1, a51
	ds_write_b16 v1, v2 offset:33792
	v_accvgpr_read_b32 v1, a146
	ds_write_b16 v1, v2 offset:33792
	s_mov_b32 s41, 0
                                        ; implicit-def: $vgpr45
                                        ; implicit-def: $vgpr1
                                        ; implicit-def: $vgpr92
                                        ; implicit-def: $vgpr62
.LBB30_323:                             ;   in Loop: Header=BB30_16 Depth=1
	s_or_saveexec_b64 s[46:47], s[46:47]
	v_lshlrev_b64 v[4:5], 1, v[38:39]
	v_lshl_add_u64 v[4:5], v[138:139], 0, v[4:5]
	v_lshlrev_b32_e32 v40, 1, v158
	v_mov_b32_e32 v41, v2
	v_lshl_add_u64 v[4:5], v[4:5], 0, v[40:41]
	v_mov_b32_e32 v3, s41
	v_mov_b32_e32 v39, s41
	s_xor_b64 exec, exec, s[46:47]
	s_cbranch_execz .LBB30_325
; %bb.324:                              ;   in Loop: Header=BB30_16 Depth=1
	v_readlane_b32 s50, v254, 10
	v_readlane_b32 s51, v254, 11
	s_nop 0
	v_mul_hi_u32 v3, s50, v45
	v_add_u32_e32 v3, v45, v3
	v_lshrrev_b32_e32 v3, s51, v3
	v_mul_hi_u32 v39, s50, v1
	v_mul_lo_u32 v3, v3, s96
	v_add_u32_e32 v39, v1, v39
	v_sub_u32_e32 v3, v45, v3
	v_lshrrev_b32_e32 v39, s51, v39
	v_mad_i64_i32 v[40:41], s[48:49], v3, s40, 0
	v_mul_lo_u32 v39, v39, s96
	v_lshl_add_u64 v[40:41], v[40:41], 1, v[4:5]
	v_sub_u32_e32 v1, v1, v39
	flat_load_ushort v3, v[40:41]
	v_mad_i64_i32 v[40:41], s[48:49], v1, s40, 0
	v_lshl_add_u64 v[40:41], v[40:41], 1, v[4:5]
	flat_load_ushort v1, v[40:41]
	v_accvgpr_read_b32 v39, a51
	s_waitcnt vmcnt(0) lgkmcnt(0)
	ds_write_b16 v39, v3 offset:33792
	v_accvgpr_read_b32 v3, a146
	ds_write_b16 v3, v1 offset:33792
	v_mul_hi_u32 v1, s50, v92
	v_add_u32_e32 v1, v92, v1
	v_lshrrev_b32_e32 v1, s51, v1
	v_mul_lo_u32 v1, v1, s96
	v_sub_u32_e32 v1, v92, v1
	v_mad_i64_i32 v[40:41], s[48:49], v1, s40, 0
	v_mul_hi_u32 v1, s50, v62
	v_add_u32_e32 v1, v62, v1
	v_lshrrev_b32_e32 v1, s51, v1
	v_mul_lo_u32 v1, v1, s96
	v_lshl_add_u64 v[40:41], v[40:41], 1, v[4:5]
	v_sub_u32_e32 v1, v62, v1
	flat_load_ushort v3, v[40:41]
	v_mad_i64_i32 v[40:41], s[48:49], v1, s40, 0
	v_lshl_add_u64 v[40:41], v[40:41], 1, v[4:5]
	flat_load_ushort v39, v[40:41]
.LBB30_325:                             ;   in Loop: Header=BB30_16 Depth=1
	s_or_b64 exec, exec, s[46:47]
	v_accvgpr_read_b32 v1, a147
	s_waitcnt vmcnt(0) lgkmcnt(0)
	ds_write_b16 v1, v3 offset:33792
	v_accvgpr_read_b32 v1, a148
	ds_write_b16 v1, v39 offset:33792
                                        ; implicit-def: $sgpr41
	s_and_saveexec_b64 s[46:47], vcc
	s_xor_b64 s[46:47], exec, s[46:47]
	s_cbranch_execz .LBB30_327
; %bb.326:                              ;   in Loop: Header=BB30_16 Depth=1
	v_accvgpr_read_b32 v1, a149
	ds_write_b16 v1, v2 offset:33792
	v_accvgpr_read_b32 v1, a150
	ds_write_b16 v1, v2 offset:33792
	s_mov_b32 s41, 0
                                        ; implicit-def: $vgpr93
                                        ; implicit-def: $vgpr4_vgpr5
                                        ; implicit-def: $vgpr63
                                        ; implicit-def: $vgpr64
                                        ; implicit-def: $vgpr65
.LBB30_327:                             ;   in Loop: Header=BB30_16 Depth=1
	s_or_saveexec_b64 s[46:47], s[46:47]
	v_mov_b32_e32 v1, s41
	v_mov_b32_e32 v3, s41
	s_xor_b64 exec, exec, s[46:47]
	s_cbranch_execz .LBB30_329
; %bb.328:                              ;   in Loop: Header=BB30_16 Depth=1
	v_readlane_b32 s50, v254, 10
	v_readlane_b32 s51, v254, 11
	v_accvgpr_read_b32 v39, a149
	v_mul_hi_u32 v1, s50, v93
	v_add_u32_e32 v1, v93, v1
	v_lshrrev_b32_e32 v1, s51, v1
	v_mul_hi_u32 v3, s50, v63
	v_mul_lo_u32 v1, v1, s96
	v_add_u32_e32 v3, v63, v3
	v_sub_u32_e32 v1, v93, v1
	v_lshrrev_b32_e32 v3, s51, v3
	v_mad_i64_i32 v[40:41], s[48:49], v1, s40, 0
	v_mul_lo_u32 v3, v3, s96
	v_lshl_add_u64 v[40:41], v[40:41], 1, v[4:5]
	v_sub_u32_e32 v3, v63, v3
	flat_load_ushort v1, v[40:41]
	v_mad_i64_i32 v[40:41], s[48:49], v3, s40, 0
	v_lshl_add_u64 v[40:41], v[40:41], 1, v[4:5]
	flat_load_ushort v3, v[40:41]
	s_waitcnt vmcnt(0) lgkmcnt(0)
	ds_write_b16 v39, v1 offset:33792
	v_accvgpr_read_b32 v1, a150
	ds_write_b16 v1, v3 offset:33792
	v_mul_hi_u32 v1, s50, v64
	v_add_u32_e32 v1, v64, v1
	v_lshrrev_b32_e32 v1, s51, v1
	v_mul_hi_u32 v3, s50, v65
	v_mul_lo_u32 v1, v1, s96
	v_add_u32_e32 v3, v65, v3
	v_sub_u32_e32 v1, v64, v1
	v_lshrrev_b32_e32 v3, s51, v3
	v_mad_i64_i32 v[40:41], s[48:49], v1, s40, 0
	v_mul_lo_u32 v3, v3, s96
	v_lshl_add_u64 v[40:41], v[40:41], 1, v[4:5]
	v_sub_u32_e32 v3, v65, v3
	flat_load_ushort v1, v[40:41]
	v_mad_i64_i32 v[40:41], s[48:49], v3, s40, 0
	v_lshl_add_u64 v[4:5], v[40:41], 1, v[4:5]
	flat_load_ushort v3, v[4:5]
.LBB30_329:                             ;   in Loop: Header=BB30_16 Depth=1
	s_or_b64 exec, exec, s[46:47]
	v_accvgpr_read_b32 v4, a151
	s_waitcnt vmcnt(0) lgkmcnt(0)
	ds_write_b16 v4, v1 offset:33792
	v_accvgpr_read_b32 v1, a152
	ds_write_b16 v1, v3 offset:33792
.LBB30_330:                             ;   in Loop: Header=BB30_16 Depth=1
	v_mul_lo_u32 v1, v38, s79
	v_mul_hi_u32 v3, v38, s78
	v_add_u32_e32 v5, v3, v1
	v_mul_lo_u32 v4, v38, s78
	v_lshlrev_b64 v[4:5], 2, v[4:5]
	v_lshl_add_u64 v[50:51], v[140:141], 0, v[4:5]
	v_mov_b32_e32 v3, v2
	v_mov_b32_e32 v4, v2
	;; [unrolled: 1-line block ×3, first 2 shown]
	scratch_store_dwordx4 off, v[2:5], off
	v_accvgpr_read_b32 v40, a26
	v_lshlrev_b32_e32 v40, 2, v40
	v_accvgpr_read_b32 v4, a52
	v_accvgpr_read_b32 v5, a53
	v_lshl_add_u64 v[4:5], v[4:5], 2, v[50:51]
	v_mov_b32_e32 v41, v2
	v_cmp_lt_i32_e64 s[46:47], v155, v44
	v_lshl_add_u64 v[4:5], v[4:5], 0, v[40:41]
	v_mov_b32_e32 v1, s81
	v_mov_b32_e32 v3, s80
	v_cndmask_b32_e64 v5, v1, v5, s[46:47]
	v_cndmask_b32_e64 v4, v3, v4, s[46:47]
	flat_load_dwordx4 v[46:49], v[4:5]
	v_accvgpr_read_b32 v4, a54
	v_accvgpr_read_b32 v5, a55
	v_lshl_add_u64 v[4:5], v[4:5], 2, v[50:51]
	v_cmp_lt_i32_e64 s[48:49], v163, v44
	v_lshl_add_u64 v[4:5], v[4:5], 0, v[40:41]
	v_cmp_lt_i32_e64 s[50:51], v164, v44
	v_cndmask_b32_e64 v5, v1, v5, s[48:49]
	v_cndmask_b32_e64 v4, v3, v4, s[48:49]
	v_cmp_lt_i32_e64 s[52:53], v165, v44
	v_cmp_lt_i32_e64 s[54:55], v166, v44
	;; [unrolled: 1-line block ×5, first 2 shown]
	s_waitcnt vmcnt(0) lgkmcnt(0)
	ds_write_b128 v202, v[46:49]
	flat_load_dwordx4 v[46:49], v[4:5]
	v_accvgpr_read_b32 v4, a56
	v_accvgpr_read_b32 v5, a57
	v_lshl_add_u64 v[4:5], v[4:5], 2, v[50:51]
	v_lshl_add_u64 v[4:5], v[4:5], 0, v[40:41]
	v_cndmask_b32_e64 v5, v1, v5, s[50:51]
	v_cndmask_b32_e64 v4, v3, v4, s[50:51]
	s_waitcnt vmcnt(0) lgkmcnt(0)
	ds_write_b128 v200, v[46:49]
	flat_load_dwordx4 v[46:49], v[4:5]
	v_accvgpr_read_b32 v4, a58
	v_accvgpr_read_b32 v5, a59
	v_lshl_add_u64 v[4:5], v[4:5], 2, v[50:51]
	v_lshl_add_u64 v[4:5], v[4:5], 0, v[40:41]
	v_cndmask_b32_e64 v5, v1, v5, s[52:53]
	v_cndmask_b32_e64 v4, v3, v4, s[52:53]
	;; [unrolled: 9-line block ×6, first 2 shown]
	v_add_u32_e32 v1, 0x4000, v251
                                        ; implicit-def: $vgpr3
	s_waitcnt vmcnt(0) lgkmcnt(0)
	ds_write_b128 v0, v[46:49]
	flat_load_dwordx4 v[46:49], v[4:5]
	s_waitcnt vmcnt(0) lgkmcnt(0)
	ds_write_b128 v252, v[46:49]
	s_waitcnt lgkmcnt(0)
	s_barrier
	ds_read2_b64 v[46:49], v251 offset1:4
	s_waitcnt lgkmcnt(0)
	v_mfma_f32_16x16x16_f16 a[0:3], v[46:47], v[34:35], 0
	v_mfma_f32_16x16x16_f16 a[0:3], v[48:49], v[36:37], a[0:3]
	ds_read2_b64 v[46:49], v251 offset0:8 offset1:12
	s_waitcnt lgkmcnt(0)
	v_mfma_f32_16x16x16_f16 a[0:3], v[46:47], v[30:31], a[0:3]
	v_mfma_f32_16x16x16_f16 a[0:3], v[48:49], v[32:33], a[0:3]
	ds_read2_b64 v[46:49], v251 offset0:16 offset1:20
	s_waitcnt lgkmcnt(0)
	v_mfma_f32_16x16x16_f16 a[0:3], v[46:47], v[26:27], a[0:3]
	v_mfma_f32_16x16x16_f16 a[0:3], v[48:49], v[28:29], a[0:3]
	ds_read2_b64 v[46:49], v251 offset0:24 offset1:28
	s_waitcnt lgkmcnt(0)
	v_mfma_f32_16x16x16_f16 a[0:3], v[46:47], v[22:23], a[0:3]
	v_mfma_f32_16x16x16_f16 a[0:3], v[48:49], v[24:25], a[0:3]
	ds_read2_b64 v[46:49], v251 offset0:32 offset1:36
	s_waitcnt lgkmcnt(0)
	v_mfma_f32_16x16x16_f16 a[0:3], v[46:47], v[18:19], a[0:3]
	v_mfma_f32_16x16x16_f16 a[0:3], v[48:49], v[20:21], a[0:3]
	ds_read2_b64 v[46:49], v251 offset0:40 offset1:44
	s_waitcnt lgkmcnt(0)
	v_mfma_f32_16x16x16_f16 a[0:3], v[46:47], v[14:15], a[0:3]
	v_mfma_f32_16x16x16_f16 a[0:3], v[48:49], v[16:17], a[0:3]
	ds_read2_b64 v[46:49], v251 offset0:48 offset1:52
	s_waitcnt lgkmcnt(0)
	v_mfma_f32_16x16x16_f16 a[0:3], v[46:47], v[10:11], a[0:3]
	v_mfma_f32_16x16x16_f16 a[0:3], v[48:49], v[12:13], a[0:3]
	ds_read2_b64 v[46:49], v251 offset0:56 offset1:60
	s_waitcnt lgkmcnt(0)
	v_mfma_f32_16x16x16_f16 a[0:3], v[46:47], v[6:7], a[0:3]
	v_mfma_f32_16x16x16_f16 a[0:3], v[48:49], v[8:9], a[0:3]
	ds_read2_b64 v[46:49], v1 offset0:64 offset1:68
	s_waitcnt lgkmcnt(0)
	v_mfma_f32_16x16x16_f16 a[4:7], v[46:47], v[34:35], 0
	v_mfma_f32_16x16x16_f16 a[4:7], v[48:49], v[36:37], a[4:7]
	ds_read2_b64 v[34:37], v1 offset0:72 offset1:76
	s_waitcnt lgkmcnt(0)
	v_mfma_f32_16x16x16_f16 a[4:7], v[34:35], v[30:31], a[4:7]
	v_mfma_f32_16x16x16_f16 a[4:7], v[36:37], v[32:33], a[4:7]
	ds_read2_b64 v[30:33], v1 offset0:80 offset1:84
	s_waitcnt lgkmcnt(0)
	v_mfma_f32_16x16x16_f16 a[4:7], v[30:31], v[26:27], a[4:7]
	v_mfma_f32_16x16x16_f16 a[4:7], v[32:33], v[28:29], a[4:7]
	ds_read2_b64 v[26:29], v1 offset0:88 offset1:92
	s_waitcnt lgkmcnt(0)
	v_mfma_f32_16x16x16_f16 a[4:7], v[26:27], v[22:23], a[4:7]
	v_mfma_f32_16x16x16_f16 a[4:7], v[28:29], v[24:25], a[4:7]
	ds_read2_b64 v[22:25], v1 offset0:96 offset1:100
	s_waitcnt lgkmcnt(0)
	v_mfma_f32_16x16x16_f16 a[4:7], v[22:23], v[18:19], a[4:7]
	v_mfma_f32_16x16x16_f16 a[4:7], v[24:25], v[20:21], a[4:7]
	ds_read2_b64 v[18:21], v1 offset0:104 offset1:108
	s_waitcnt lgkmcnt(0)
	v_mfma_f32_16x16x16_f16 a[4:7], v[18:19], v[14:15], a[4:7]
	v_mfma_f32_16x16x16_f16 a[4:7], v[20:21], v[16:17], a[4:7]
	ds_read2_b64 v[14:17], v1 offset0:112 offset1:116
	s_waitcnt lgkmcnt(0)
	v_mfma_f32_16x16x16_f16 a[4:7], v[14:15], v[10:11], a[4:7]
	v_mfma_f32_16x16x16_f16 a[4:7], v[16:17], v[12:13], a[4:7]
	ds_read2_b64 v[10:13], v1 offset0:120 offset1:124
	v_accvgpr_read_b32 v1, a0
	v_cmp_nlt_f32_e64 s[62:63], |v1|, s94
	s_waitcnt lgkmcnt(0)
	v_mfma_f32_16x16x16_f16 a[4:7], v[10:11], v[6:7], a[4:7]
	s_barrier
	v_mfma_f32_16x16x16_f16 a[4:7], v[12:13], v[8:9], a[4:7]
	s_and_saveexec_b64 s[64:65], s[62:63]
	s_xor_b64 s[62:63], exec, s[64:65]
	s_cbranch_execz .LBB30_332
; %bb.331:                              ;   in Loop: Header=BB30_16 Depth=1
	v_add_f32_e64 v3, |v1|, |v1|
	v_mul_f32_e32 v4, 0x3fb8aa3b, v3
	v_rndne_f32_e32 v5, v4
	v_sub_f32_e32 v6, v4, v5
	v_fma_f32 v4, v3, s97, -v4
	v_fmac_f32_e32 v4, 0x32a5705f, v3
	v_add_f32_e32 v4, v6, v4
	v_cvt_i32_f32_e32 v5, v5
	v_exp_f32_e32 v4, v4
	v_cmp_ngt_f32_e32 vcc, s43, v3
	v_ldexp_f32 v4, v4, v5
	s_nop 0
	v_cndmask_b32_e32 v4, 0, v4, vcc
	v_cmp_nlt_f32_e32 vcc, s87, v3
	s_nop 1
	v_cndmask_b32_e32 v3, v132, v4, vcc
	v_add_f32_e32 v3, 1.0, v3
	v_rcp_f32_e32 v3, v3
	s_nop 0
	v_fma_f32 v3, v3, -2.0, 1.0
.LBB30_332:                             ;   in Loop: Header=BB30_16 Depth=1
	s_andn2_saveexec_b64 s[62:63], s[62:63]
; %bb.333:                              ;   in Loop: Header=BB30_16 Depth=1
	v_mul_f32_e32 v3, v1, v1
	v_fmamk_f32 v4, v3, 0xbbbac73d, v58
	v_fmaak_f32 v4, v3, v4, 0xbd5c1c4e
	v_fmaak_f32 v4, v3, v4, 0x3e088382
	v_fmaak_f32 v4, v3, v4, 0xbeaaaa99
	v_mul_f32_e64 v4, |v1|, v4
	v_fma_f32 v3, v3, v4, |v1|
; %bb.334:                              ;   in Loop: Header=BB30_16 Depth=1
	s_or_b64 exec, exec, s[62:63]
	v_accvgpr_read_b32 v7, a3
	v_accvgpr_read_b32 v5, a1
	;; [unrolled: 1-line block ×4, first 2 shown]
	v_cmp_nlt_f32_e64 s[62:63], |v5|, s94
                                        ; implicit-def: $vgpr4
	s_and_saveexec_b64 s[64:65], s[62:63]
	s_xor_b64 s[62:63], exec, s[64:65]
	s_cbranch_execz .LBB30_336
; %bb.335:                              ;   in Loop: Header=BB30_16 Depth=1
	v_add_f32_e64 v4, |v5|, |v5|
	v_mul_f32_e32 v8, 0x3fb8aa3b, v4
	v_rndne_f32_e32 v9, v8
	v_sub_f32_e32 v10, v8, v9
	v_fma_f32 v8, v4, s97, -v8
	v_fmac_f32_e32 v8, 0x32a5705f, v4
	v_add_f32_e32 v8, v10, v8
	v_cvt_i32_f32_e32 v9, v9
	v_exp_f32_e32 v8, v8
	v_cmp_ngt_f32_e32 vcc, s43, v4
	v_ldexp_f32 v8, v8, v9
	s_nop 0
	v_cndmask_b32_e32 v8, 0, v8, vcc
	v_cmp_nlt_f32_e32 vcc, s87, v4
	s_nop 1
	v_cndmask_b32_e32 v4, v132, v8, vcc
	v_add_f32_e32 v4, 1.0, v4
	v_rcp_f32_e32 v4, v4
	s_nop 0
	v_fma_f32 v4, v4, -2.0, 1.0
.LBB30_336:                             ;   in Loop: Header=BB30_16 Depth=1
	s_andn2_saveexec_b64 s[62:63], s[62:63]
; %bb.337:                              ;   in Loop: Header=BB30_16 Depth=1
	v_mul_f32_e32 v4, v5, v5
	v_fmamk_f32 v8, v4, 0xbbbac73d, v58
	v_fmaak_f32 v8, v4, v8, 0xbd5c1c4e
	v_fmaak_f32 v8, v4, v8, 0x3e088382
	;; [unrolled: 1-line block ×3, first 2 shown]
	v_mul_f32_e64 v8, |v5|, v8
	v_fma_f32 v4, v4, v8, |v5|
; %bb.338:                              ;   in Loop: Header=BB30_16 Depth=1
	s_or_b64 exec, exec, s[62:63]
	v_cmp_nlt_f32_e64 s[62:63], |v6|, s94
                                        ; implicit-def: $vgpr15
	s_and_saveexec_b64 s[64:65], s[62:63]
	s_xor_b64 s[62:63], exec, s[64:65]
	s_cbranch_execz .LBB30_340
; %bb.339:                              ;   in Loop: Header=BB30_16 Depth=1
	v_add_f32_e64 v8, |v6|, |v6|
	v_mul_f32_e32 v9, 0x3fb8aa3b, v8
	v_rndne_f32_e32 v10, v9
	v_sub_f32_e32 v11, v9, v10
	v_fma_f32 v9, v8, s97, -v9
	v_fmac_f32_e32 v9, 0x32a5705f, v8
	v_add_f32_e32 v9, v11, v9
	v_cvt_i32_f32_e32 v10, v10
	v_exp_f32_e32 v9, v9
	v_cmp_ngt_f32_e32 vcc, s43, v8
	v_ldexp_f32 v9, v9, v10
	s_nop 0
	v_cndmask_b32_e32 v9, 0, v9, vcc
	v_cmp_nlt_f32_e32 vcc, s87, v8
	s_nop 1
	v_cndmask_b32_e32 v8, v132, v9, vcc
	v_add_f32_e32 v8, 1.0, v8
	v_rcp_f32_e32 v8, v8
	s_nop 0
	v_fma_f32 v15, v8, -2.0, 1.0
.LBB30_340:                             ;   in Loop: Header=BB30_16 Depth=1
	s_andn2_saveexec_b64 s[62:63], s[62:63]
; %bb.341:                              ;   in Loop: Header=BB30_16 Depth=1
	v_mul_f32_e32 v8, v6, v6
	v_fmamk_f32 v9, v8, 0xbbbac73d, v58
	v_fmaak_f32 v9, v8, v9, 0xbd5c1c4e
	v_fmaak_f32 v9, v8, v9, 0x3e088382
	;; [unrolled: 1-line block ×3, first 2 shown]
	v_mul_f32_e64 v9, |v6|, v9
	v_fma_f32 v15, v8, v9, |v6|
; %bb.342:                              ;   in Loop: Header=BB30_16 Depth=1
	s_or_b64 exec, exec, s[62:63]
	v_cmp_nlt_f32_e64 s[62:63], |v7|, s94
                                        ; implicit-def: $vgpr19
	s_and_saveexec_b64 s[64:65], s[62:63]
	s_xor_b64 s[62:63], exec, s[64:65]
	s_cbranch_execz .LBB30_344
; %bb.343:                              ;   in Loop: Header=BB30_16 Depth=1
	v_add_f32_e64 v8, |v7|, |v7|
	v_mul_f32_e32 v9, 0x3fb8aa3b, v8
	v_rndne_f32_e32 v10, v9
	v_sub_f32_e32 v11, v9, v10
	v_fma_f32 v9, v8, s97, -v9
	v_fmac_f32_e32 v9, 0x32a5705f, v8
	v_add_f32_e32 v9, v11, v9
	v_cvt_i32_f32_e32 v10, v10
	v_exp_f32_e32 v9, v9
	v_cmp_ngt_f32_e32 vcc, s43, v8
	v_ldexp_f32 v9, v9, v10
	s_nop 0
	v_cndmask_b32_e32 v9, 0, v9, vcc
	v_cmp_nlt_f32_e32 vcc, s87, v8
	s_nop 1
	v_cndmask_b32_e32 v8, v132, v9, vcc
	v_add_f32_e32 v8, 1.0, v8
	v_rcp_f32_e32 v8, v8
	s_nop 0
	v_fma_f32 v19, v8, -2.0, 1.0
.LBB30_344:                             ;   in Loop: Header=BB30_16 Depth=1
	s_andn2_saveexec_b64 s[62:63], s[62:63]
; %bb.345:                              ;   in Loop: Header=BB30_16 Depth=1
	v_mul_f32_e32 v8, v7, v7
	v_fmamk_f32 v9, v8, 0xbbbac73d, v58
	v_fmaak_f32 v9, v8, v9, 0xbd5c1c4e
	v_fmaak_f32 v9, v8, v9, 0x3e088382
	;; [unrolled: 1-line block ×3, first 2 shown]
	v_mul_f32_e64 v9, |v7|, v9
	v_fma_f32 v19, v8, v9, |v7|
; %bb.346:                              ;   in Loop: Header=BB30_16 Depth=1
	s_or_b64 exec, exec, s[62:63]
	v_accvgpr_read_b32 v11, a7
	v_accvgpr_read_b32 v8, a4
	;; [unrolled: 1-line block ×4, first 2 shown]
	v_cmp_nlt_f32_e64 s[62:63], |v8|, s94
                                        ; implicit-def: $vgpr12
	s_and_saveexec_b64 s[64:65], s[62:63]
	s_xor_b64 s[62:63], exec, s[64:65]
	s_cbranch_execz .LBB30_348
; %bb.347:                              ;   in Loop: Header=BB30_16 Depth=1
	v_add_f32_e64 v12, |v8|, |v8|
	v_mul_f32_e32 v13, 0x3fb8aa3b, v12
	v_rndne_f32_e32 v14, v13
	v_sub_f32_e32 v16, v13, v14
	v_fma_f32 v13, v12, s97, -v13
	v_fmac_f32_e32 v13, 0x32a5705f, v12
	v_add_f32_e32 v13, v16, v13
	v_cvt_i32_f32_e32 v14, v14
	v_exp_f32_e32 v13, v13
	v_cmp_ngt_f32_e32 vcc, s43, v12
	v_ldexp_f32 v13, v13, v14
	s_nop 0
	v_cndmask_b32_e32 v13, 0, v13, vcc
	v_cmp_nlt_f32_e32 vcc, s87, v12
	s_nop 1
	v_cndmask_b32_e32 v12, v132, v13, vcc
	v_add_f32_e32 v12, 1.0, v12
	v_rcp_f32_e32 v12, v12
	s_nop 0
	v_fma_f32 v12, v12, -2.0, 1.0
.LBB30_348:                             ;   in Loop: Header=BB30_16 Depth=1
	s_andn2_saveexec_b64 s[62:63], s[62:63]
; %bb.349:                              ;   in Loop: Header=BB30_16 Depth=1
	v_mul_f32_e32 v12, v8, v8
	v_fmamk_f32 v13, v12, 0xbbbac73d, v58
	v_fmaak_f32 v13, v12, v13, 0xbd5c1c4e
	v_fmaak_f32 v13, v12, v13, 0x3e088382
	;; [unrolled: 1-line block ×3, first 2 shown]
	v_mul_f32_e64 v13, |v8|, v13
	v_fma_f32 v12, v12, v13, |v8|
; %bb.350:                              ;   in Loop: Header=BB30_16 Depth=1
	s_or_b64 exec, exec, s[62:63]
	v_cmp_nlt_f32_e64 s[62:63], |v9|, s94
                                        ; implicit-def: $vgpr13
	s_and_saveexec_b64 s[64:65], s[62:63]
	s_xor_b64 s[62:63], exec, s[64:65]
	s_cbranch_execz .LBB30_352
; %bb.351:                              ;   in Loop: Header=BB30_16 Depth=1
	v_add_f32_e64 v13, |v9|, |v9|
	v_mul_f32_e32 v14, 0x3fb8aa3b, v13
	v_rndne_f32_e32 v16, v14
	v_sub_f32_e32 v17, v14, v16
	v_fma_f32 v14, v13, s97, -v14
	v_fmac_f32_e32 v14, 0x32a5705f, v13
	v_add_f32_e32 v14, v17, v14
	v_cvt_i32_f32_e32 v16, v16
	v_exp_f32_e32 v14, v14
	v_cmp_ngt_f32_e32 vcc, s43, v13
	v_ldexp_f32 v14, v14, v16
	s_nop 0
	v_cndmask_b32_e32 v14, 0, v14, vcc
	v_cmp_nlt_f32_e32 vcc, s87, v13
	s_nop 1
	v_cndmask_b32_e32 v13, v132, v14, vcc
	v_add_f32_e32 v13, 1.0, v13
	v_rcp_f32_e32 v13, v13
	s_nop 0
	v_fma_f32 v13, v13, -2.0, 1.0
.LBB30_352:                             ;   in Loop: Header=BB30_16 Depth=1
	s_andn2_saveexec_b64 s[62:63], s[62:63]
; %bb.353:                              ;   in Loop: Header=BB30_16 Depth=1
	v_mul_f32_e32 v13, v9, v9
	v_fmamk_f32 v14, v13, 0xbbbac73d, v58
	v_fmaak_f32 v14, v13, v14, 0xbd5c1c4e
	v_fmaak_f32 v14, v13, v14, 0x3e088382
	;; [unrolled: 1-line block ×3, first 2 shown]
	v_mul_f32_e64 v14, |v9|, v14
	v_fma_f32 v13, v13, v14, |v9|
; %bb.354:                              ;   in Loop: Header=BB30_16 Depth=1
	s_or_b64 exec, exec, s[62:63]
	v_cmp_nlt_f32_e64 s[62:63], |v10|, s94
                                        ; implicit-def: $vgpr14
	s_and_saveexec_b64 s[64:65], s[62:63]
	s_xor_b64 s[62:63], exec, s[64:65]
	s_cbranch_execz .LBB30_356
; %bb.355:                              ;   in Loop: Header=BB30_16 Depth=1
	v_add_f32_e64 v14, |v10|, |v10|
	v_mul_f32_e32 v16, 0x3fb8aa3b, v14
	v_rndne_f32_e32 v17, v16
	v_sub_f32_e32 v18, v16, v17
	v_fma_f32 v16, v14, s97, -v16
	v_fmac_f32_e32 v16, 0x32a5705f, v14
	v_add_f32_e32 v16, v18, v16
	v_cvt_i32_f32_e32 v17, v17
	v_exp_f32_e32 v16, v16
	v_cmp_ngt_f32_e32 vcc, s43, v14
	v_ldexp_f32 v16, v16, v17
	s_nop 0
	v_cndmask_b32_e32 v16, 0, v16, vcc
	v_cmp_nlt_f32_e32 vcc, s87, v14
	s_nop 1
	v_cndmask_b32_e32 v14, v132, v16, vcc
	v_add_f32_e32 v14, 1.0, v14
	v_rcp_f32_e32 v14, v14
	s_nop 0
	v_fma_f32 v14, v14, -2.0, 1.0
.LBB30_356:                             ;   in Loop: Header=BB30_16 Depth=1
	s_andn2_saveexec_b64 s[62:63], s[62:63]
; %bb.357:                              ;   in Loop: Header=BB30_16 Depth=1
	v_mul_f32_e32 v14, v10, v10
	v_fmamk_f32 v16, v14, 0xbbbac73d, v58
	v_fmaak_f32 v16, v14, v16, 0xbd5c1c4e
	v_fmaak_f32 v16, v14, v16, 0x3e088382
	;; [unrolled: 1-line block ×3, first 2 shown]
	v_mul_f32_e64 v16, |v10|, v16
	v_fma_f32 v14, v14, v16, |v10|
; %bb.358:                              ;   in Loop: Header=BB30_16 Depth=1
	s_or_b64 exec, exec, s[62:63]
	v_cmp_nlt_f32_e64 s[62:63], |v11|, s94
                                        ; implicit-def: $vgpr20
	s_and_saveexec_b64 s[64:65], s[62:63]
	s_xor_b64 s[62:63], exec, s[64:65]
	s_cbranch_execz .LBB30_360
; %bb.359:                              ;   in Loop: Header=BB30_16 Depth=1
	v_add_f32_e64 v16, |v11|, |v11|
	v_mul_f32_e32 v17, 0x3fb8aa3b, v16
	v_rndne_f32_e32 v18, v17
	v_sub_f32_e32 v20, v17, v18
	v_fma_f32 v17, v16, s97, -v17
	v_fmac_f32_e32 v17, 0x32a5705f, v16
	v_add_f32_e32 v17, v20, v17
	v_cvt_i32_f32_e32 v18, v18
	v_exp_f32_e32 v17, v17
	v_cmp_ngt_f32_e32 vcc, s43, v16
	v_ldexp_f32 v17, v17, v18
	s_nop 0
	v_cndmask_b32_e32 v17, 0, v17, vcc
	v_cmp_nlt_f32_e32 vcc, s87, v16
	s_nop 1
	v_cndmask_b32_e32 v16, v132, v17, vcc
	v_add_f32_e32 v16, 1.0, v16
	v_rcp_f32_e32 v16, v16
	s_nop 0
	v_fma_f32 v20, v16, -2.0, 1.0
.LBB30_360:                             ;   in Loop: Header=BB30_16 Depth=1
	s_andn2_saveexec_b64 s[62:63], s[62:63]
; %bb.361:                              ;   in Loop: Header=BB30_16 Depth=1
	v_mul_f32_e32 v16, v11, v11
	v_fmamk_f32 v17, v16, 0xbbbac73d, v58
	v_fmaak_f32 v17, v16, v17, 0xbd5c1c4e
	v_fmaak_f32 v17, v16, v17, 0x3e088382
	;; [unrolled: 1-line block ×3, first 2 shown]
	v_mul_f32_e64 v17, |v11|, v17
	v_fma_f32 v20, v16, v17, |v11|
; %bb.362:                              ;   in Loop: Header=BB30_16 Depth=1
	s_or_b64 exec, exec, s[62:63]
	v_bfi_b32 v1, s86, v3, v1
	v_mul_f32_e32 v16, s3, v1
	v_bfi_b32 v1, s86, v4, v5
	v_bfi_b32 v8, s86, v12, v8
	v_mul_f32_e32 v17, s3, v1
	v_bfi_b32 v1, s86, v15, v6
	v_mul_f32_e32 v12, s3, v8
	;; [unrolled: 2-line block ×6, first 2 shown]
	v_mul_f32_e32 v15, s3, v1
	s_and_b64 vcc, exec, s[44:45]
	s_cbranch_vccz .LBB30_456
; %bb.363:                              ;   in Loop: Header=BB30_16 Depth=1
	v_accvgpr_read_b32 v1, a69
	v_add_u32_e32 v1, 0x8400, v1
	ds_read2_b32 v[4:5], v1 offset1:1
	v_accvgpr_read_b32 v1, a71
	v_accvgpr_read_b32 v3, a73
	ds_read_b32 v1, v1 offset:33792
	ds_read_b32 v3, v3 offset:33792
	s_waitcnt lgkmcnt(2)
	v_cvt_f32_f16_e32 v6, v4
	v_cvt_f32_f16_sdwa v7, v4 dst_sel:DWORD dst_unused:UNUSED_PAD src0_sel:WORD_1
	v_cvt_f32_f16_e32 v4, v5
	v_cvt_f32_f16_sdwa v5, v5 dst_sel:DWORD dst_unused:UNUSED_PAD src0_sel:WORD_1
	s_waitcnt lgkmcnt(1)
	v_cvt_f32_f16_sdwa v21, v1 dst_sel:DWORD dst_unused:UNUSED_PAD src0_sel:WORD_1
	s_waitcnt lgkmcnt(0)
	v_cvt_f32_f16_sdwa v23, v3 dst_sel:DWORD dst_unused:UNUSED_PAD src0_sel:WORD_1
	v_cvt_f32_f16_e32 v22, v3
	v_cvt_f32_f16_e32 v20, v1
	v_pk_fma_f32 v[10:11], v[136:137], v[4:5], v[18:19] op_sel_hi:[0,1,1]
	v_pk_fma_f32 v[8:9], v[136:137], v[6:7], v[16:17] op_sel_hi:[0,1,1]
	;; [unrolled: 1-line block ×4, first 2 shown]
	s_cbranch_execnz .LBB30_365
.LBB30_364:                             ;   in Loop: Header=BB30_16 Depth=1
	v_mov_b64_e32 v[4:5], v[12:13]
	v_mov_b64_e32 v[8:9], v[16:17]
	;; [unrolled: 1-line block ×4, first 2 shown]
.LBB30_365:                             ;   in Loop: Header=BB30_16 Depth=1
	v_add_f32_e32 v1, 0x40051340, v8
	v_max_f32_e32 v3, v42, v42
	v_cmp_lt_u32_e64 s[70:71], v159, v44
	v_max_f32_e32 v1, v3, v1
	v_add_f32_e32 v3, 0x40051340, v9
	v_cndmask_b32_e64 v1, v42, v1, s[70:71]
	v_max_f32_e32 v12, v1, v1
	v_cmp_lt_u32_e64 s[72:73], v177, v44
	v_max_f32_e32 v3, v12, v3
	v_cmp_lt_u32_e64 s[74:75], v178, v44
	v_cndmask_b32_e64 v1, v1, v3, s[72:73]
	v_add_f32_e32 v3, 0x40051340, v10
	v_max_f32_e32 v12, v1, v1
	v_max_f32_e32 v3, v12, v3
	v_cndmask_b32_e64 v1, v1, v3, s[74:75]
	v_accvgpr_read_b32 v3, a163
	v_cmp_lt_u32_e64 s[66:67], v3, v44
	v_add_f32_e32 v3, 0x40051340, v11
	v_max_f32_e32 v12, v1, v1
	v_max_f32_e32 v3, v12, v3
	v_cndmask_b32_e64 v1, v1, v3, s[66:67]
	v_add_f32_e32 v3, 0x40051340, v4
	v_max_f32_e32 v12, v1, v1
	v_cmp_lt_u32_e64 s[64:65], v160, v44
	v_max_f32_e32 v3, v12, v3
	v_cmp_lt_u32_e64 s[44:45], v161, v44
	v_cndmask_b32_e64 v1, v1, v3, s[64:65]
	v_accvgpr_read_b32 v3, a164
	v_cmp_lt_u32_e64 s[62:63], v3, v44
	v_add_f32_e32 v3, 0x40051340, v5
	v_max_f32_e32 v12, v1, v1
	v_max_f32_e32 v3, v12, v3
	v_cndmask_b32_e64 v1, v1, v3, s[62:63]
	v_add_f32_e32 v3, 0x40051340, v6
	v_max_f32_e32 v12, v1, v1
	v_max_f32_e32 v3, v12, v3
	v_cndmask_b32_e64 v1, v1, v3, s[44:45]
	v_accvgpr_read_b32 v3, a165
	v_cmp_lt_u32_e32 vcc, v3, v44
	v_add_f32_e32 v3, 0x40051340, v7
	v_max_f32_e32 v12, v1, v1
	v_max_f32_e32 v3, v12, v3
	v_cndmask_b32_e32 v1, v1, v3, vcc
	v_and_b32_e32 v3, 64, v170
	v_add_u32_e32 v3, 64, v3
	v_xor_b32_e32 v12, 32, v170
	v_cmp_lt_i32_e64 s[76:77], v12, v3
	v_cndmask_b32_e64 v10, v10, v10, s[72:73]
	v_cndmask_b32_e64 v5, v5, v5, s[64:65]
	;; [unrolled: 1-line block ×3, first 2 shown]
	v_lshlrev_b32_e32 v13, 2, v12
	ds_bpermute_b32 v12, v13, v1
	v_max_f32_e32 v1, v1, v1
	v_cndmask_b32_e64 v7, v7, v7, s[64:65]
	v_cndmask_b32_e64 v6, v6, v6, s[64:65]
	s_waitcnt lgkmcnt(0)
	v_max_f32_e32 v12, v12, v12
	v_max_f32_e32 v1, v1, v12
	v_xor_b32_e32 v12, 16, v170
	v_cmp_lt_i32_e64 s[76:77], v12, v3
	s_nop 1
	v_cndmask_b32_e64 v3, v170, v12, s[76:77]
	v_lshlrev_b32_e32 v37, 2, v3
	ds_bpermute_b32 v3, v37, v1
	s_waitcnt lgkmcnt(0)
	v_max_f32_e32 v3, v3, v3
	v_max_f32_e32 v12, v1, v3
	v_sub_f32_e32 v1, v8, v12
	v_mul_f32_e32 v3, 0x3fb8aa3b, v1
	v_fma_f32 v8, v1, s97, -v3
	v_rndne_f32_e32 v14, v3
	v_fmac_f32_e32 v8, 0x32a5705f, v1
	v_sub_f32_e32 v3, v3, v14
	v_add_f32_e32 v3, v3, v8
	v_exp_f32_e32 v3, v3
	v_cvt_i32_f32_e32 v8, v14
	v_cmp_ngt_f32_e64 s[76:77], s43, v1
	v_ldexp_f32 v3, v3, v8
	s_nop 0
	v_cndmask_b32_e64 v3, 0, v3, s[76:77]
	v_cmp_nlt_f32_e64 s[76:77], s87, v1
	s_nop 1
	v_cndmask_b32_e64 v1, v132, v3, s[76:77]
	v_cndmask_b32_e64 v18, 0, v1, s[70:71]
	v_sub_f32_e32 v1, v9, v12
	v_mul_f32_e32 v3, 0x3fb8aa3b, v1
	v_fma_f32 v8, v1, s97, -v3
	v_rndne_f32_e32 v9, v3
	v_fmac_f32_e32 v8, 0x32a5705f, v1
	v_sub_f32_e32 v3, v3, v9
	v_add_f32_e32 v3, v3, v8
	v_exp_f32_e32 v3, v3
	v_cvt_i32_f32_e32 v8, v9
	v_cmp_ngt_f32_e64 s[70:71], s43, v1
	v_cndmask_b32_e64 v9, v11, v11, s[72:73]
	v_ldexp_f32 v3, v3, v8
	v_cndmask_b32_e64 v3, 0, v3, s[70:71]
	v_cmp_nlt_f32_e64 s[70:71], s87, v1
	v_mov_b32_e32 v1, s37
	s_nop 0
	v_cndmask_b32_e64 v3, v132, v3, s[70:71]
	v_add_f32_e32 v8, v3, v18
	v_cndmask_b32_e64 v19, v1, v3, s[72:73]
	v_sub_f32_e32 v3, v10, v12
	v_cndmask_b32_e64 v1, v18, v8, s[72:73]
	v_mul_f32_e32 v8, 0x3fb8aa3b, v3
	v_fma_f32 v10, v3, s97, -v8
	v_rndne_f32_e32 v11, v8
	v_fmac_f32_e32 v10, 0x32a5705f, v3
	v_sub_f32_e32 v8, v8, v11
	v_add_f32_e32 v8, v8, v10
	v_exp_f32_e32 v8, v8
	v_cvt_i32_f32_e32 v10, v11
	v_cmp_ngt_f32_e64 s[70:71], s43, v3
	v_ldexp_f32 v8, v8, v10
	s_nop 0
	v_cndmask_b32_e64 v8, 0, v8, s[70:71]
	v_cmp_nlt_f32_e64 s[70:71], s87, v3
	s_nop 1
	v_cndmask_b32_e64 v3, v132, v8, s[70:71]
	v_mov_b32_e32 v8, s37
	v_add_f32_e32 v10, v1, v3
	v_cndmask_b32_e64 v41, v8, v3, s[74:75]
	v_sub_f32_e32 v3, v9, v12
	v_mul_f32_e32 v8, 0x3fb8aa3b, v3
	v_cndmask_b32_e64 v1, v1, v10, s[74:75]
	v_fma_f32 v9, v3, s97, -v8
	v_rndne_f32_e32 v10, v8
	v_fmac_f32_e32 v9, 0x32a5705f, v3
	v_sub_f32_e32 v8, v8, v10
	v_add_f32_e32 v8, v8, v9
	v_exp_f32_e32 v8, v8
	v_cvt_i32_f32_e32 v9, v10
	v_cmp_ngt_f32_e64 s[70:71], s43, v3
	v_ldexp_f32 v8, v8, v9
	s_nop 0
	v_cndmask_b32_e64 v8, 0, v8, s[70:71]
	v_cmp_nlt_f32_e64 s[70:71], s87, v3
	v_mov_b32_e32 v3, s37
	s_nop 0
	v_cndmask_b32_e64 v8, v132, v8, s[70:71]
	v_cndmask_b32_e64 v48, v3, v8, s[66:67]
	v_sub_f32_e32 v3, v4, v12
	v_add_f32_e32 v9, v1, v8
	v_mul_f32_e32 v4, 0x3fb8aa3b, v3
	v_cndmask_b32_e64 v1, v1, v9, s[66:67]
	v_fma_f32 v8, v3, s97, -v4
	v_rndne_f32_e32 v9, v4
	v_fmac_f32_e32 v8, 0x32a5705f, v3
	v_sub_f32_e32 v4, v4, v9
	v_add_f32_e32 v4, v4, v8
	v_exp_f32_e32 v4, v4
	v_cvt_i32_f32_e32 v8, v9
	v_cmp_ngt_f32_e64 s[66:67], s43, v3
	v_ldexp_f32 v4, v4, v8
	s_nop 0
	v_cndmask_b32_e64 v4, 0, v4, s[66:67]
	v_cmp_nlt_f32_e64 s[66:67], s87, v3
	s_nop 1
	v_cndmask_b32_e64 v3, v132, v4, s[66:67]
	v_add_f32_e32 v8, v3, v1
	v_mov_b32_e32 v4, s37
	v_cndmask_b32_e64 v49, v4, v3, s[64:65]
	v_cndmask_b32_e64 v3, v1, v8, s[64:65]
	v_sub_f32_e32 v1, v5, v12
	v_mul_f32_e32 v4, 0x3fb8aa3b, v1
	v_fma_f32 v5, v1, s97, -v4
	v_rndne_f32_e32 v8, v4
	v_fmac_f32_e32 v5, 0x32a5705f, v1
	v_sub_f32_e32 v4, v4, v8
	v_add_f32_e32 v4, v4, v5
	v_exp_f32_e32 v4, v4
	v_cvt_i32_f32_e32 v5, v8
	v_cmp_ngt_f32_e64 s[64:65], s43, v1
	v_ldexp_f32 v4, v4, v5
	s_nop 0
	v_cndmask_b32_e64 v4, 0, v4, s[64:65]
	v_cmp_nlt_f32_e64 s[64:65], s87, v1
	v_mov_b32_e32 v1, s37
	s_nop 0
	v_cndmask_b32_e64 v4, v132, v4, s[64:65]
	v_add_f32_e32 v5, v4, v3
	v_cndmask_b32_e64 v50, v1, v4, s[62:63]
	v_cndmask_b32_e64 v1, v3, v5, s[62:63]
	v_sub_f32_e32 v3, v6, v12
	v_mul_f32_e32 v4, 0x3fb8aa3b, v3
	v_fma_f32 v5, v3, s97, -v4
	v_rndne_f32_e32 v6, v4
	v_fmac_f32_e32 v5, 0x32a5705f, v3
	v_sub_f32_e32 v4, v4, v6
	v_add_f32_e32 v4, v4, v5
	v_exp_f32_e32 v4, v4
	v_cvt_i32_f32_e32 v5, v6
	v_cmp_ngt_f32_e64 s[62:63], s43, v3
	v_ldexp_f32 v4, v4, v5
	s_nop 0
	v_cndmask_b32_e64 v4, 0, v4, s[62:63]
	v_cmp_nlt_f32_e64 s[62:63], s87, v3
	s_nop 1
	v_cndmask_b32_e64 v3, v132, v4, s[62:63]
	v_mov_b32_e32 v4, s37
	v_add_f32_e32 v5, v3, v1
	v_cndmask_b32_e64 v4, v4, v3, s[44:45]
	v_sub_f32_e32 v3, v7, v12
	v_cndmask_b32_e64 v1, v1, v5, s[44:45]
	v_mul_f32_e32 v5, 0x3fb8aa3b, v3
	v_fma_f32 v6, v3, s97, -v5
	v_rndne_f32_e32 v7, v5
	v_fmac_f32_e32 v6, 0x32a5705f, v3
	v_sub_f32_e32 v5, v5, v7
	v_add_f32_e32 v5, v5, v6
	v_exp_f32_e32 v5, v5
	v_cvt_i32_f32_e32 v6, v7
	v_cmp_ngt_f32_e64 s[44:45], s43, v3
	v_cvt_f16_f32_e32 v4, v4
	v_ldexp_f32 v5, v5, v6
	v_cndmask_b32_e64 v5, 0, v5, s[44:45]
	v_cmp_nlt_f32_e64 s[44:45], s87, v3
	v_mov_b32_e32 v3, s37
	s_nop 0
	v_cndmask_b32_e64 v5, v132, v5, s[44:45]
	v_add_f32_e32 v6, v5, v1
	v_cndmask_b32_e32 v39, v1, v6, vcc
	v_sub_f32_e32 v1, v42, v12
	v_cndmask_b32_e32 v3, v3, v5, vcc
	v_mul_f32_e32 v5, 0x3fb8aa3b, v1
	v_fma_f32 v6, v1, s97, -v5
	v_rndne_f32_e32 v7, v5
	v_fmac_f32_e32 v6, 0x32a5705f, v1
	v_sub_f32_e32 v5, v5, v7
	v_add_f32_e32 v5, v5, v6
	v_exp_f32_e32 v5, v5
	v_cvt_i32_f32_e32 v6, v7
	v_cmp_ngt_f32_e32 vcc, s43, v1
	v_cvt_f16_f32_e32 v3, v3
	v_ldexp_f32 v5, v5, v6
	v_cndmask_b32_e32 v5, 0, v5, vcc
	v_cmp_nlt_f32_e32 vcc, s87, v1
	v_cvt_f16_f32_e32 v6, v19
	v_pack_b32_f16 v7, v4, v3
	v_cndmask_b32_e32 v5, v132, v5, vcc
	v_cmp_le_f32_e32 vcc, s36, v1
	v_mul_lo_u32 v3, v38, s99
	v_mul_hi_u32 v4, v38, s98
	v_cndmask_b32_e32 v1, 0, v5, vcc
	v_cvt_f16_f32_e32 v5, v1
	v_fmac_f32_e32 v39, v43, v1
	ds_bpermute_b32 v13, v13, v39
	v_cmp_eq_u64_e32 vcc, 0, v[216:217]
	v_pk_mul_f16 v47, v5, v67 op_sel_hi:[0,1]
	v_pk_mul_f16 v1, v5, v66 op_sel_hi:[0,1]
	;; [unrolled: 1-line block ×32, first 2 shown]
	v_cvt_f16_f32_e32 v5, v18
	s_waitcnt lgkmcnt(0)
	v_add_f32_e32 v13, v39, v13
	v_pack_b32_f16 v18, v5, v6
	v_cvt_f16_f32_e32 v5, v41
	v_cvt_f16_f32_e32 v6, v48
	v_mov_b32_e32 v41, v2
	v_pack_b32_f16 v19, v5, v6
	v_cvt_f16_f32_e32 v5, v49
	v_cvt_f16_f32_e32 v6, v50
	v_accvgpr_read_b32 v50, a76
	v_accvgpr_read_b32 v51, a77
	;; [unrolled: 1-line block ×3, first 2 shown]
	v_pack_b32_f16 v6, v5, v6
	v_add_u32_e32 v5, v4, v3
	v_mul_lo_u32 v4, v38, s98
	v_lshlrev_b64 v[4:5], 2, v[4:5]
	v_lshl_add_u64 v[4:5], v[134:135], 0, v[4:5]
	v_lshl_add_u64 v[50:51], v[50:51], 2, v[4:5]
	v_mov_b32_e32 v3, s81
	v_mov_b32_e32 v38, s80
	v_lshl_add_u64 v[50:51], v[50:51], 0, v[40:41]
	v_cndmask_b32_e64 v53, v3, v51, s[48:49]
	v_cndmask_b32_e64 v52, v38, v50, s[48:49]
	v_accvgpr_read_b32 v50, a78
	v_accvgpr_read_b32 v51, a79
	v_lshl_add_u64 v[50:51], v[50:51], 2, v[4:5]
	v_lshl_add_u64 v[50:51], v[50:51], 0, v[40:41]
	v_cndmask_b32_e64 v63, v3, v51, s[50:51]
	v_cndmask_b32_e64 v62, v38, v50, s[50:51]
	v_accvgpr_read_b32 v50, a80
	v_accvgpr_read_b32 v51, a81
	v_lshl_add_u64 v[50:51], v[50:51], 2, v[4:5]
	v_lshl_add_u64 v[50:51], v[50:51], 0, v[40:41]
	v_cndmask_b32_e64 v65, v3, v51, s[52:53]
	v_cndmask_b32_e64 v64, v38, v50, s[52:53]
	v_accvgpr_read_b32 v50, a82
	v_accvgpr_read_b32 v51, a83
	v_lshl_add_u64 v[50:51], v[50:51], 2, v[4:5]
	v_lshl_add_u64 v[50:51], v[50:51], 0, v[40:41]
	v_cndmask_b32_e64 v67, v3, v51, s[54:55]
	v_cndmask_b32_e64 v66, v38, v50, s[54:55]
	v_accvgpr_read_b32 v50, a84
	v_accvgpr_read_b32 v51, a85
	v_lshl_add_u64 v[50:51], v[50:51], 2, v[4:5]
	v_lshl_add_u64 v[50:51], v[50:51], 0, v[40:41]
	v_cndmask_b32_e64 v69, v3, v51, s[56:57]
	v_cndmask_b32_e64 v68, v38, v50, s[56:57]
	v_accvgpr_read_b32 v50, a86
	v_accvgpr_read_b32 v51, a87
	v_lshl_add_u64 v[50:51], v[50:51], 2, v[4:5]
	v_lshl_add_u64 v[50:51], v[50:51], 0, v[40:41]
	v_cndmask_b32_e64 v71, v3, v51, s[58:59]
	v_cndmask_b32_e64 v70, v38, v50, s[58:59]
	v_accvgpr_read_b32 v50, a88
	v_accvgpr_read_b32 v49, a75
	;; [unrolled: 1-line block ×3, first 2 shown]
	v_lshl_add_u64 v[48:49], v[48:49], 2, v[4:5]
	v_lshl_add_u64 v[4:5], v[50:51], 2, v[4:5]
	;; [unrolled: 1-line block ×4, first 2 shown]
	v_cndmask_b32_e64 v49, v3, v49, s[46:47]
	v_cndmask_b32_e64 v41, v3, v5, s[60:61]
	;; [unrolled: 1-line block ×3, first 2 shown]
	v_mov_b32_e32 v3, v2
	v_mov_b32_e32 v4, v2
	;; [unrolled: 1-line block ×3, first 2 shown]
	v_cndmask_b32_e64 v48, v38, v48, s[46:47]
	scratch_store_dwordx4 off, v[2:5], off
	flat_load_dwordx4 v[48:51], v[48:49]
	v_readlane_b32 s50, v255, 0
	v_add_u32_e32 v3, v203, v101
	v_readlane_b32 s51, v255, 1
	s_xor_b64 s[44:45], s[50:51], -1
	s_or_b64 s[44:45], s[44:45], vcc
	s_waitcnt vmcnt(0) lgkmcnt(0)
	ds_write_b128 v202, v[48:51]
	flat_load_dwordx4 v[48:51], v[52:53]
	s_waitcnt vmcnt(0) lgkmcnt(0)
	ds_write_b128 v200, v[48:51]
	flat_load_dwordx4 v[48:51], v[62:63]
	;; [unrolled: 3-line block ×7, first 2 shown]
	v_add_u32_e32 v40, v203, v102
	s_waitcnt vmcnt(0) lgkmcnt(0)
	ds_write_b128 v252, v[48:51]
	s_waitcnt lgkmcnt(0)
	s_barrier
	ds_read_u16 v3, v3 offset:528
	ds_read_u16 v4, v119 offset:1056
	v_cvt_f32_f16_e32 v50, v1
	v_cvt_f32_f16_sdwa v51, v1 dst_sel:DWORD dst_unused:UNUSED_PAD src0_sel:WORD_1
	ds_read_u16 v1, v40
	ds_read_u16 v38, v40 offset:32
	v_cvt_f32_f16_e32 v48, v47
	v_cvt_f32_f16_sdwa v49, v47 dst_sel:DWORD dst_unused:UNUSED_PAD src0_sel:WORD_1
	s_waitcnt lgkmcnt(1)
	v_perm_b32 v5, v1, v4, s33
	ds_read_u16 v1, v219
	ds_read_u16 v41, v219 offset:32
	v_accvgpr_write_b32 a0, v48
	v_accvgpr_write_b32 a1, v49
	v_accvgpr_write_b32 a2, v50
	s_waitcnt lgkmcnt(1)
	v_perm_b32 v4, v3, v1, s33
	v_accvgpr_write_b32 a3, v51
	v_add_u32_e32 v48, v103, v101
	ds_read_u16 v47, v219 offset:16896
	v_mfma_f32_16x16x16_f16 a[0:3], v[4:5], v[18:19], a[0:3]
	ds_read_u16 v52, v48 offset:528
	ds_read_u16 v53, v120 offset:1056
	;; [unrolled: 1-line block ×3, first 2 shown]
	s_nop 3
	v_accvgpr_read_b32 v1, a0
	v_cvt_f16_f32_e32 v1, v1
	v_accvgpr_read_b32 v3, a1
	v_accvgpr_read_b32 v4, a2
	;; [unrolled: 1-line block ×3, first 2 shown]
	v_cvt_f16_f32_e32 v3, v3
	v_cvt_f16_f32_e32 v4, v4
	;; [unrolled: 1-line block ×3, first 2 shown]
	v_cvt_f32_f16_e32 v48, v1
	v_cvt_f32_f16_e32 v49, v3
	;; [unrolled: 1-line block ×4, first 2 shown]
	s_waitcnt lgkmcnt(0)
	v_perm_b32 v5, v57, v53, s33
	v_perm_b32 v4, v52, v47, s33
	v_accvgpr_write_b32 a0, v48
	v_accvgpr_write_b32 a1, v49
	;; [unrolled: 1-line block ×4, first 2 shown]
	v_cvt_f32_f16_e32 v48, v46
	v_cvt_f32_f16_sdwa v49, v46 dst_sel:DWORD dst_unused:UNUSED_PAD src0_sel:WORD_1
	v_mfma_f32_16x16x16_f16 a[0:3], v[4:5], v[6:7], a[0:3]
	v_cvt_f32_f16_e32 v50, v8
	v_cvt_f32_f16_sdwa v51, v8 dst_sel:DWORD dst_unused:UNUSED_PAD src0_sel:WORD_1
	s_nop 4
	v_accvgpr_read_b32 v1, a0
	v_accvgpr_read_b32 v3, a1
	;; [unrolled: 1-line block ×3, first 2 shown]
	v_cvt_f16_f32_e32 v1, v1
	v_cvt_f16_f32_e32 v3, v3
	;; [unrolled: 1-line block ×3, first 2 shown]
	v_accvgpr_read_b32 v4, a3
	v_cvt_f16_f32_e32 v47, v4
	v_pack_b32_f16 v4, v1, v3
	v_add_u32_e32 v3, v104, v101
	v_accvgpr_write_b32 a0, v48
	v_pack_b32_f16 v1, v5, v47
	ds_read_u16 v3, v3 offset:528
	ds_read_u16 v5, v121 offset:1056
	v_accvgpr_write_b32 a1, v49
	v_accvgpr_write_b32 a2, v50
	;; [unrolled: 1-line block ×3, first 2 shown]
	s_waitcnt lgkmcnt(1)
	v_perm_b32 v46, v3, v41, s33
	s_waitcnt lgkmcnt(0)
	v_perm_b32 v47, v38, v5, s33
	ds_read_u16 v41, v220 offset:16896
	s_nop 0
	v_mfma_f32_16x16x16_f16 a[0:3], v[46:47], v[18:19], a[0:3]
	v_add_u32_e32 v46, v204, v101
	ds_read_u16 v50, v46 offset:528
	ds_read_u16 v51, v221 offset:1056
	v_add_u32_e32 v46, v104, v102
	ds_read_u16 v52, v46 offset:16896
	s_nop 1
	v_accvgpr_read_b32 v3, a0
	v_cvt_f16_f32_e32 v3, v3
	v_accvgpr_read_b32 v5, a1
	v_accvgpr_read_b32 v8, a2
	;; [unrolled: 1-line block ×3, first 2 shown]
	v_cvt_f16_f32_e32 v5, v5
	v_cvt_f16_f32_e32 v8, v8
	;; [unrolled: 1-line block ×3, first 2 shown]
	v_cvt_f32_f16_e32 v46, v3
	v_cvt_f32_f16_e32 v47, v5
	;; [unrolled: 1-line block ×4, first 2 shown]
	s_waitcnt lgkmcnt(0)
	v_perm_b32 v51, v52, v51, s33
	v_perm_b32 v50, v50, v41, s33
	v_accvgpr_write_b32 a0, v46
	v_accvgpr_write_b32 a1, v47
	;; [unrolled: 1-line block ×4, first 2 shown]
	v_cvt_f32_f16_e32 v46, v45
	v_cvt_f32_f16_sdwa v47, v45 dst_sel:DWORD dst_unused:UNUSED_PAD src0_sel:WORD_1
	v_mfma_f32_16x16x16_f16 a[0:3], v[50:51], v[6:7], a[0:3]
	v_cvt_f32_f16_e32 v48, v10
	v_cvt_f32_f16_sdwa v49, v10 dst_sel:DWORD dst_unused:UNUSED_PAD src0_sel:WORD_1
	s_nop 4
	v_accvgpr_read_b32 v8, a2
	v_accvgpr_read_b32 v3, a0
	;; [unrolled: 1-line block ×3, first 2 shown]
	v_cvt_f16_f32_e32 v38, v8
	v_accvgpr_read_b32 v8, a3
	v_cvt_f16_f32_e32 v3, v3
	v_cvt_f16_f32_e32 v5, v5
	;; [unrolled: 1-line block ×3, first 2 shown]
	v_accvgpr_write_b32 a0, v46
	v_accvgpr_write_b32 a1, v47
	v_pack_b32_f16 v8, v3, v5
	v_pack_b32_f16 v3, v38, v41
	v_add_u32_e32 v38, v105, v101
	ds_read_u16 v5, v219 offset:64
	ds_read_u16 v38, v38 offset:528
	;; [unrolled: 1-line block ×4, first 2 shown]
	v_accvgpr_write_b32 a2, v48
	v_accvgpr_write_b32 a3, v49
	v_add_u32_e32 v46, v205, v101
	ds_read_u16 v45, v222 offset:16896
	s_waitcnt lgkmcnt(1)
	v_perm_b32 v51, v50, v41, s33
	v_perm_b32 v50, v38, v5, s33
	s_nop 1
	v_mfma_f32_16x16x16_f16 a[0:3], v[50:51], v[18:19], a[0:3]
	ds_read_u16 v50, v46 offset:528
	ds_read_u16 v51, v223 offset:1056
	v_add_u32_e32 v46, v105, v102
	ds_read_u16 v52, v46 offset:16896
	s_waitcnt lgkmcnt(2)
	v_perm_b32 v50, v50, v45, s33
	s_nop 0
	v_accvgpr_read_b32 v5, a0
	v_cvt_f16_f32_e32 v5, v5
	v_accvgpr_read_b32 v10, a1
	v_accvgpr_read_b32 v38, a2
	v_accvgpr_read_b32 v41, a3
	v_cvt_f16_f32_e32 v10, v10
	v_cvt_f16_f32_e32 v38, v38
	v_cvt_f16_f32_e32 v41, v41
	v_cvt_f32_f16_e32 v46, v5
	v_cvt_f32_f16_e32 v47, v10
	v_cvt_f32_f16_e32 v48, v38
	v_cvt_f32_f16_e32 v49, v41
	s_waitcnt lgkmcnt(0)
	v_perm_b32 v51, v52, v51, s33
	v_accvgpr_write_b32 a0, v46
	v_accvgpr_write_b32 a1, v47
	v_accvgpr_write_b32 a2, v48
	v_accvgpr_write_b32 a3, v49
	v_cvt_f32_f16_e32 v46, v14
	v_cvt_f32_f16_sdwa v47, v14 dst_sel:DWORD dst_unused:UNUSED_PAD src0_sel:WORD_1
	v_mfma_f32_16x16x16_f16 a[0:3], v[50:51], v[6:7], a[0:3]
	v_cvt_f32_f16_e32 v48, v9
	v_cvt_f32_f16_sdwa v49, v9 dst_sel:DWORD dst_unused:UNUSED_PAD src0_sel:WORD_1
	s_nop 4
	v_accvgpr_read_b32 v5, a0
	v_accvgpr_read_b32 v10, a1
	v_accvgpr_read_b32 v38, a2
	v_accvgpr_read_b32 v41, a3
	v_cvt_f16_f32_e32 v5, v5
	v_cvt_f16_f32_e32 v10, v10
	v_cvt_f16_f32_e32 v38, v38
	v_cvt_f16_f32_e32 v41, v41
	v_accvgpr_write_b32 a0, v46
	v_pack_b32_f16 v10, v5, v10
	v_accvgpr_write_b32 a1, v47
	v_pack_b32_f16 v5, v38, v41
	v_add_u32_e32 v41, v106, v101
	ds_read_u16 v38, v219 offset:96
	ds_read_u16 v41, v41 offset:528
	ds_read_u16 v45, v123 offset:1056
	ds_read_u16 v50, v40 offset:96
	v_accvgpr_write_b32 a2, v48
	v_accvgpr_write_b32 a3, v49
	v_add_u32_e32 v46, v206, v101
	s_waitcnt lgkmcnt(0)
	v_perm_b32 v51, v50, v45, s33
	v_perm_b32 v50, v41, v38, s33
	ds_read_u16 v45, v224 offset:16896
	s_nop 0
	v_mfma_f32_16x16x16_f16 a[0:3], v[50:51], v[18:19], a[0:3]
	ds_read_u16 v50, v46 offset:528
	ds_read_u16 v51, v225 offset:1056
	v_add_u32_e32 v46, v106, v102
	ds_read_u16 v52, v46 offset:16896
	s_waitcnt lgkmcnt(2)
	v_perm_b32 v50, v50, v45, s33
	s_nop 0
	v_accvgpr_read_b32 v9, a0
	v_cvt_f16_f32_e32 v9, v9
	v_accvgpr_read_b32 v14, a1
	v_accvgpr_read_b32 v38, a2
	v_accvgpr_read_b32 v41, a3
	v_cvt_f16_f32_e32 v14, v14
	v_cvt_f16_f32_e32 v38, v38
	v_cvt_f16_f32_e32 v41, v41
	v_cvt_f32_f16_e32 v46, v9
	v_cvt_f32_f16_e32 v47, v14
	v_cvt_f32_f16_e32 v48, v38
	v_cvt_f32_f16_e32 v49, v41
	s_waitcnt lgkmcnt(0)
	v_perm_b32 v51, v52, v51, s33
	v_accvgpr_write_b32 a0, v46
	v_accvgpr_write_b32 a1, v47
	v_accvgpr_write_b32 a2, v48
	v_accvgpr_write_b32 a3, v49
	v_cvt_f32_f16_e32 v46, v16
	v_cvt_f32_f16_sdwa v47, v16 dst_sel:DWORD dst_unused:UNUSED_PAD src0_sel:WORD_1
	v_mfma_f32_16x16x16_f16 a[0:3], v[50:51], v[6:7], a[0:3]
	v_cvt_f32_f16_e32 v48, v11
	v_cvt_f32_f16_sdwa v49, v11 dst_sel:DWORD dst_unused:UNUSED_PAD src0_sel:WORD_1
	s_nop 4
	v_accvgpr_read_b32 v9, a0
	v_accvgpr_read_b32 v14, a1
	v_accvgpr_read_b32 v38, a2
	v_accvgpr_read_b32 v41, a3
	v_cvt_f16_f32_e32 v9, v9
	v_cvt_f16_f32_e32 v14, v14
	v_cvt_f16_f32_e32 v38, v38
	v_cvt_f16_f32_e32 v41, v41
	v_accvgpr_write_b32 a0, v46
	v_pack_b32_f16 v14, v9, v14
	v_accvgpr_write_b32 a1, v47
	v_pack_b32_f16 v9, v38, v41
	v_add_u32_e32 v41, v107, v101
	ds_read_u16 v38, v219 offset:128
	ds_read_u16 v41, v41 offset:528
	ds_read_u16 v45, v124 offset:1056
	ds_read_u16 v50, v40 offset:128
	v_accvgpr_write_b32 a2, v48
	v_accvgpr_write_b32 a3, v49
	v_add_u32_e32 v46, v207, v101
	s_waitcnt lgkmcnt(0)
	v_perm_b32 v51, v50, v45, s33
	v_perm_b32 v50, v41, v38, s33
	ds_read_u16 v45, v226 offset:16896
	;; [unrolled: 57-line block ×11, first 2 shown]
	s_nop 0
	v_mfma_f32_16x16x16_f16 a[0:3], v[50:51], v[18:19], a[0:3]
	ds_read_u16 v50, v46 offset:528
	ds_read_u16 v51, v245 offset:1056
	v_add_u32_e32 v46, v116, v102
	ds_read_u16 v52, v46 offset:16896
	s_waitcnt lgkmcnt(2)
	v_perm_b32 v50, v50, v45, s33
	s_nop 0
	v_accvgpr_read_b32 v33, a0
	v_cvt_f16_f32_e32 v33, v33
	v_accvgpr_read_b32 v36, a1
	v_accvgpr_read_b32 v38, a2
	;; [unrolled: 1-line block ×3, first 2 shown]
	v_cvt_f16_f32_e32 v36, v36
	v_cvt_f16_f32_e32 v38, v38
	;; [unrolled: 1-line block ×3, first 2 shown]
	v_cvt_f32_f16_e32 v46, v33
	v_cvt_f32_f16_e32 v47, v36
	;; [unrolled: 1-line block ×4, first 2 shown]
	s_waitcnt lgkmcnt(0)
	v_perm_b32 v51, v52, v51, s33
	v_accvgpr_write_b32 a0, v46
	v_accvgpr_write_b32 a1, v47
	;; [unrolled: 1-line block ×4, first 2 shown]
	v_cvt_f32_f16_e32 v46, v44
	v_cvt_f32_f16_sdwa v47, v44 dst_sel:DWORD dst_unused:UNUSED_PAD src0_sel:WORD_1
	v_mfma_f32_16x16x16_f16 a[0:3], v[50:51], v[6:7], a[0:3]
	v_cvt_f32_f16_e32 v48, v35
	v_cvt_f32_f16_sdwa v49, v35 dst_sel:DWORD dst_unused:UNUSED_PAD src0_sel:WORD_1
	s_nop 4
	v_accvgpr_read_b32 v33, a0
	v_accvgpr_read_b32 v36, a1
	;; [unrolled: 1-line block ×4, first 2 shown]
	v_cvt_f16_f32_e32 v33, v33
	v_cvt_f16_f32_e32 v36, v36
	;; [unrolled: 1-line block ×4, first 2 shown]
	v_accvgpr_write_b32 a0, v46
	v_pack_b32_f16 v36, v33, v36
	v_accvgpr_write_b32 a1, v47
	v_pack_b32_f16 v33, v38, v41
	v_add_u32_e32 v41, v117, v101
	ds_read_u16 v38, v219 offset:448
	ds_read_u16 v41, v41 offset:528
	;; [unrolled: 1-line block ×4, first 2 shown]
	v_accvgpr_write_b32 a2, v48
	v_accvgpr_write_b32 a3, v49
	ds_read_u16 v48, v246 offset:16896
	s_waitcnt lgkmcnt(3)
	v_perm_b32 v44, v41, v38, s33
	s_waitcnt lgkmcnt(1)
	v_perm_b32 v45, v50, v45, s33
	s_nop 1
	v_mfma_f32_16x16x16_f16 a[0:3], v[44:45], v[18:19], a[0:3]
	s_nop 6
	v_accvgpr_read_b32 v44, a3
	v_cvt_f16_f32_e32 v47, v44
	v_add_u32_e32 v44, v55, v101
	v_accvgpr_read_b32 v35, a0
	ds_read_u16 v50, v44 offset:528
	ds_read_u16 v49, v247 offset:1056
	v_add_u32_e32 v44, v117, v102
	v_cvt_f16_f32_e32 v35, v35
	v_accvgpr_read_b32 v38, a1
	v_accvgpr_read_b32 v41, a2
	ds_read_u16 v51, v44 offset:16896
	v_cvt_f16_f32_e32 v38, v38
	v_cvt_f16_f32_e32 v41, v41
	v_cvt_f32_f16_e32 v44, v35
	v_cvt_f32_f16_e32 v47, v47
	;; [unrolled: 1-line block ×4, first 2 shown]
	s_waitcnt lgkmcnt(0)
	v_perm_b32 v49, v51, v49, s33
	v_perm_b32 v48, v50, v48, s33
	v_accvgpr_write_b32 a0, v44
	v_accvgpr_write_b32 a1, v45
	;; [unrolled: 1-line block ×4, first 2 shown]
	v_cvt_f32_f16_sdwa v45, v43 dst_sel:DWORD dst_unused:UNUSED_PAD src0_sel:WORD_1
	v_cvt_f32_f16_e32 v46, v42
	v_mfma_f32_16x16x16_f16 a[0:3], v[48:49], v[6:7], a[0:3]
	ds_read_u16 v48, v219 offset:480
	v_cvt_f32_f16_sdwa v47, v42 dst_sel:DWORD dst_unused:UNUSED_PAD src0_sel:WORD_1
	s_nop 4
	v_accvgpr_read_b32 v35, a0
	v_accvgpr_read_b32 v38, a1
	v_accvgpr_read_b32 v41, a2
	v_accvgpr_read_b32 v44, a3
	v_cvt_f16_f32_e32 v35, v35
	v_cvt_f16_f32_e32 v38, v38
	;; [unrolled: 1-line block ×4, first 2 shown]
	v_pack_b32_f16 v38, v35, v38
	v_pack_b32_f16 v35, v41, v44
	v_add_u32_e32 v41, v118, v101
	ds_read_u16 v49, v41 offset:528
	ds_read_u16 v41, v99 offset:1056
	;; [unrolled: 1-line block ×3, first 2 shown]
	v_cvt_f32_f16_e32 v44, v43
	v_add_u32_e32 v43, v218, v101
	s_waitcnt lgkmcnt(0)
	v_perm_b32 v41, v40, v41, s33
	v_perm_b32 v40, v49, v48, s33
	v_accvgpr_write_b32 a0, v44
	v_accvgpr_write_b32 a1, v45
	;; [unrolled: 1-line block ×4, first 2 shown]
	v_add_u32_e32 v44, v118, v102
	s_nop 0
	v_mfma_f32_16x16x16_f16 a[0:3], v[40:41], v[18:19], a[0:3]
	s_nop 6
	v_accvgpr_read_b32 v18, a0
	v_cvt_f16_f32_e32 v19, v18
	v_accvgpr_read_b32 v18, a1
	v_cvt_f16_f32_e32 v40, v18
	;; [unrolled: 2-line block ×4, first 2 shown]
	ds_read_u16 v18, v248 offset:16896
	ds_read_u16 v43, v43 offset:528
	;; [unrolled: 1-line block ×4, first 2 shown]
	v_cvt_f32_f16_e32 v44, v19
	v_cvt_f32_f16_e32 v45, v40
	;; [unrolled: 1-line block ×4, first 2 shown]
	s_waitcnt lgkmcnt(0)
	v_perm_b32 v19, v49, v48, s33
	v_perm_b32 v18, v43, v18, s33
	v_accvgpr_write_b32 a0, v44
	v_accvgpr_write_b32 a1, v45
	v_accvgpr_write_b32 a2, v46
	v_accvgpr_write_b32 a3, v47
	s_barrier
	s_nop 0
	v_mfma_f32_16x16x16_f16 a[0:3], v[18:19], v[6:7], a[0:3]
	s_nop 6
	v_accvgpr_read_b32 v6, a0
	v_accvgpr_read_b32 v7, a1
	;; [unrolled: 1-line block ×4, first 2 shown]
	v_cvt_f16_f32_e32 v6, v6
	v_cvt_f16_f32_e32 v7, v7
	;; [unrolled: 1-line block ×4, first 2 shown]
	v_pack_b32_f16 v6, v6, v7
	v_pack_b32_f16 v7, v18, v19
	ds_bpermute_b32 v18, v37, v13
	s_waitcnt lgkmcnt(0)
	v_add_f32_e32 v13, v13, v18
	s_and_saveexec_b64 s[46:47], s[44:45]
	s_xor_b64 s[44:45], exec, s[46:47]
; %bb.366:                              ;   in Loop: Header=BB30_16 Depth=1
                                        ; implicit-def: $vgpr216_vgpr217
; %bb.367:                              ;   in Loop: Header=BB30_16 Depth=1
	s_or_saveexec_b64 s[44:45], s[44:45]
	v_accvgpr_read_b32 v196, a13
	v_accvgpr_read_b32 v197, a14
	;; [unrolled: 1-line block ×5, first 2 shown]
	s_xor_b64 exec, exec, s[44:45]
	s_cbranch_execz .LBB30_369
; %bb.368:                              ;   in Loop: Header=BB30_16 Depth=1
	global_load_dword v19, v[216:217], off
	v_max_f32_e32 v39, v12, v12
	s_waitcnt vmcnt(0)
	v_max_f32_e32 v18, v19, v19
	v_max_f32_e32 v18, v39, v18
	v_sub_f32_e32 v12, v12, v18
	v_mul_f32_e32 v39, 0x3fb8aa3b, v12
	v_fma_f32 v40, v12, s97, -v39
	v_rndne_f32_e32 v41, v39
	v_fmac_f32_e32 v40, 0x32a5705f, v12
	v_sub_f32_e32 v39, v39, v41
	v_add_f32_e32 v39, v39, v40
	v_exp_f32_e32 v39, v39
	v_cvt_i32_f32_e32 v40, v41
	v_cmp_ngt_f32_e32 vcc, s43, v12
	v_sub_f32_e32 v19, v19, v18
	v_ldexp_f32 v39, v39, v40
	v_cndmask_b32_e32 v39, 0, v39, vcc
	v_cmp_nlt_f32_e32 vcc, s87, v12
	s_nop 1
	v_cndmask_b32_e32 v39, v132, v39, vcc
	v_cmp_le_f32_e32 vcc, s36, v12
	s_nop 1
	v_cndmask_b32_e32 v12, 0, v39, vcc
	v_cvt_f16_f32_e32 v39, v12
	v_cmp_ngt_f32_e32 vcc, s43, v19
	v_pk_mul_f16 v4, v39, v4 op_sel_hi:[0,1]
	v_pk_mul_f16 v1, v39, v1 op_sel_hi:[0,1]
	;; [unrolled: 1-line block ×32, first 2 shown]
	v_mul_f32_e32 v39, 0x3fb8aa3b, v19
	v_fma_f32 v40, v19, s97, -v39
	v_rndne_f32_e32 v41, v39
	v_fmac_f32_e32 v40, 0x32a5705f, v19
	v_sub_f32_e32 v39, v39, v41
	v_add_f32_e32 v39, v39, v40
	v_exp_f32_e32 v39, v39
	v_cvt_i32_f32_e32 v40, v41
	v_ldexp_f32 v39, v39, v40
	v_cndmask_b32_e32 v39, 0, v39, vcc
	v_cmp_nlt_f32_e32 vcc, s87, v19
	s_nop 1
	v_cndmask_b32_e32 v19, v132, v39, vcc
	v_fmac_f32_e32 v19, v13, v12
	v_mov_b64_e32 v[12:13], v[18:19]
.LBB30_369:                             ;   in Loop: Header=BB30_16 Depth=1
	s_or_b64 exec, exec, s[44:45]
	s_mov_b64 s[44:45], exec
	v_readlane_b32 s46, v255, 4
	v_readlane_b32 s47, v255, 5
	s_and_b64 s[46:47], s[44:45], s[46:47]
	s_mov_b64 exec, s[46:47]
	s_cbranch_execz .LBB30_371
; %bb.370:                              ;   in Loop: Header=BB30_16 Depth=1
	v_accvgpr_read_b32 v18, a90
	v_add_u32_e32 v18, 0, v18
	ds_write2_b32 v18, v12, v13 offset0:128 offset1:129
.LBB30_371:                             ;   in Loop: Header=BB30_16 Depth=1
	s_or_b64 exec, exec, s[44:45]
	s_waitcnt lgkmcnt(0)
	s_barrier
	s_mov_b64 s[44:45], exec
	v_readlane_b32 s46, v255, 2
	v_readlane_b32 s47, v255, 3
	s_and_b64 s[46:47], s[44:45], s[46:47]
	s_xor_b64 s[44:45], s[46:47], s[44:45]
	s_mov_b64 exec, s[46:47]
	s_cbranch_execz .LBB30_373
; %bb.372:                              ;   in Loop: Header=BB30_16 Depth=1
	s_barrier
	s_waitcnt lgkmcnt(0)
                                        ; implicit-def: $vgpr37
.LBB30_373:                             ;   in Loop: Header=BB30_16 Depth=1
	s_andn2_saveexec_b64 s[44:45], s[44:45]
	s_cbranch_execz .LBB30_377
; %bb.374:                              ;   in Loop: Header=BB30_16 Depth=1
	v_accvgpr_read_b32 v12, a91
	v_add_u32_e32 v18, 0, v12
	ds_read_b64 v[12:13], v18 offset:512
	s_waitcnt lgkmcnt(0)
	s_barrier
	ds_bpermute_b32 v19, v37, v12
	v_max_f32_e32 v39, v12, v12
	s_waitcnt lgkmcnt(0)
	v_max_f32_e32 v19, v19, v19
	v_max_f32_e32 v19, v39, v19
	v_sub_f32_e32 v12, v12, v19
	v_mul_f32_e32 v19, 0x3fb8aa3b, v12
	v_fma_f32 v39, v12, s97, -v19
	v_rndne_f32_e32 v40, v19
	v_fmac_f32_e32 v39, 0x32a5705f, v12
	v_sub_f32_e32 v19, v19, v40
	v_add_f32_e32 v19, v19, v39
	v_cvt_i32_f32_e32 v40, v40
	v_exp_f32_e32 v19, v19
	v_cmp_ngt_f32_e32 vcc, s43, v12
	v_ldexp_f32 v19, v19, v40
	s_nop 0
	v_cndmask_b32_e32 v19, 0, v19, vcc
	v_cmp_nlt_f32_e32 vcc, s87, v12
	s_nop 1
	v_cndmask_b32_e32 v12, v132, v19, vcc
	v_mul_f32_e32 v13, v13, v12
	ds_bpermute_b32 v19, v37, v13
	s_mov_b64 s[46:47], exec
	v_readlane_b32 s48, v255, 6
	v_readlane_b32 s49, v255, 7
	s_and_b64 s[48:49], s[46:47], s[48:49]
	s_mov_b64 exec, s[48:49]
	s_cbranch_execz .LBB30_376
; %bb.375:                              ;   in Loop: Header=BB30_16 Depth=1
	s_waitcnt lgkmcnt(0)
	v_add_f32_e32 v13, v13, v19
	ds_write_b64 v18, v[12:13] offset:512
.LBB30_376:                             ;   in Loop: Header=BB30_16 Depth=1
	s_or_b64 exec, exec, s[46:47]
.LBB30_377:                             ;   in Loop: Header=BB30_16 Depth=1
	s_or_b64 exec, exec, s[44:45]
	ds_write2_b32 v137, v4, v1 offset1:1
	ds_write2_b32 v137, v8, v3 offset0:8 offset1:9
	ds_write2_b32 v137, v10, v5 offset0:16 offset1:17
	;; [unrolled: 1-line block ×15, first 2 shown]
	s_waitcnt lgkmcnt(0)
	s_barrier
	s_and_saveexec_b64 s[44:45], s[50:51]
	s_cbranch_execz .LBB30_14
; %bb.378:                              ;   in Loop: Header=BB30_16 Depth=1
	v_accvgpr_read_b32 v1, a32
	v_add_u32_e32 v1, v1, v72
	v_cmp_gt_i32_e32 vcc, s96, v1
	v_mov_b32_e32 v3, 0x47
	s_and_saveexec_b64 s[46:47], vcc
	s_cbranch_execz .LBB30_380
; %bb.379:                              ;   in Loop: Header=BB30_16 Depth=1
	v_accvgpr_read_b32 v3, a98
	v_add_u32_e32 v3, 0, v3
	ds_read2_b32 v[4:5], v3 offset0:128 offset1:129
	ds_read_b32 v8, v3 offset:8960
	v_accvgpr_read_b32 v3, a97
	ds_read2st64_b32 v[10:11], v3 offset1:1
	ds_read_b32 v3, v3 offset:8448
	v_readlane_b32 s41, v254, 59
	v_accvgpr_read_b32 v12, a198
	v_accvgpr_read_b32 v13, a199
	v_mad_u64_u32 v[6:7], s[48:49], s41, v1, v[158:159]
	v_ashrrev_i32_e32 v7, 31, v6
	v_lshl_add_u64 v[6:7], v[6:7], 3, v[12:13]
	s_waitcnt lgkmcnt(1)
	v_cvt_f32_f16_sdwa v13, v10 dst_sel:DWORD dst_unused:UNUSED_PAD src0_sel:WORD_1
	v_cvt_f32_f16_e32 v12, v10
	s_waitcnt lgkmcnt(0)
	v_cvt_f32_f16_sdwa v15, v3 dst_sel:DWORD dst_unused:UNUSED_PAD src0_sel:WORD_1
	v_cvt_f32_f16_e32 v14, v3
	v_pk_fma_f32 v[12:13], v[4:5], v[12:13], 0 op_sel_hi:[0,1,0]
	v_pk_fma_f32 v[12:13], v[8:9], v[14:15], v[12:13] op_sel_hi:[0,1,1]
	v_div_scale_f32 v1, s[48:49], v5, v5, v13
	v_rcp_f32_e32 v3, v1
	s_nop 0
	v_fma_f32 v9, -v1, v3, 1.0
	v_fmac_f32_e32 v3, v9, v3
	v_div_scale_f32 v9, vcc, v13, v5, v13
	v_mul_f32_e32 v10, v9, v3
	v_fma_f32 v14, -v1, v10, v9
	v_fmac_f32_e32 v10, v14, v3
	v_fma_f32 v1, -v1, v10, v9
	v_div_fmas_f32 v1, v1, v3, v10
	v_div_fixup_f32 v13, v1, v5, v13
	v_div_scale_f32 v1, s[48:49], v5, v5, v12
	v_rcp_f32_e32 v3, v1
	s_nop 0
	v_fma_f32 v9, -v1, v3, 1.0
	v_fmac_f32_e32 v3, v9, v3
	v_div_scale_f32 v9, vcc, v12, v5, v12
	v_mul_f32_e32 v10, v9, v3
	v_fma_f32 v14, -v1, v10, v9
	v_fmac_f32_e32 v10, v14, v3
	v_fma_f32 v1, -v1, v10, v9
	v_div_fmas_f32 v1, v1, v3, v10
	v_div_fixup_f32 v12, v1, v5, v12
	v_accvgpr_read_b32 v1, a99
	ds_read_b32 v1, v1 offset:8448
	global_store_dwordx2 v[6:7], v[12:13], off
	v_cvt_f32_f16_sdwa v13, v11 dst_sel:DWORD dst_unused:UNUSED_PAD src0_sel:WORD_1
	v_cvt_f32_f16_e32 v12, v11
	v_pk_fma_f32 v[10:11], v[4:5], v[12:13], 0 op_sel_hi:[0,1,0]
	s_waitcnt lgkmcnt(0)
	v_cvt_f32_f16_sdwa v13, v1 dst_sel:DWORD dst_unused:UNUSED_PAD src0_sel:WORD_1
	v_cvt_f32_f16_e32 v12, v1
	v_pk_fma_f32 v[8:9], v[8:9], v[12:13], v[10:11] op_sel_hi:[0,1,1]
	v_div_scale_f32 v1, s[48:49], v5, v5, v9
	v_rcp_f32_e32 v3, v1
	s_nop 0
	v_fma_f32 v4, -v1, v3, 1.0
	v_fmac_f32_e32 v3, v4, v3
	v_div_scale_f32 v4, vcc, v9, v5, v9
	v_mul_f32_e32 v10, v4, v3
	v_fma_f32 v11, -v1, v10, v4
	v_fmac_f32_e32 v10, v11, v3
	v_fma_f32 v1, -v1, v10, v4
	v_div_fmas_f32 v1, v1, v3, v10
	v_div_fixup_f32 v9, v1, v5, v9
	v_div_scale_f32 v1, s[48:49], v5, v5, v8
	v_rcp_f32_e32 v3, v1
	s_nop 0
	v_fma_f32 v4, -v1, v3, 1.0
	v_fmac_f32_e32 v3, v4, v3
	v_div_scale_f32 v4, vcc, v8, v5, v8
	v_mul_f32_e32 v10, v4, v3
	v_fma_f32 v11, -v1, v10, v4
	v_fmac_f32_e32 v10, v11, v3
	v_fma_f32 v1, -v1, v10, v4
	v_div_fmas_f32 v1, v1, v3, v10
	v_div_fixup_f32 v8, v1, v5, v8
	v_mov_b32_e32 v3, 0
	global_store_dwordx2 v[6:7], v[8:9], off offset:512
.LBB30_380:                             ;   in Loop: Header=BB30_16 Depth=1
	s_or_b64 exec, exec, s[46:47]
	s_movk_i32 s41, 0x47
	v_cmp_gt_i32_e32 vcc, s41, v3
	s_mov_b64 s[46:47], -1
	s_and_saveexec_b64 s[48:49], vcc
; %bb.381:                              ;   in Loop: Header=BB30_16 Depth=1
	v_cmp_eq_u32_e32 vcc, 0, v3
	s_orn2_b64 s[46:47], vcc, exec
; %bb.382:                              ;   in Loop: Header=BB30_16 Depth=1
	s_or_b64 exec, exec, s[48:49]
	s_and_b64 exec, exec, s[46:47]
	s_cbranch_execz .LBB30_14
; %bb.383:                              ;   in Loop: Header=BB30_16 Depth=1
	v_accvgpr_read_b32 v1, a33
	v_add_u32_e32 v1, v1, v72
	v_cmp_gt_i32_e32 vcc, s96, v1
	v_mov_b32_e32 v3, 0x47
	s_and_saveexec_b64 s[46:47], vcc
	s_cbranch_execz .LBB30_385
; %bb.384:                              ;   in Loop: Header=BB30_16 Depth=1
	v_accvgpr_read_b32 v3, a101
	v_add_u32_e32 v3, 0, v3
	ds_read2_b32 v[4:5], v3 offset0:128 offset1:129
	ds_read_b32 v8, v3 offset:8960
	v_accvgpr_read_b32 v3, a100
	ds_read2st64_b32 v[10:11], v3 offset1:1
	ds_read_b32 v3, v3 offset:8448
	v_readlane_b32 s41, v254, 59
	v_accvgpr_read_b32 v12, a198
	v_accvgpr_read_b32 v13, a199
	v_mad_u64_u32 v[6:7], s[48:49], s41, v1, v[158:159]
	v_ashrrev_i32_e32 v7, 31, v6
	v_lshl_add_u64 v[6:7], v[6:7], 3, v[12:13]
	s_waitcnt lgkmcnt(1)
	v_cvt_f32_f16_sdwa v13, v10 dst_sel:DWORD dst_unused:UNUSED_PAD src0_sel:WORD_1
	v_cvt_f32_f16_e32 v12, v10
	s_waitcnt lgkmcnt(0)
	v_cvt_f32_f16_sdwa v15, v3 dst_sel:DWORD dst_unused:UNUSED_PAD src0_sel:WORD_1
	v_cvt_f32_f16_e32 v14, v3
	v_pk_fma_f32 v[12:13], v[4:5], v[12:13], 0 op_sel_hi:[0,1,0]
	v_pk_fma_f32 v[12:13], v[8:9], v[14:15], v[12:13] op_sel_hi:[0,1,1]
	v_div_scale_f32 v1, s[48:49], v5, v5, v13
	v_rcp_f32_e32 v3, v1
	s_nop 0
	v_fma_f32 v9, -v1, v3, 1.0
	v_fmac_f32_e32 v3, v9, v3
	v_div_scale_f32 v9, vcc, v13, v5, v13
	v_mul_f32_e32 v10, v9, v3
	v_fma_f32 v14, -v1, v10, v9
	v_fmac_f32_e32 v10, v14, v3
	v_fma_f32 v1, -v1, v10, v9
	v_div_fmas_f32 v1, v1, v3, v10
	v_div_fixup_f32 v13, v1, v5, v13
	v_div_scale_f32 v1, s[48:49], v5, v5, v12
	v_rcp_f32_e32 v3, v1
	s_nop 0
	v_fma_f32 v9, -v1, v3, 1.0
	v_fmac_f32_e32 v3, v9, v3
	v_div_scale_f32 v9, vcc, v12, v5, v12
	v_mul_f32_e32 v10, v9, v3
	v_fma_f32 v14, -v1, v10, v9
	v_fmac_f32_e32 v10, v14, v3
	v_fma_f32 v1, -v1, v10, v9
	v_div_fmas_f32 v1, v1, v3, v10
	v_div_fixup_f32 v12, v1, v5, v12
	v_accvgpr_read_b32 v1, a102
	ds_read_b32 v1, v1 offset:8448
	global_store_dwordx2 v[6:7], v[12:13], off
	v_cvt_f32_f16_sdwa v13, v11 dst_sel:DWORD dst_unused:UNUSED_PAD src0_sel:WORD_1
	v_cvt_f32_f16_e32 v12, v11
	v_pk_fma_f32 v[10:11], v[4:5], v[12:13], 0 op_sel_hi:[0,1,0]
	s_waitcnt lgkmcnt(0)
	v_cvt_f32_f16_sdwa v13, v1 dst_sel:DWORD dst_unused:UNUSED_PAD src0_sel:WORD_1
	v_cvt_f32_f16_e32 v12, v1
	v_pk_fma_f32 v[8:9], v[8:9], v[12:13], v[10:11] op_sel_hi:[0,1,1]
	v_div_scale_f32 v1, s[48:49], v5, v5, v9
	v_rcp_f32_e32 v3, v1
	s_nop 0
	v_fma_f32 v4, -v1, v3, 1.0
	v_fmac_f32_e32 v3, v4, v3
	v_div_scale_f32 v4, vcc, v9, v5, v9
	v_mul_f32_e32 v10, v4, v3
	v_fma_f32 v11, -v1, v10, v4
	v_fmac_f32_e32 v10, v11, v3
	v_fma_f32 v1, -v1, v10, v4
	v_div_fmas_f32 v1, v1, v3, v10
	v_div_fixup_f32 v9, v1, v5, v9
	v_div_scale_f32 v1, s[48:49], v5, v5, v8
	v_rcp_f32_e32 v3, v1
	s_nop 0
	v_fma_f32 v4, -v1, v3, 1.0
	v_fmac_f32_e32 v3, v4, v3
	v_div_scale_f32 v4, vcc, v8, v5, v8
	v_mul_f32_e32 v10, v4, v3
	v_fma_f32 v11, -v1, v10, v4
	v_fmac_f32_e32 v10, v11, v3
	v_fma_f32 v1, -v1, v10, v4
	v_div_fmas_f32 v1, v1, v3, v10
	v_div_fixup_f32 v8, v1, v5, v8
	v_mov_b32_e32 v3, 0
	global_store_dwordx2 v[6:7], v[8:9], off offset:512
.LBB30_385:                             ;   in Loop: Header=BB30_16 Depth=1
	s_or_b64 exec, exec, s[46:47]
	s_movk_i32 s41, 0x47
	v_cmp_gt_i32_e32 vcc, s41, v3
	s_mov_b64 s[46:47], -1
	s_and_saveexec_b64 s[48:49], vcc
; %bb.386:                              ;   in Loop: Header=BB30_16 Depth=1
	v_cmp_eq_u32_e32 vcc, 0, v3
	s_orn2_b64 s[46:47], vcc, exec
; %bb.387:                              ;   in Loop: Header=BB30_16 Depth=1
	s_or_b64 exec, exec, s[48:49]
	s_and_b64 exec, exec, s[46:47]
	s_cbranch_execz .LBB30_14
; %bb.388:                              ;   in Loop: Header=BB30_16 Depth=1
	v_accvgpr_read_b32 v1, a34
	v_add_u32_e32 v1, v1, v72
	v_cmp_gt_i32_e32 vcc, s96, v1
	v_mov_b32_e32 v3, 0x47
	s_and_saveexec_b64 s[46:47], vcc
	s_cbranch_execz .LBB30_390
; %bb.389:                              ;   in Loop: Header=BB30_16 Depth=1
	v_accvgpr_read_b32 v3, a104
	v_add_u32_e32 v3, 0, v3
	ds_read2_b32 v[4:5], v3 offset0:128 offset1:129
	ds_read_b32 v8, v3 offset:8960
	v_accvgpr_read_b32 v3, a103
	ds_read2st64_b32 v[10:11], v3 offset1:1
	ds_read_b32 v3, v3 offset:8448
	v_readlane_b32 s41, v254, 59
	v_accvgpr_read_b32 v12, a198
	v_accvgpr_read_b32 v13, a199
	v_mad_u64_u32 v[6:7], s[48:49], s41, v1, v[158:159]
	v_ashrrev_i32_e32 v7, 31, v6
	v_lshl_add_u64 v[6:7], v[6:7], 3, v[12:13]
	s_waitcnt lgkmcnt(1)
	v_cvt_f32_f16_sdwa v13, v10 dst_sel:DWORD dst_unused:UNUSED_PAD src0_sel:WORD_1
	v_cvt_f32_f16_e32 v12, v10
	s_waitcnt lgkmcnt(0)
	v_cvt_f32_f16_sdwa v15, v3 dst_sel:DWORD dst_unused:UNUSED_PAD src0_sel:WORD_1
	v_cvt_f32_f16_e32 v14, v3
	v_pk_fma_f32 v[12:13], v[4:5], v[12:13], 0 op_sel_hi:[0,1,0]
	v_pk_fma_f32 v[12:13], v[8:9], v[14:15], v[12:13] op_sel_hi:[0,1,1]
	v_div_scale_f32 v1, s[48:49], v5, v5, v13
	v_rcp_f32_e32 v3, v1
	s_nop 0
	v_fma_f32 v9, -v1, v3, 1.0
	v_fmac_f32_e32 v3, v9, v3
	v_div_scale_f32 v9, vcc, v13, v5, v13
	v_mul_f32_e32 v10, v9, v3
	v_fma_f32 v14, -v1, v10, v9
	v_fmac_f32_e32 v10, v14, v3
	v_fma_f32 v1, -v1, v10, v9
	v_div_fmas_f32 v1, v1, v3, v10
	v_div_fixup_f32 v13, v1, v5, v13
	v_div_scale_f32 v1, s[48:49], v5, v5, v12
	v_rcp_f32_e32 v3, v1
	s_nop 0
	v_fma_f32 v9, -v1, v3, 1.0
	v_fmac_f32_e32 v3, v9, v3
	v_div_scale_f32 v9, vcc, v12, v5, v12
	v_mul_f32_e32 v10, v9, v3
	v_fma_f32 v14, -v1, v10, v9
	v_fmac_f32_e32 v10, v14, v3
	v_fma_f32 v1, -v1, v10, v9
	v_div_fmas_f32 v1, v1, v3, v10
	v_div_fixup_f32 v12, v1, v5, v12
	v_accvgpr_read_b32 v1, a105
	ds_read_b32 v1, v1 offset:8448
	global_store_dwordx2 v[6:7], v[12:13], off
	v_cvt_f32_f16_sdwa v13, v11 dst_sel:DWORD dst_unused:UNUSED_PAD src0_sel:WORD_1
	v_cvt_f32_f16_e32 v12, v11
	v_pk_fma_f32 v[10:11], v[4:5], v[12:13], 0 op_sel_hi:[0,1,0]
	s_waitcnt lgkmcnt(0)
	v_cvt_f32_f16_sdwa v13, v1 dst_sel:DWORD dst_unused:UNUSED_PAD src0_sel:WORD_1
	v_cvt_f32_f16_e32 v12, v1
	v_pk_fma_f32 v[8:9], v[8:9], v[12:13], v[10:11] op_sel_hi:[0,1,1]
	v_div_scale_f32 v1, s[48:49], v5, v5, v9
	v_rcp_f32_e32 v3, v1
	s_nop 0
	v_fma_f32 v4, -v1, v3, 1.0
	v_fmac_f32_e32 v3, v4, v3
	v_div_scale_f32 v4, vcc, v9, v5, v9
	v_mul_f32_e32 v10, v4, v3
	v_fma_f32 v11, -v1, v10, v4
	v_fmac_f32_e32 v10, v11, v3
	v_fma_f32 v1, -v1, v10, v4
	v_div_fmas_f32 v1, v1, v3, v10
	v_div_fixup_f32 v9, v1, v5, v9
	v_div_scale_f32 v1, s[48:49], v5, v5, v8
	v_rcp_f32_e32 v3, v1
	s_nop 0
	v_fma_f32 v4, -v1, v3, 1.0
	v_fmac_f32_e32 v3, v4, v3
	v_div_scale_f32 v4, vcc, v8, v5, v8
	v_mul_f32_e32 v10, v4, v3
	v_fma_f32 v11, -v1, v10, v4
	v_fmac_f32_e32 v10, v11, v3
	v_fma_f32 v1, -v1, v10, v4
	v_div_fmas_f32 v1, v1, v3, v10
	v_div_fixup_f32 v8, v1, v5, v8
	v_mov_b32_e32 v3, 0
	global_store_dwordx2 v[6:7], v[8:9], off offset:512
.LBB30_390:                             ;   in Loop: Header=BB30_16 Depth=1
	s_or_b64 exec, exec, s[46:47]
	s_movk_i32 s41, 0x47
	v_cmp_gt_i32_e32 vcc, s41, v3
	s_mov_b64 s[46:47], -1
	s_and_saveexec_b64 s[48:49], vcc
; %bb.391:                              ;   in Loop: Header=BB30_16 Depth=1
	v_cmp_eq_u32_e32 vcc, 0, v3
	s_orn2_b64 s[46:47], vcc, exec
; %bb.392:                              ;   in Loop: Header=BB30_16 Depth=1
	s_or_b64 exec, exec, s[48:49]
	s_and_b64 exec, exec, s[46:47]
	s_cbranch_execz .LBB30_14
; %bb.393:                              ;   in Loop: Header=BB30_16 Depth=1
	v_accvgpr_read_b32 v1, a35
	v_add_u32_e32 v1, v1, v72
	v_cmp_gt_i32_e32 vcc, s96, v1
	v_mov_b32_e32 v3, 0x47
	s_and_saveexec_b64 s[46:47], vcc
	s_cbranch_execz .LBB30_395
; %bb.394:                              ;   in Loop: Header=BB30_16 Depth=1
	v_accvgpr_read_b32 v3, a107
	v_add_u32_e32 v3, 0, v3
	ds_read2_b32 v[4:5], v3 offset0:128 offset1:129
	ds_read_b32 v8, v3 offset:8960
	v_accvgpr_read_b32 v3, a106
	ds_read2st64_b32 v[10:11], v3 offset1:1
	ds_read_b32 v3, v3 offset:8448
	v_readlane_b32 s41, v254, 59
	v_accvgpr_read_b32 v12, a198
	v_accvgpr_read_b32 v13, a199
	v_mad_u64_u32 v[6:7], s[48:49], s41, v1, v[158:159]
	v_ashrrev_i32_e32 v7, 31, v6
	v_lshl_add_u64 v[6:7], v[6:7], 3, v[12:13]
	s_waitcnt lgkmcnt(1)
	v_cvt_f32_f16_sdwa v13, v10 dst_sel:DWORD dst_unused:UNUSED_PAD src0_sel:WORD_1
	v_cvt_f32_f16_e32 v12, v10
	s_waitcnt lgkmcnt(0)
	v_cvt_f32_f16_sdwa v15, v3 dst_sel:DWORD dst_unused:UNUSED_PAD src0_sel:WORD_1
	v_cvt_f32_f16_e32 v14, v3
	v_pk_fma_f32 v[12:13], v[4:5], v[12:13], 0 op_sel_hi:[0,1,0]
	v_pk_fma_f32 v[12:13], v[8:9], v[14:15], v[12:13] op_sel_hi:[0,1,1]
	v_div_scale_f32 v1, s[48:49], v5, v5, v13
	v_rcp_f32_e32 v3, v1
	s_nop 0
	v_fma_f32 v9, -v1, v3, 1.0
	v_fmac_f32_e32 v3, v9, v3
	v_div_scale_f32 v9, vcc, v13, v5, v13
	v_mul_f32_e32 v10, v9, v3
	v_fma_f32 v14, -v1, v10, v9
	v_fmac_f32_e32 v10, v14, v3
	v_fma_f32 v1, -v1, v10, v9
	v_div_fmas_f32 v1, v1, v3, v10
	v_div_fixup_f32 v13, v1, v5, v13
	v_div_scale_f32 v1, s[48:49], v5, v5, v12
	v_rcp_f32_e32 v3, v1
	s_nop 0
	v_fma_f32 v9, -v1, v3, 1.0
	v_fmac_f32_e32 v3, v9, v3
	v_div_scale_f32 v9, vcc, v12, v5, v12
	v_mul_f32_e32 v10, v9, v3
	v_fma_f32 v14, -v1, v10, v9
	v_fmac_f32_e32 v10, v14, v3
	v_fma_f32 v1, -v1, v10, v9
	v_div_fmas_f32 v1, v1, v3, v10
	v_div_fixup_f32 v12, v1, v5, v12
	v_accvgpr_read_b32 v1, a108
	ds_read_b32 v1, v1 offset:8448
	global_store_dwordx2 v[6:7], v[12:13], off
	v_cvt_f32_f16_sdwa v13, v11 dst_sel:DWORD dst_unused:UNUSED_PAD src0_sel:WORD_1
	v_cvt_f32_f16_e32 v12, v11
	v_pk_fma_f32 v[10:11], v[4:5], v[12:13], 0 op_sel_hi:[0,1,0]
	s_waitcnt lgkmcnt(0)
	v_cvt_f32_f16_sdwa v13, v1 dst_sel:DWORD dst_unused:UNUSED_PAD src0_sel:WORD_1
	v_cvt_f32_f16_e32 v12, v1
	v_pk_fma_f32 v[8:9], v[8:9], v[12:13], v[10:11] op_sel_hi:[0,1,1]
	v_div_scale_f32 v1, s[48:49], v5, v5, v9
	v_rcp_f32_e32 v3, v1
	s_nop 0
	v_fma_f32 v4, -v1, v3, 1.0
	v_fmac_f32_e32 v3, v4, v3
	v_div_scale_f32 v4, vcc, v9, v5, v9
	v_mul_f32_e32 v10, v4, v3
	v_fma_f32 v11, -v1, v10, v4
	v_fmac_f32_e32 v10, v11, v3
	v_fma_f32 v1, -v1, v10, v4
	v_div_fmas_f32 v1, v1, v3, v10
	v_div_fixup_f32 v9, v1, v5, v9
	v_div_scale_f32 v1, s[48:49], v5, v5, v8
	v_rcp_f32_e32 v3, v1
	s_nop 0
	v_fma_f32 v4, -v1, v3, 1.0
	v_fmac_f32_e32 v3, v4, v3
	v_div_scale_f32 v4, vcc, v8, v5, v8
	v_mul_f32_e32 v10, v4, v3
	v_fma_f32 v11, -v1, v10, v4
	v_fmac_f32_e32 v10, v11, v3
	v_fma_f32 v1, -v1, v10, v4
	v_div_fmas_f32 v1, v1, v3, v10
	v_div_fixup_f32 v8, v1, v5, v8
	v_mov_b32_e32 v3, 0
	global_store_dwordx2 v[6:7], v[8:9], off offset:512
.LBB30_395:                             ;   in Loop: Header=BB30_16 Depth=1
	s_or_b64 exec, exec, s[46:47]
	s_movk_i32 s41, 0x47
	v_cmp_gt_i32_e32 vcc, s41, v3
	s_mov_b64 s[46:47], -1
	s_and_saveexec_b64 s[48:49], vcc
; %bb.396:                              ;   in Loop: Header=BB30_16 Depth=1
	v_cmp_eq_u32_e32 vcc, 0, v3
	s_orn2_b64 s[46:47], vcc, exec
; %bb.397:                              ;   in Loop: Header=BB30_16 Depth=1
	s_or_b64 exec, exec, s[48:49]
	s_and_b64 exec, exec, s[46:47]
	s_cbranch_execz .LBB30_14
; %bb.398:                              ;   in Loop: Header=BB30_16 Depth=1
	v_accvgpr_read_b32 v1, a36
	v_add_u32_e32 v1, v1, v72
	v_cmp_gt_i32_e32 vcc, s96, v1
	v_mov_b32_e32 v3, 0x47
	s_and_saveexec_b64 s[46:47], vcc
	s_cbranch_execz .LBB30_400
; %bb.399:                              ;   in Loop: Header=BB30_16 Depth=1
	v_accvgpr_read_b32 v3, a110
	v_add_u32_e32 v3, 0, v3
	ds_read2_b32 v[4:5], v3 offset0:128 offset1:129
	ds_read_b32 v8, v3 offset:8960
	v_accvgpr_read_b32 v3, a109
	ds_read2st64_b32 v[10:11], v3 offset1:1
	ds_read_b32 v3, v3 offset:8448
	v_readlane_b32 s41, v254, 59
	v_accvgpr_read_b32 v12, a198
	v_accvgpr_read_b32 v13, a199
	v_mad_u64_u32 v[6:7], s[48:49], s41, v1, v[158:159]
	v_ashrrev_i32_e32 v7, 31, v6
	v_lshl_add_u64 v[6:7], v[6:7], 3, v[12:13]
	s_waitcnt lgkmcnt(1)
	v_cvt_f32_f16_sdwa v13, v10 dst_sel:DWORD dst_unused:UNUSED_PAD src0_sel:WORD_1
	v_cvt_f32_f16_e32 v12, v10
	s_waitcnt lgkmcnt(0)
	v_cvt_f32_f16_sdwa v15, v3 dst_sel:DWORD dst_unused:UNUSED_PAD src0_sel:WORD_1
	v_cvt_f32_f16_e32 v14, v3
	v_pk_fma_f32 v[12:13], v[4:5], v[12:13], 0 op_sel_hi:[0,1,0]
	v_pk_fma_f32 v[12:13], v[8:9], v[14:15], v[12:13] op_sel_hi:[0,1,1]
	v_div_scale_f32 v1, s[48:49], v5, v5, v13
	v_rcp_f32_e32 v3, v1
	s_nop 0
	v_fma_f32 v9, -v1, v3, 1.0
	v_fmac_f32_e32 v3, v9, v3
	v_div_scale_f32 v9, vcc, v13, v5, v13
	v_mul_f32_e32 v10, v9, v3
	v_fma_f32 v14, -v1, v10, v9
	v_fmac_f32_e32 v10, v14, v3
	v_fma_f32 v1, -v1, v10, v9
	v_div_fmas_f32 v1, v1, v3, v10
	v_div_fixup_f32 v13, v1, v5, v13
	v_div_scale_f32 v1, s[48:49], v5, v5, v12
	v_rcp_f32_e32 v3, v1
	s_nop 0
	v_fma_f32 v9, -v1, v3, 1.0
	v_fmac_f32_e32 v3, v9, v3
	v_div_scale_f32 v9, vcc, v12, v5, v12
	v_mul_f32_e32 v10, v9, v3
	v_fma_f32 v14, -v1, v10, v9
	v_fmac_f32_e32 v10, v14, v3
	v_fma_f32 v1, -v1, v10, v9
	v_div_fmas_f32 v1, v1, v3, v10
	v_div_fixup_f32 v12, v1, v5, v12
	v_accvgpr_read_b32 v1, a111
	ds_read_b32 v1, v1 offset:8448
	global_store_dwordx2 v[6:7], v[12:13], off
	v_cvt_f32_f16_sdwa v13, v11 dst_sel:DWORD dst_unused:UNUSED_PAD src0_sel:WORD_1
	v_cvt_f32_f16_e32 v12, v11
	v_pk_fma_f32 v[10:11], v[4:5], v[12:13], 0 op_sel_hi:[0,1,0]
	s_waitcnt lgkmcnt(0)
	v_cvt_f32_f16_sdwa v13, v1 dst_sel:DWORD dst_unused:UNUSED_PAD src0_sel:WORD_1
	v_cvt_f32_f16_e32 v12, v1
	v_pk_fma_f32 v[8:9], v[8:9], v[12:13], v[10:11] op_sel_hi:[0,1,1]
	v_div_scale_f32 v1, s[48:49], v5, v5, v9
	v_rcp_f32_e32 v3, v1
	s_nop 0
	v_fma_f32 v4, -v1, v3, 1.0
	v_fmac_f32_e32 v3, v4, v3
	v_div_scale_f32 v4, vcc, v9, v5, v9
	v_mul_f32_e32 v10, v4, v3
	v_fma_f32 v11, -v1, v10, v4
	v_fmac_f32_e32 v10, v11, v3
	v_fma_f32 v1, -v1, v10, v4
	v_div_fmas_f32 v1, v1, v3, v10
	v_div_fixup_f32 v9, v1, v5, v9
	v_div_scale_f32 v1, s[48:49], v5, v5, v8
	v_rcp_f32_e32 v3, v1
	s_nop 0
	v_fma_f32 v4, -v1, v3, 1.0
	v_fmac_f32_e32 v3, v4, v3
	v_div_scale_f32 v4, vcc, v8, v5, v8
	v_mul_f32_e32 v10, v4, v3
	v_fma_f32 v11, -v1, v10, v4
	v_fmac_f32_e32 v10, v11, v3
	v_fma_f32 v1, -v1, v10, v4
	v_div_fmas_f32 v1, v1, v3, v10
	v_div_fixup_f32 v8, v1, v5, v8
	v_mov_b32_e32 v3, 0
	global_store_dwordx2 v[6:7], v[8:9], off offset:512
.LBB30_400:                             ;   in Loop: Header=BB30_16 Depth=1
	s_or_b64 exec, exec, s[46:47]
	s_movk_i32 s41, 0x47
	v_cmp_gt_i32_e32 vcc, s41, v3
	s_mov_b64 s[46:47], -1
	s_and_saveexec_b64 s[48:49], vcc
; %bb.401:                              ;   in Loop: Header=BB30_16 Depth=1
	v_cmp_eq_u32_e32 vcc, 0, v3
	s_orn2_b64 s[46:47], vcc, exec
; %bb.402:                              ;   in Loop: Header=BB30_16 Depth=1
	s_or_b64 exec, exec, s[48:49]
	s_and_b64 exec, exec, s[46:47]
	s_cbranch_execz .LBB30_14
; %bb.403:                              ;   in Loop: Header=BB30_16 Depth=1
	v_accvgpr_read_b32 v1, a37
	v_add_u32_e32 v1, v1, v72
	v_cmp_gt_i32_e32 vcc, s96, v1
	v_mov_b32_e32 v3, 0x47
	s_and_saveexec_b64 s[46:47], vcc
	s_cbranch_execz .LBB30_405
; %bb.404:                              ;   in Loop: Header=BB30_16 Depth=1
	v_accvgpr_read_b32 v3, a113
	v_add_u32_e32 v3, 0, v3
	ds_read2_b32 v[4:5], v3 offset0:128 offset1:129
	ds_read_b32 v8, v3 offset:8960
	v_accvgpr_read_b32 v3, a112
	ds_read2st64_b32 v[10:11], v3 offset1:1
	ds_read_b32 v3, v3 offset:8448
	v_readlane_b32 s41, v254, 59
	v_accvgpr_read_b32 v12, a198
	v_accvgpr_read_b32 v13, a199
	v_mad_u64_u32 v[6:7], s[48:49], s41, v1, v[158:159]
	v_ashrrev_i32_e32 v7, 31, v6
	v_lshl_add_u64 v[6:7], v[6:7], 3, v[12:13]
	s_waitcnt lgkmcnt(1)
	v_cvt_f32_f16_sdwa v13, v10 dst_sel:DWORD dst_unused:UNUSED_PAD src0_sel:WORD_1
	v_cvt_f32_f16_e32 v12, v10
	s_waitcnt lgkmcnt(0)
	v_cvt_f32_f16_sdwa v15, v3 dst_sel:DWORD dst_unused:UNUSED_PAD src0_sel:WORD_1
	v_cvt_f32_f16_e32 v14, v3
	v_pk_fma_f32 v[12:13], v[4:5], v[12:13], 0 op_sel_hi:[0,1,0]
	v_pk_fma_f32 v[12:13], v[8:9], v[14:15], v[12:13] op_sel_hi:[0,1,1]
	v_div_scale_f32 v1, s[48:49], v5, v5, v13
	v_rcp_f32_e32 v3, v1
	s_nop 0
	v_fma_f32 v9, -v1, v3, 1.0
	v_fmac_f32_e32 v3, v9, v3
	v_div_scale_f32 v9, vcc, v13, v5, v13
	v_mul_f32_e32 v10, v9, v3
	v_fma_f32 v14, -v1, v10, v9
	v_fmac_f32_e32 v10, v14, v3
	v_fma_f32 v1, -v1, v10, v9
	v_div_fmas_f32 v1, v1, v3, v10
	v_div_fixup_f32 v13, v1, v5, v13
	v_div_scale_f32 v1, s[48:49], v5, v5, v12
	v_rcp_f32_e32 v3, v1
	s_nop 0
	v_fma_f32 v9, -v1, v3, 1.0
	v_fmac_f32_e32 v3, v9, v3
	v_div_scale_f32 v9, vcc, v12, v5, v12
	v_mul_f32_e32 v10, v9, v3
	v_fma_f32 v14, -v1, v10, v9
	v_fmac_f32_e32 v10, v14, v3
	v_fma_f32 v1, -v1, v10, v9
	v_div_fmas_f32 v1, v1, v3, v10
	v_div_fixup_f32 v12, v1, v5, v12
	v_accvgpr_read_b32 v1, a114
	ds_read_b32 v1, v1 offset:8448
	global_store_dwordx2 v[6:7], v[12:13], off
	v_cvt_f32_f16_sdwa v13, v11 dst_sel:DWORD dst_unused:UNUSED_PAD src0_sel:WORD_1
	v_cvt_f32_f16_e32 v12, v11
	v_pk_fma_f32 v[10:11], v[4:5], v[12:13], 0 op_sel_hi:[0,1,0]
	s_waitcnt lgkmcnt(0)
	v_cvt_f32_f16_sdwa v13, v1 dst_sel:DWORD dst_unused:UNUSED_PAD src0_sel:WORD_1
	v_cvt_f32_f16_e32 v12, v1
	v_pk_fma_f32 v[8:9], v[8:9], v[12:13], v[10:11] op_sel_hi:[0,1,1]
	v_div_scale_f32 v1, s[48:49], v5, v5, v9
	v_rcp_f32_e32 v3, v1
	s_nop 0
	v_fma_f32 v4, -v1, v3, 1.0
	v_fmac_f32_e32 v3, v4, v3
	v_div_scale_f32 v4, vcc, v9, v5, v9
	v_mul_f32_e32 v10, v4, v3
	v_fma_f32 v11, -v1, v10, v4
	v_fmac_f32_e32 v10, v11, v3
	v_fma_f32 v1, -v1, v10, v4
	v_div_fmas_f32 v1, v1, v3, v10
	v_div_fixup_f32 v9, v1, v5, v9
	v_div_scale_f32 v1, s[48:49], v5, v5, v8
	v_rcp_f32_e32 v3, v1
	s_nop 0
	v_fma_f32 v4, -v1, v3, 1.0
	v_fmac_f32_e32 v3, v4, v3
	v_div_scale_f32 v4, vcc, v8, v5, v8
	v_mul_f32_e32 v10, v4, v3
	v_fma_f32 v11, -v1, v10, v4
	v_fmac_f32_e32 v10, v11, v3
	v_fma_f32 v1, -v1, v10, v4
	v_div_fmas_f32 v1, v1, v3, v10
	v_div_fixup_f32 v8, v1, v5, v8
	v_mov_b32_e32 v3, 0
	global_store_dwordx2 v[6:7], v[8:9], off offset:512
.LBB30_405:                             ;   in Loop: Header=BB30_16 Depth=1
	s_or_b64 exec, exec, s[46:47]
	s_movk_i32 s41, 0x47
	v_cmp_gt_i32_e32 vcc, s41, v3
	s_mov_b64 s[46:47], -1
	s_and_saveexec_b64 s[48:49], vcc
; %bb.406:                              ;   in Loop: Header=BB30_16 Depth=1
	v_cmp_eq_u32_e32 vcc, 0, v3
	s_orn2_b64 s[46:47], vcc, exec
; %bb.407:                              ;   in Loop: Header=BB30_16 Depth=1
	s_or_b64 exec, exec, s[48:49]
	s_and_b64 exec, exec, s[46:47]
	s_cbranch_execz .LBB30_14
; %bb.408:                              ;   in Loop: Header=BB30_16 Depth=1
	v_accvgpr_read_b32 v1, a38
	v_add_u32_e32 v1, v1, v72
	v_cmp_gt_i32_e32 vcc, s96, v1
	v_mov_b32_e32 v3, 0x47
	s_and_saveexec_b64 s[46:47], vcc
	s_cbranch_execz .LBB30_410
; %bb.409:                              ;   in Loop: Header=BB30_16 Depth=1
	v_accvgpr_read_b32 v3, a116
	v_add_u32_e32 v3, 0, v3
	ds_read2_b32 v[4:5], v3 offset0:128 offset1:129
	ds_read_b32 v8, v3 offset:8960
	v_accvgpr_read_b32 v3, a115
	ds_read2st64_b32 v[10:11], v3 offset1:1
	ds_read_b32 v3, v3 offset:8448
	v_readlane_b32 s41, v254, 59
	v_accvgpr_read_b32 v12, a198
	v_accvgpr_read_b32 v13, a199
	v_mad_u64_u32 v[6:7], s[48:49], s41, v1, v[158:159]
	v_ashrrev_i32_e32 v7, 31, v6
	v_lshl_add_u64 v[6:7], v[6:7], 3, v[12:13]
	s_waitcnt lgkmcnt(1)
	v_cvt_f32_f16_sdwa v13, v10 dst_sel:DWORD dst_unused:UNUSED_PAD src0_sel:WORD_1
	v_cvt_f32_f16_e32 v12, v10
	s_waitcnt lgkmcnt(0)
	v_cvt_f32_f16_sdwa v15, v3 dst_sel:DWORD dst_unused:UNUSED_PAD src0_sel:WORD_1
	v_cvt_f32_f16_e32 v14, v3
	v_pk_fma_f32 v[12:13], v[4:5], v[12:13], 0 op_sel_hi:[0,1,0]
	v_pk_fma_f32 v[12:13], v[8:9], v[14:15], v[12:13] op_sel_hi:[0,1,1]
	v_div_scale_f32 v1, s[48:49], v5, v5, v13
	v_rcp_f32_e32 v3, v1
	s_nop 0
	v_fma_f32 v9, -v1, v3, 1.0
	v_fmac_f32_e32 v3, v9, v3
	v_div_scale_f32 v9, vcc, v13, v5, v13
	v_mul_f32_e32 v10, v9, v3
	v_fma_f32 v14, -v1, v10, v9
	v_fmac_f32_e32 v10, v14, v3
	v_fma_f32 v1, -v1, v10, v9
	v_div_fmas_f32 v1, v1, v3, v10
	v_div_fixup_f32 v13, v1, v5, v13
	v_div_scale_f32 v1, s[48:49], v5, v5, v12
	v_rcp_f32_e32 v3, v1
	s_nop 0
	v_fma_f32 v9, -v1, v3, 1.0
	v_fmac_f32_e32 v3, v9, v3
	v_div_scale_f32 v9, vcc, v12, v5, v12
	v_mul_f32_e32 v10, v9, v3
	v_fma_f32 v14, -v1, v10, v9
	v_fmac_f32_e32 v10, v14, v3
	v_fma_f32 v1, -v1, v10, v9
	v_div_fmas_f32 v1, v1, v3, v10
	v_div_fixup_f32 v12, v1, v5, v12
	v_accvgpr_read_b32 v1, a117
	ds_read_b32 v1, v1 offset:8448
	global_store_dwordx2 v[6:7], v[12:13], off
	v_cvt_f32_f16_sdwa v13, v11 dst_sel:DWORD dst_unused:UNUSED_PAD src0_sel:WORD_1
	v_cvt_f32_f16_e32 v12, v11
	v_pk_fma_f32 v[10:11], v[4:5], v[12:13], 0 op_sel_hi:[0,1,0]
	s_waitcnt lgkmcnt(0)
	v_cvt_f32_f16_sdwa v13, v1 dst_sel:DWORD dst_unused:UNUSED_PAD src0_sel:WORD_1
	v_cvt_f32_f16_e32 v12, v1
	v_pk_fma_f32 v[8:9], v[8:9], v[12:13], v[10:11] op_sel_hi:[0,1,1]
	v_div_scale_f32 v1, s[48:49], v5, v5, v9
	v_rcp_f32_e32 v3, v1
	s_nop 0
	v_fma_f32 v4, -v1, v3, 1.0
	v_fmac_f32_e32 v3, v4, v3
	v_div_scale_f32 v4, vcc, v9, v5, v9
	v_mul_f32_e32 v10, v4, v3
	v_fma_f32 v11, -v1, v10, v4
	v_fmac_f32_e32 v10, v11, v3
	v_fma_f32 v1, -v1, v10, v4
	v_div_fmas_f32 v1, v1, v3, v10
	v_div_fixup_f32 v9, v1, v5, v9
	v_div_scale_f32 v1, s[48:49], v5, v5, v8
	v_rcp_f32_e32 v3, v1
	s_nop 0
	v_fma_f32 v4, -v1, v3, 1.0
	v_fmac_f32_e32 v3, v4, v3
	v_div_scale_f32 v4, vcc, v8, v5, v8
	v_mul_f32_e32 v10, v4, v3
	v_fma_f32 v11, -v1, v10, v4
	v_fmac_f32_e32 v10, v11, v3
	v_fma_f32 v1, -v1, v10, v4
	v_div_fmas_f32 v1, v1, v3, v10
	v_div_fixup_f32 v8, v1, v5, v8
	v_mov_b32_e32 v3, 0
	global_store_dwordx2 v[6:7], v[8:9], off offset:512
.LBB30_410:                             ;   in Loop: Header=BB30_16 Depth=1
	s_or_b64 exec, exec, s[46:47]
	s_movk_i32 s41, 0x47
	v_cmp_gt_i32_e32 vcc, s41, v3
	s_mov_b64 s[46:47], -1
	s_and_saveexec_b64 s[48:49], vcc
; %bb.411:                              ;   in Loop: Header=BB30_16 Depth=1
	v_cmp_eq_u32_e32 vcc, 0, v3
	s_orn2_b64 s[46:47], vcc, exec
; %bb.412:                              ;   in Loop: Header=BB30_16 Depth=1
	s_or_b64 exec, exec, s[48:49]
	s_and_b64 exec, exec, s[46:47]
	s_cbranch_execz .LBB30_14
; %bb.413:                              ;   in Loop: Header=BB30_16 Depth=1
	v_accvgpr_read_b32 v1, a39
	v_add_u32_e32 v1, v1, v72
	v_cmp_gt_i32_e32 vcc, s96, v1
	v_mov_b32_e32 v3, 0x47
	s_and_saveexec_b64 s[46:47], vcc
	s_cbranch_execz .LBB30_415
; %bb.414:                              ;   in Loop: Header=BB30_16 Depth=1
	v_accvgpr_read_b32 v3, a119
	v_add_u32_e32 v3, 0, v3
	ds_read2_b32 v[4:5], v3 offset0:128 offset1:129
	ds_read_b32 v8, v3 offset:8960
	v_accvgpr_read_b32 v3, a118
	ds_read2st64_b32 v[10:11], v3 offset1:1
	ds_read_b32 v3, v3 offset:8448
	v_readlane_b32 s41, v254, 59
	v_accvgpr_read_b32 v12, a198
	v_accvgpr_read_b32 v13, a199
	v_mad_u64_u32 v[6:7], s[48:49], s41, v1, v[158:159]
	v_ashrrev_i32_e32 v7, 31, v6
	v_lshl_add_u64 v[6:7], v[6:7], 3, v[12:13]
	s_waitcnt lgkmcnt(1)
	v_cvt_f32_f16_sdwa v13, v10 dst_sel:DWORD dst_unused:UNUSED_PAD src0_sel:WORD_1
	v_cvt_f32_f16_e32 v12, v10
	s_waitcnt lgkmcnt(0)
	v_cvt_f32_f16_sdwa v15, v3 dst_sel:DWORD dst_unused:UNUSED_PAD src0_sel:WORD_1
	v_cvt_f32_f16_e32 v14, v3
	v_pk_fma_f32 v[12:13], v[4:5], v[12:13], 0 op_sel_hi:[0,1,0]
	v_pk_fma_f32 v[12:13], v[8:9], v[14:15], v[12:13] op_sel_hi:[0,1,1]
	v_div_scale_f32 v1, s[48:49], v5, v5, v13
	v_rcp_f32_e32 v3, v1
	s_nop 0
	v_fma_f32 v9, -v1, v3, 1.0
	v_fmac_f32_e32 v3, v9, v3
	v_div_scale_f32 v9, vcc, v13, v5, v13
	v_mul_f32_e32 v10, v9, v3
	v_fma_f32 v14, -v1, v10, v9
	v_fmac_f32_e32 v10, v14, v3
	v_fma_f32 v1, -v1, v10, v9
	v_div_fmas_f32 v1, v1, v3, v10
	v_div_fixup_f32 v13, v1, v5, v13
	v_div_scale_f32 v1, s[48:49], v5, v5, v12
	v_rcp_f32_e32 v3, v1
	s_nop 0
	v_fma_f32 v9, -v1, v3, 1.0
	v_fmac_f32_e32 v3, v9, v3
	v_div_scale_f32 v9, vcc, v12, v5, v12
	v_mul_f32_e32 v10, v9, v3
	v_fma_f32 v14, -v1, v10, v9
	v_fmac_f32_e32 v10, v14, v3
	v_fma_f32 v1, -v1, v10, v9
	v_div_fmas_f32 v1, v1, v3, v10
	v_div_fixup_f32 v12, v1, v5, v12
	v_accvgpr_read_b32 v1, a120
	ds_read_b32 v1, v1 offset:8448
	global_store_dwordx2 v[6:7], v[12:13], off
	v_cvt_f32_f16_sdwa v13, v11 dst_sel:DWORD dst_unused:UNUSED_PAD src0_sel:WORD_1
	v_cvt_f32_f16_e32 v12, v11
	v_pk_fma_f32 v[10:11], v[4:5], v[12:13], 0 op_sel_hi:[0,1,0]
	s_waitcnt lgkmcnt(0)
	v_cvt_f32_f16_sdwa v13, v1 dst_sel:DWORD dst_unused:UNUSED_PAD src0_sel:WORD_1
	v_cvt_f32_f16_e32 v12, v1
	v_pk_fma_f32 v[8:9], v[8:9], v[12:13], v[10:11] op_sel_hi:[0,1,1]
	v_div_scale_f32 v1, s[48:49], v5, v5, v9
	v_rcp_f32_e32 v3, v1
	s_nop 0
	v_fma_f32 v4, -v1, v3, 1.0
	v_fmac_f32_e32 v3, v4, v3
	v_div_scale_f32 v4, vcc, v9, v5, v9
	v_mul_f32_e32 v10, v4, v3
	v_fma_f32 v11, -v1, v10, v4
	v_fmac_f32_e32 v10, v11, v3
	v_fma_f32 v1, -v1, v10, v4
	v_div_fmas_f32 v1, v1, v3, v10
	v_div_fixup_f32 v9, v1, v5, v9
	v_div_scale_f32 v1, s[48:49], v5, v5, v8
	v_rcp_f32_e32 v3, v1
	s_nop 0
	v_fma_f32 v4, -v1, v3, 1.0
	v_fmac_f32_e32 v3, v4, v3
	v_div_scale_f32 v4, vcc, v8, v5, v8
	v_mul_f32_e32 v10, v4, v3
	v_fma_f32 v11, -v1, v10, v4
	v_fmac_f32_e32 v10, v11, v3
	v_fma_f32 v1, -v1, v10, v4
	v_div_fmas_f32 v1, v1, v3, v10
	v_div_fixup_f32 v8, v1, v5, v8
	v_mov_b32_e32 v3, 0
	global_store_dwordx2 v[6:7], v[8:9], off offset:512
.LBB30_415:                             ;   in Loop: Header=BB30_16 Depth=1
	s_or_b64 exec, exec, s[46:47]
	s_movk_i32 s41, 0x47
	v_cmp_gt_i32_e32 vcc, s41, v3
	s_mov_b64 s[46:47], -1
	s_and_saveexec_b64 s[48:49], vcc
; %bb.416:                              ;   in Loop: Header=BB30_16 Depth=1
	v_cmp_eq_u32_e32 vcc, 0, v3
	s_orn2_b64 s[46:47], vcc, exec
; %bb.417:                              ;   in Loop: Header=BB30_16 Depth=1
	s_or_b64 exec, exec, s[48:49]
	s_and_b64 exec, exec, s[46:47]
	s_cbranch_execz .LBB30_14
; %bb.418:                              ;   in Loop: Header=BB30_16 Depth=1
	v_accvgpr_read_b32 v1, a96
	v_add_u32_e32 v1, v1, v72
	v_cmp_gt_i32_e32 vcc, s96, v1
	v_mov_b32_e32 v3, 0x47
	s_and_saveexec_b64 s[46:47], vcc
	s_cbranch_execz .LBB30_420
; %bb.419:                              ;   in Loop: Header=BB30_16 Depth=1
	v_accvgpr_read_b32 v3, a122
	v_add_u32_e32 v3, 0, v3
	ds_read2_b32 v[4:5], v3 offset0:128 offset1:129
	ds_read_b32 v8, v3 offset:8960
	v_accvgpr_read_b32 v3, a121
	ds_read2st64_b32 v[10:11], v3 offset1:1
	ds_read_b32 v3, v3 offset:8448
	v_readlane_b32 s41, v254, 59
	v_accvgpr_read_b32 v12, a198
	v_accvgpr_read_b32 v13, a199
	v_mad_u64_u32 v[6:7], s[48:49], s41, v1, v[158:159]
	v_ashrrev_i32_e32 v7, 31, v6
	v_lshl_add_u64 v[6:7], v[6:7], 3, v[12:13]
	s_waitcnt lgkmcnt(1)
	v_cvt_f32_f16_sdwa v13, v10 dst_sel:DWORD dst_unused:UNUSED_PAD src0_sel:WORD_1
	v_cvt_f32_f16_e32 v12, v10
	s_waitcnt lgkmcnt(0)
	v_cvt_f32_f16_sdwa v15, v3 dst_sel:DWORD dst_unused:UNUSED_PAD src0_sel:WORD_1
	v_cvt_f32_f16_e32 v14, v3
	v_pk_fma_f32 v[12:13], v[4:5], v[12:13], 0 op_sel_hi:[0,1,0]
	v_pk_fma_f32 v[12:13], v[8:9], v[14:15], v[12:13] op_sel_hi:[0,1,1]
	v_div_scale_f32 v1, s[48:49], v5, v5, v13
	v_rcp_f32_e32 v3, v1
	s_nop 0
	v_fma_f32 v9, -v1, v3, 1.0
	v_fmac_f32_e32 v3, v9, v3
	v_div_scale_f32 v9, vcc, v13, v5, v13
	v_mul_f32_e32 v10, v9, v3
	v_fma_f32 v14, -v1, v10, v9
	v_fmac_f32_e32 v10, v14, v3
	v_fma_f32 v1, -v1, v10, v9
	v_div_fmas_f32 v1, v1, v3, v10
	v_div_fixup_f32 v13, v1, v5, v13
	v_div_scale_f32 v1, s[48:49], v5, v5, v12
	v_rcp_f32_e32 v3, v1
	s_nop 0
	v_fma_f32 v9, -v1, v3, 1.0
	v_fmac_f32_e32 v3, v9, v3
	v_div_scale_f32 v9, vcc, v12, v5, v12
	v_mul_f32_e32 v10, v9, v3
	v_fma_f32 v14, -v1, v10, v9
	v_fmac_f32_e32 v10, v14, v3
	v_fma_f32 v1, -v1, v10, v9
	v_div_fmas_f32 v1, v1, v3, v10
	v_div_fixup_f32 v12, v1, v5, v12
	v_accvgpr_read_b32 v1, a123
	ds_read_b32 v1, v1 offset:8448
	global_store_dwordx2 v[6:7], v[12:13], off
	v_cvt_f32_f16_sdwa v13, v11 dst_sel:DWORD dst_unused:UNUSED_PAD src0_sel:WORD_1
	v_cvt_f32_f16_e32 v12, v11
	v_pk_fma_f32 v[10:11], v[4:5], v[12:13], 0 op_sel_hi:[0,1,0]
	s_waitcnt lgkmcnt(0)
	v_cvt_f32_f16_sdwa v13, v1 dst_sel:DWORD dst_unused:UNUSED_PAD src0_sel:WORD_1
	v_cvt_f32_f16_e32 v12, v1
	v_pk_fma_f32 v[8:9], v[8:9], v[12:13], v[10:11] op_sel_hi:[0,1,1]
	v_div_scale_f32 v1, s[48:49], v5, v5, v9
	v_rcp_f32_e32 v3, v1
	s_nop 0
	v_fma_f32 v4, -v1, v3, 1.0
	v_fmac_f32_e32 v3, v4, v3
	v_div_scale_f32 v4, vcc, v9, v5, v9
	v_mul_f32_e32 v10, v4, v3
	v_fma_f32 v11, -v1, v10, v4
	v_fmac_f32_e32 v10, v11, v3
	v_fma_f32 v1, -v1, v10, v4
	v_div_fmas_f32 v1, v1, v3, v10
	v_div_fixup_f32 v9, v1, v5, v9
	v_div_scale_f32 v1, s[48:49], v5, v5, v8
	v_rcp_f32_e32 v3, v1
	s_nop 0
	v_fma_f32 v4, -v1, v3, 1.0
	v_fmac_f32_e32 v3, v4, v3
	v_div_scale_f32 v4, vcc, v8, v5, v8
	v_mul_f32_e32 v10, v4, v3
	v_fma_f32 v11, -v1, v10, v4
	v_fmac_f32_e32 v10, v11, v3
	v_fma_f32 v1, -v1, v10, v4
	v_div_fmas_f32 v1, v1, v3, v10
	v_div_fixup_f32 v8, v1, v5, v8
	v_mov_b32_e32 v3, 0
	global_store_dwordx2 v[6:7], v[8:9], off offset:512
.LBB30_420:                             ;   in Loop: Header=BB30_16 Depth=1
	s_or_b64 exec, exec, s[46:47]
	s_movk_i32 s41, 0x47
	v_cmp_gt_i32_e32 vcc, s41, v3
	s_mov_b64 s[46:47], -1
	s_and_saveexec_b64 s[48:49], vcc
; %bb.421:                              ;   in Loop: Header=BB30_16 Depth=1
	v_cmp_eq_u32_e32 vcc, 0, v3
	s_orn2_b64 s[46:47], vcc, exec
; %bb.422:                              ;   in Loop: Header=BB30_16 Depth=1
	s_or_b64 exec, exec, s[48:49]
	s_and_b64 exec, exec, s[46:47]
	s_cbranch_execz .LBB30_14
; %bb.423:                              ;   in Loop: Header=BB30_16 Depth=1
	v_accvgpr_read_b32 v1, a40
	v_add_u32_e32 v1, v1, v72
	v_cmp_gt_i32_e32 vcc, s96, v1
	v_mov_b32_e32 v3, 0x47
	s_and_saveexec_b64 s[46:47], vcc
	s_cbranch_execz .LBB30_425
; %bb.424:                              ;   in Loop: Header=BB30_16 Depth=1
	v_accvgpr_read_b32 v3, a125
	v_add_u32_e32 v3, 0, v3
	ds_read2_b32 v[4:5], v3 offset0:128 offset1:129
	ds_read_b32 v8, v3 offset:8960
	v_accvgpr_read_b32 v3, a124
	ds_read2st64_b32 v[10:11], v3 offset1:1
	ds_read_b32 v3, v3 offset:8448
	v_readlane_b32 s41, v254, 59
	v_accvgpr_read_b32 v12, a198
	v_accvgpr_read_b32 v13, a199
	v_mad_u64_u32 v[6:7], s[48:49], s41, v1, v[158:159]
	v_ashrrev_i32_e32 v7, 31, v6
	v_lshl_add_u64 v[6:7], v[6:7], 3, v[12:13]
	s_waitcnt lgkmcnt(1)
	v_cvt_f32_f16_sdwa v13, v10 dst_sel:DWORD dst_unused:UNUSED_PAD src0_sel:WORD_1
	v_cvt_f32_f16_e32 v12, v10
	s_waitcnt lgkmcnt(0)
	v_cvt_f32_f16_sdwa v15, v3 dst_sel:DWORD dst_unused:UNUSED_PAD src0_sel:WORD_1
	v_cvt_f32_f16_e32 v14, v3
	v_pk_fma_f32 v[12:13], v[4:5], v[12:13], 0 op_sel_hi:[0,1,0]
	v_pk_fma_f32 v[12:13], v[8:9], v[14:15], v[12:13] op_sel_hi:[0,1,1]
	v_div_scale_f32 v1, s[48:49], v5, v5, v13
	v_rcp_f32_e32 v3, v1
	s_nop 0
	v_fma_f32 v9, -v1, v3, 1.0
	v_fmac_f32_e32 v3, v9, v3
	v_div_scale_f32 v9, vcc, v13, v5, v13
	v_mul_f32_e32 v10, v9, v3
	v_fma_f32 v14, -v1, v10, v9
	v_fmac_f32_e32 v10, v14, v3
	v_fma_f32 v1, -v1, v10, v9
	v_div_fmas_f32 v1, v1, v3, v10
	v_div_fixup_f32 v13, v1, v5, v13
	v_div_scale_f32 v1, s[48:49], v5, v5, v12
	v_rcp_f32_e32 v3, v1
	s_nop 0
	v_fma_f32 v9, -v1, v3, 1.0
	v_fmac_f32_e32 v3, v9, v3
	v_div_scale_f32 v9, vcc, v12, v5, v12
	v_mul_f32_e32 v10, v9, v3
	v_fma_f32 v14, -v1, v10, v9
	v_fmac_f32_e32 v10, v14, v3
	v_fma_f32 v1, -v1, v10, v9
	v_div_fmas_f32 v1, v1, v3, v10
	v_div_fixup_f32 v12, v1, v5, v12
	v_accvgpr_read_b32 v1, a126
	ds_read_b32 v1, v1 offset:8448
	global_store_dwordx2 v[6:7], v[12:13], off
	v_cvt_f32_f16_sdwa v13, v11 dst_sel:DWORD dst_unused:UNUSED_PAD src0_sel:WORD_1
	v_cvt_f32_f16_e32 v12, v11
	v_pk_fma_f32 v[10:11], v[4:5], v[12:13], 0 op_sel_hi:[0,1,0]
	s_waitcnt lgkmcnt(0)
	v_cvt_f32_f16_sdwa v13, v1 dst_sel:DWORD dst_unused:UNUSED_PAD src0_sel:WORD_1
	v_cvt_f32_f16_e32 v12, v1
	v_pk_fma_f32 v[8:9], v[8:9], v[12:13], v[10:11] op_sel_hi:[0,1,1]
	v_div_scale_f32 v1, s[48:49], v5, v5, v9
	v_rcp_f32_e32 v3, v1
	s_nop 0
	v_fma_f32 v4, -v1, v3, 1.0
	v_fmac_f32_e32 v3, v4, v3
	v_div_scale_f32 v4, vcc, v9, v5, v9
	v_mul_f32_e32 v10, v4, v3
	v_fma_f32 v11, -v1, v10, v4
	v_fmac_f32_e32 v10, v11, v3
	v_fma_f32 v1, -v1, v10, v4
	v_div_fmas_f32 v1, v1, v3, v10
	v_div_fixup_f32 v9, v1, v5, v9
	v_div_scale_f32 v1, s[48:49], v5, v5, v8
	v_rcp_f32_e32 v3, v1
	s_nop 0
	v_fma_f32 v4, -v1, v3, 1.0
	v_fmac_f32_e32 v3, v4, v3
	v_div_scale_f32 v4, vcc, v8, v5, v8
	v_mul_f32_e32 v10, v4, v3
	v_fma_f32 v11, -v1, v10, v4
	v_fmac_f32_e32 v10, v11, v3
	v_fma_f32 v1, -v1, v10, v4
	v_div_fmas_f32 v1, v1, v3, v10
	v_div_fixup_f32 v8, v1, v5, v8
	v_mov_b32_e32 v3, 0
	global_store_dwordx2 v[6:7], v[8:9], off offset:512
.LBB30_425:                             ;   in Loop: Header=BB30_16 Depth=1
	s_or_b64 exec, exec, s[46:47]
	s_movk_i32 s41, 0x47
	v_cmp_gt_i32_e32 vcc, s41, v3
	s_mov_b64 s[46:47], -1
	s_and_saveexec_b64 s[48:49], vcc
; %bb.426:                              ;   in Loop: Header=BB30_16 Depth=1
	v_cmp_eq_u32_e32 vcc, 0, v3
	s_orn2_b64 s[46:47], vcc, exec
; %bb.427:                              ;   in Loop: Header=BB30_16 Depth=1
	s_or_b64 exec, exec, s[48:49]
	s_and_b64 exec, exec, s[46:47]
	s_cbranch_execz .LBB30_14
; %bb.428:                              ;   in Loop: Header=BB30_16 Depth=1
	v_accvgpr_read_b32 v1, a41
	v_add_u32_e32 v1, v1, v72
	v_cmp_gt_i32_e32 vcc, s96, v1
	v_mov_b32_e32 v3, 0x47
	s_and_saveexec_b64 s[46:47], vcc
	s_cbranch_execz .LBB30_430
; %bb.429:                              ;   in Loop: Header=BB30_16 Depth=1
	v_accvgpr_read_b32 v3, a128
	v_add_u32_e32 v3, 0, v3
	ds_read2_b32 v[4:5], v3 offset0:128 offset1:129
	ds_read_b32 v8, v3 offset:8960
	v_accvgpr_read_b32 v3, a127
	ds_read2st64_b32 v[10:11], v3 offset1:1
	ds_read_b32 v3, v3 offset:8448
	v_readlane_b32 s41, v254, 59
	v_accvgpr_read_b32 v12, a198
	v_accvgpr_read_b32 v13, a199
	v_mad_u64_u32 v[6:7], s[48:49], s41, v1, v[158:159]
	v_ashrrev_i32_e32 v7, 31, v6
	v_lshl_add_u64 v[6:7], v[6:7], 3, v[12:13]
	s_waitcnt lgkmcnt(1)
	v_cvt_f32_f16_sdwa v13, v10 dst_sel:DWORD dst_unused:UNUSED_PAD src0_sel:WORD_1
	v_cvt_f32_f16_e32 v12, v10
	s_waitcnt lgkmcnt(0)
	v_cvt_f32_f16_sdwa v15, v3 dst_sel:DWORD dst_unused:UNUSED_PAD src0_sel:WORD_1
	v_cvt_f32_f16_e32 v14, v3
	v_pk_fma_f32 v[12:13], v[4:5], v[12:13], 0 op_sel_hi:[0,1,0]
	v_pk_fma_f32 v[12:13], v[8:9], v[14:15], v[12:13] op_sel_hi:[0,1,1]
	v_div_scale_f32 v1, s[48:49], v5, v5, v13
	v_rcp_f32_e32 v3, v1
	s_nop 0
	v_fma_f32 v9, -v1, v3, 1.0
	v_fmac_f32_e32 v3, v9, v3
	v_div_scale_f32 v9, vcc, v13, v5, v13
	v_mul_f32_e32 v10, v9, v3
	v_fma_f32 v14, -v1, v10, v9
	v_fmac_f32_e32 v10, v14, v3
	v_fma_f32 v1, -v1, v10, v9
	v_div_fmas_f32 v1, v1, v3, v10
	v_div_fixup_f32 v13, v1, v5, v13
	v_div_scale_f32 v1, s[48:49], v5, v5, v12
	v_rcp_f32_e32 v3, v1
	s_nop 0
	v_fma_f32 v9, -v1, v3, 1.0
	v_fmac_f32_e32 v3, v9, v3
	v_div_scale_f32 v9, vcc, v12, v5, v12
	v_mul_f32_e32 v10, v9, v3
	v_fma_f32 v14, -v1, v10, v9
	v_fmac_f32_e32 v10, v14, v3
	v_fma_f32 v1, -v1, v10, v9
	v_div_fmas_f32 v1, v1, v3, v10
	v_div_fixup_f32 v12, v1, v5, v12
	v_accvgpr_read_b32 v1, a129
	ds_read_b32 v1, v1 offset:8448
	global_store_dwordx2 v[6:7], v[12:13], off
	v_cvt_f32_f16_sdwa v13, v11 dst_sel:DWORD dst_unused:UNUSED_PAD src0_sel:WORD_1
	v_cvt_f32_f16_e32 v12, v11
	v_pk_fma_f32 v[10:11], v[4:5], v[12:13], 0 op_sel_hi:[0,1,0]
	s_waitcnt lgkmcnt(0)
	v_cvt_f32_f16_sdwa v13, v1 dst_sel:DWORD dst_unused:UNUSED_PAD src0_sel:WORD_1
	v_cvt_f32_f16_e32 v12, v1
	v_pk_fma_f32 v[8:9], v[8:9], v[12:13], v[10:11] op_sel_hi:[0,1,1]
	v_div_scale_f32 v1, s[48:49], v5, v5, v9
	v_rcp_f32_e32 v3, v1
	s_nop 0
	v_fma_f32 v4, -v1, v3, 1.0
	v_fmac_f32_e32 v3, v4, v3
	v_div_scale_f32 v4, vcc, v9, v5, v9
	v_mul_f32_e32 v10, v4, v3
	v_fma_f32 v11, -v1, v10, v4
	v_fmac_f32_e32 v10, v11, v3
	v_fma_f32 v1, -v1, v10, v4
	v_div_fmas_f32 v1, v1, v3, v10
	v_div_fixup_f32 v9, v1, v5, v9
	v_div_scale_f32 v1, s[48:49], v5, v5, v8
	v_rcp_f32_e32 v3, v1
	s_nop 0
	v_fma_f32 v4, -v1, v3, 1.0
	v_fmac_f32_e32 v3, v4, v3
	v_div_scale_f32 v4, vcc, v8, v5, v8
	v_mul_f32_e32 v10, v4, v3
	v_fma_f32 v11, -v1, v10, v4
	v_fmac_f32_e32 v10, v11, v3
	v_fma_f32 v1, -v1, v10, v4
	v_div_fmas_f32 v1, v1, v3, v10
	v_div_fixup_f32 v8, v1, v5, v8
	v_mov_b32_e32 v3, 0
	global_store_dwordx2 v[6:7], v[8:9], off offset:512
.LBB30_430:                             ;   in Loop: Header=BB30_16 Depth=1
	s_or_b64 exec, exec, s[46:47]
	s_movk_i32 s41, 0x47
	v_cmp_gt_i32_e32 vcc, s41, v3
	s_mov_b64 s[46:47], -1
	s_and_saveexec_b64 s[48:49], vcc
; %bb.431:                              ;   in Loop: Header=BB30_16 Depth=1
	v_cmp_eq_u32_e32 vcc, 0, v3
	s_orn2_b64 s[46:47], vcc, exec
; %bb.432:                              ;   in Loop: Header=BB30_16 Depth=1
	s_or_b64 exec, exec, s[48:49]
	s_and_b64 exec, exec, s[46:47]
	s_cbranch_execz .LBB30_14
; %bb.433:                              ;   in Loop: Header=BB30_16 Depth=1
	v_accvgpr_read_b32 v1, a42
	v_add_u32_e32 v1, v1, v72
	v_cmp_gt_i32_e32 vcc, s96, v1
	v_mov_b32_e32 v3, 0x47
	s_and_saveexec_b64 s[46:47], vcc
	s_cbranch_execz .LBB30_435
; %bb.434:                              ;   in Loop: Header=BB30_16 Depth=1
	v_accvgpr_read_b32 v3, a131
	v_add_u32_e32 v3, 0, v3
	ds_read2_b32 v[4:5], v3 offset0:128 offset1:129
	ds_read_b32 v8, v3 offset:8960
	v_accvgpr_read_b32 v3, a130
	ds_read2st64_b32 v[10:11], v3 offset1:1
	ds_read_b32 v3, v3 offset:8448
	v_readlane_b32 s41, v254, 59
	v_accvgpr_read_b32 v12, a198
	v_accvgpr_read_b32 v13, a199
	v_mad_u64_u32 v[6:7], s[48:49], s41, v1, v[158:159]
	v_ashrrev_i32_e32 v7, 31, v6
	v_lshl_add_u64 v[6:7], v[6:7], 3, v[12:13]
	s_waitcnt lgkmcnt(1)
	v_cvt_f32_f16_sdwa v13, v10 dst_sel:DWORD dst_unused:UNUSED_PAD src0_sel:WORD_1
	v_cvt_f32_f16_e32 v12, v10
	s_waitcnt lgkmcnt(0)
	v_cvt_f32_f16_sdwa v15, v3 dst_sel:DWORD dst_unused:UNUSED_PAD src0_sel:WORD_1
	v_cvt_f32_f16_e32 v14, v3
	v_pk_fma_f32 v[12:13], v[4:5], v[12:13], 0 op_sel_hi:[0,1,0]
	v_pk_fma_f32 v[12:13], v[8:9], v[14:15], v[12:13] op_sel_hi:[0,1,1]
	v_div_scale_f32 v1, s[48:49], v5, v5, v13
	v_rcp_f32_e32 v3, v1
	s_nop 0
	v_fma_f32 v9, -v1, v3, 1.0
	v_fmac_f32_e32 v3, v9, v3
	v_div_scale_f32 v9, vcc, v13, v5, v13
	v_mul_f32_e32 v10, v9, v3
	v_fma_f32 v14, -v1, v10, v9
	v_fmac_f32_e32 v10, v14, v3
	v_fma_f32 v1, -v1, v10, v9
	v_div_fmas_f32 v1, v1, v3, v10
	v_div_fixup_f32 v13, v1, v5, v13
	v_div_scale_f32 v1, s[48:49], v5, v5, v12
	v_rcp_f32_e32 v3, v1
	s_nop 0
	v_fma_f32 v9, -v1, v3, 1.0
	v_fmac_f32_e32 v3, v9, v3
	v_div_scale_f32 v9, vcc, v12, v5, v12
	v_mul_f32_e32 v10, v9, v3
	v_fma_f32 v14, -v1, v10, v9
	v_fmac_f32_e32 v10, v14, v3
	v_fma_f32 v1, -v1, v10, v9
	v_div_fmas_f32 v1, v1, v3, v10
	v_div_fixup_f32 v12, v1, v5, v12
	v_accvgpr_read_b32 v1, a132
	ds_read_b32 v1, v1 offset:8448
	global_store_dwordx2 v[6:7], v[12:13], off
	v_cvt_f32_f16_sdwa v13, v11 dst_sel:DWORD dst_unused:UNUSED_PAD src0_sel:WORD_1
	v_cvt_f32_f16_e32 v12, v11
	v_pk_fma_f32 v[10:11], v[4:5], v[12:13], 0 op_sel_hi:[0,1,0]
	s_waitcnt lgkmcnt(0)
	v_cvt_f32_f16_sdwa v13, v1 dst_sel:DWORD dst_unused:UNUSED_PAD src0_sel:WORD_1
	v_cvt_f32_f16_e32 v12, v1
	v_pk_fma_f32 v[8:9], v[8:9], v[12:13], v[10:11] op_sel_hi:[0,1,1]
	v_div_scale_f32 v1, s[48:49], v5, v5, v9
	v_rcp_f32_e32 v3, v1
	s_nop 0
	v_fma_f32 v4, -v1, v3, 1.0
	v_fmac_f32_e32 v3, v4, v3
	v_div_scale_f32 v4, vcc, v9, v5, v9
	v_mul_f32_e32 v10, v4, v3
	v_fma_f32 v11, -v1, v10, v4
	v_fmac_f32_e32 v10, v11, v3
	v_fma_f32 v1, -v1, v10, v4
	v_div_fmas_f32 v1, v1, v3, v10
	v_div_fixup_f32 v9, v1, v5, v9
	v_div_scale_f32 v1, s[48:49], v5, v5, v8
	v_rcp_f32_e32 v3, v1
	s_nop 0
	v_fma_f32 v4, -v1, v3, 1.0
	v_fmac_f32_e32 v3, v4, v3
	v_div_scale_f32 v4, vcc, v8, v5, v8
	v_mul_f32_e32 v10, v4, v3
	v_fma_f32 v11, -v1, v10, v4
	v_fmac_f32_e32 v10, v11, v3
	v_fma_f32 v1, -v1, v10, v4
	v_div_fmas_f32 v1, v1, v3, v10
	v_div_fixup_f32 v8, v1, v5, v8
	v_mov_b32_e32 v3, 0
	global_store_dwordx2 v[6:7], v[8:9], off offset:512
.LBB30_435:                             ;   in Loop: Header=BB30_16 Depth=1
	s_or_b64 exec, exec, s[46:47]
	s_movk_i32 s41, 0x47
	v_cmp_gt_i32_e32 vcc, s41, v3
	s_mov_b64 s[46:47], -1
	s_and_saveexec_b64 s[48:49], vcc
; %bb.436:                              ;   in Loop: Header=BB30_16 Depth=1
	v_cmp_eq_u32_e32 vcc, 0, v3
	s_orn2_b64 s[46:47], vcc, exec
; %bb.437:                              ;   in Loop: Header=BB30_16 Depth=1
	s_or_b64 exec, exec, s[48:49]
	s_and_b64 exec, exec, s[46:47]
	s_cbranch_execz .LBB30_14
; %bb.438:                              ;   in Loop: Header=BB30_16 Depth=1
	v_accvgpr_read_b32 v1, a43
	v_add_u32_e32 v1, v1, v72
	v_cmp_gt_i32_e32 vcc, s96, v1
	v_mov_b32_e32 v3, 0x47
	s_and_saveexec_b64 s[46:47], vcc
	s_cbranch_execz .LBB30_440
; %bb.439:                              ;   in Loop: Header=BB30_16 Depth=1
	v_accvgpr_read_b32 v3, a134
	v_add_u32_e32 v3, 0, v3
	ds_read2_b32 v[4:5], v3 offset0:128 offset1:129
	ds_read_b32 v8, v3 offset:8960
	v_accvgpr_read_b32 v3, a133
	ds_read2st64_b32 v[10:11], v3 offset1:1
	ds_read_b32 v3, v3 offset:8448
	v_readlane_b32 s41, v254, 59
	v_accvgpr_read_b32 v12, a198
	v_accvgpr_read_b32 v13, a199
	v_mad_u64_u32 v[6:7], s[48:49], s41, v1, v[158:159]
	v_ashrrev_i32_e32 v7, 31, v6
	v_lshl_add_u64 v[6:7], v[6:7], 3, v[12:13]
	s_waitcnt lgkmcnt(1)
	v_cvt_f32_f16_sdwa v13, v10 dst_sel:DWORD dst_unused:UNUSED_PAD src0_sel:WORD_1
	v_cvt_f32_f16_e32 v12, v10
	s_waitcnt lgkmcnt(0)
	v_cvt_f32_f16_sdwa v15, v3 dst_sel:DWORD dst_unused:UNUSED_PAD src0_sel:WORD_1
	v_cvt_f32_f16_e32 v14, v3
	v_pk_fma_f32 v[12:13], v[4:5], v[12:13], 0 op_sel_hi:[0,1,0]
	v_pk_fma_f32 v[12:13], v[8:9], v[14:15], v[12:13] op_sel_hi:[0,1,1]
	v_div_scale_f32 v1, s[48:49], v5, v5, v13
	v_rcp_f32_e32 v3, v1
	s_nop 0
	v_fma_f32 v9, -v1, v3, 1.0
	v_fmac_f32_e32 v3, v9, v3
	v_div_scale_f32 v9, vcc, v13, v5, v13
	v_mul_f32_e32 v10, v9, v3
	v_fma_f32 v14, -v1, v10, v9
	v_fmac_f32_e32 v10, v14, v3
	v_fma_f32 v1, -v1, v10, v9
	v_div_fmas_f32 v1, v1, v3, v10
	v_div_fixup_f32 v13, v1, v5, v13
	v_div_scale_f32 v1, s[48:49], v5, v5, v12
	v_rcp_f32_e32 v3, v1
	s_nop 0
	v_fma_f32 v9, -v1, v3, 1.0
	v_fmac_f32_e32 v3, v9, v3
	v_div_scale_f32 v9, vcc, v12, v5, v12
	v_mul_f32_e32 v10, v9, v3
	v_fma_f32 v14, -v1, v10, v9
	v_fmac_f32_e32 v10, v14, v3
	v_fma_f32 v1, -v1, v10, v9
	v_div_fmas_f32 v1, v1, v3, v10
	v_div_fixup_f32 v12, v1, v5, v12
	v_accvgpr_read_b32 v1, a135
	ds_read_b32 v1, v1 offset:8448
	global_store_dwordx2 v[6:7], v[12:13], off
	v_cvt_f32_f16_sdwa v13, v11 dst_sel:DWORD dst_unused:UNUSED_PAD src0_sel:WORD_1
	v_cvt_f32_f16_e32 v12, v11
	v_pk_fma_f32 v[10:11], v[4:5], v[12:13], 0 op_sel_hi:[0,1,0]
	s_waitcnt lgkmcnt(0)
	v_cvt_f32_f16_sdwa v13, v1 dst_sel:DWORD dst_unused:UNUSED_PAD src0_sel:WORD_1
	v_cvt_f32_f16_e32 v12, v1
	v_pk_fma_f32 v[8:9], v[8:9], v[12:13], v[10:11] op_sel_hi:[0,1,1]
	v_div_scale_f32 v1, s[48:49], v5, v5, v9
	v_rcp_f32_e32 v3, v1
	s_nop 0
	v_fma_f32 v4, -v1, v3, 1.0
	v_fmac_f32_e32 v3, v4, v3
	v_div_scale_f32 v4, vcc, v9, v5, v9
	v_mul_f32_e32 v10, v4, v3
	v_fma_f32 v11, -v1, v10, v4
	v_fmac_f32_e32 v10, v11, v3
	v_fma_f32 v1, -v1, v10, v4
	v_div_fmas_f32 v1, v1, v3, v10
	v_div_fixup_f32 v9, v1, v5, v9
	v_div_scale_f32 v1, s[48:49], v5, v5, v8
	v_rcp_f32_e32 v3, v1
	s_nop 0
	v_fma_f32 v4, -v1, v3, 1.0
	v_fmac_f32_e32 v3, v4, v3
	v_div_scale_f32 v4, vcc, v8, v5, v8
	v_mul_f32_e32 v10, v4, v3
	v_fma_f32 v11, -v1, v10, v4
	v_fmac_f32_e32 v10, v11, v3
	v_fma_f32 v1, -v1, v10, v4
	v_div_fmas_f32 v1, v1, v3, v10
	v_div_fixup_f32 v8, v1, v5, v8
	v_mov_b32_e32 v3, 0
	global_store_dwordx2 v[6:7], v[8:9], off offset:512
.LBB30_440:                             ;   in Loop: Header=BB30_16 Depth=1
	s_or_b64 exec, exec, s[46:47]
	s_movk_i32 s41, 0x47
	v_cmp_gt_i32_e32 vcc, s41, v3
	s_mov_b64 s[46:47], -1
	s_and_saveexec_b64 s[48:49], vcc
; %bb.441:                              ;   in Loop: Header=BB30_16 Depth=1
	v_cmp_eq_u32_e32 vcc, 0, v3
	s_orn2_b64 s[46:47], vcc, exec
; %bb.442:                              ;   in Loop: Header=BB30_16 Depth=1
	s_or_b64 exec, exec, s[48:49]
	s_and_b64 exec, exec, s[46:47]
	s_cbranch_execz .LBB30_14
; %bb.443:                              ;   in Loop: Header=BB30_16 Depth=1
	v_accvgpr_read_b32 v1, a44
	v_add_u32_e32 v1, v1, v72
	v_cmp_gt_i32_e32 vcc, s96, v1
	v_mov_b32_e32 v3, 0x47
	s_and_saveexec_b64 s[46:47], vcc
	s_cbranch_execz .LBB30_445
; %bb.444:                              ;   in Loop: Header=BB30_16 Depth=1
	v_accvgpr_read_b32 v3, a137
	v_add_u32_e32 v3, 0, v3
	ds_read2_b32 v[4:5], v3 offset0:128 offset1:129
	ds_read_b32 v8, v3 offset:8960
	v_accvgpr_read_b32 v3, a136
	ds_read2st64_b32 v[10:11], v3 offset1:1
	ds_read_b32 v3, v3 offset:8448
	v_readlane_b32 s41, v254, 59
	v_accvgpr_read_b32 v12, a198
	v_accvgpr_read_b32 v13, a199
	v_mad_u64_u32 v[6:7], s[48:49], s41, v1, v[158:159]
	v_ashrrev_i32_e32 v7, 31, v6
	v_lshl_add_u64 v[6:7], v[6:7], 3, v[12:13]
	s_waitcnt lgkmcnt(1)
	v_cvt_f32_f16_sdwa v13, v10 dst_sel:DWORD dst_unused:UNUSED_PAD src0_sel:WORD_1
	v_cvt_f32_f16_e32 v12, v10
	s_waitcnt lgkmcnt(0)
	v_cvt_f32_f16_sdwa v15, v3 dst_sel:DWORD dst_unused:UNUSED_PAD src0_sel:WORD_1
	v_cvt_f32_f16_e32 v14, v3
	v_pk_fma_f32 v[12:13], v[4:5], v[12:13], 0 op_sel_hi:[0,1,0]
	v_pk_fma_f32 v[12:13], v[8:9], v[14:15], v[12:13] op_sel_hi:[0,1,1]
	v_div_scale_f32 v1, s[48:49], v5, v5, v13
	v_rcp_f32_e32 v3, v1
	s_nop 0
	v_fma_f32 v9, -v1, v3, 1.0
	v_fmac_f32_e32 v3, v9, v3
	v_div_scale_f32 v9, vcc, v13, v5, v13
	v_mul_f32_e32 v10, v9, v3
	v_fma_f32 v14, -v1, v10, v9
	v_fmac_f32_e32 v10, v14, v3
	v_fma_f32 v1, -v1, v10, v9
	v_div_fmas_f32 v1, v1, v3, v10
	v_div_fixup_f32 v13, v1, v5, v13
	v_div_scale_f32 v1, s[48:49], v5, v5, v12
	v_rcp_f32_e32 v3, v1
	s_nop 0
	v_fma_f32 v9, -v1, v3, 1.0
	v_fmac_f32_e32 v3, v9, v3
	v_div_scale_f32 v9, vcc, v12, v5, v12
	v_mul_f32_e32 v10, v9, v3
	v_fma_f32 v14, -v1, v10, v9
	v_fmac_f32_e32 v10, v14, v3
	v_fma_f32 v1, -v1, v10, v9
	v_div_fmas_f32 v1, v1, v3, v10
	v_div_fixup_f32 v12, v1, v5, v12
	v_accvgpr_read_b32 v1, a138
	ds_read_b32 v1, v1 offset:8448
	global_store_dwordx2 v[6:7], v[12:13], off
	v_cvt_f32_f16_sdwa v13, v11 dst_sel:DWORD dst_unused:UNUSED_PAD src0_sel:WORD_1
	v_cvt_f32_f16_e32 v12, v11
	v_pk_fma_f32 v[10:11], v[4:5], v[12:13], 0 op_sel_hi:[0,1,0]
	s_waitcnt lgkmcnt(0)
	v_cvt_f32_f16_sdwa v13, v1 dst_sel:DWORD dst_unused:UNUSED_PAD src0_sel:WORD_1
	v_cvt_f32_f16_e32 v12, v1
	v_pk_fma_f32 v[8:9], v[8:9], v[12:13], v[10:11] op_sel_hi:[0,1,1]
	v_div_scale_f32 v1, s[48:49], v5, v5, v9
	v_rcp_f32_e32 v3, v1
	s_nop 0
	v_fma_f32 v4, -v1, v3, 1.0
	v_fmac_f32_e32 v3, v4, v3
	v_div_scale_f32 v4, vcc, v9, v5, v9
	v_mul_f32_e32 v10, v4, v3
	v_fma_f32 v11, -v1, v10, v4
	v_fmac_f32_e32 v10, v11, v3
	v_fma_f32 v1, -v1, v10, v4
	v_div_fmas_f32 v1, v1, v3, v10
	v_div_fixup_f32 v9, v1, v5, v9
	v_div_scale_f32 v1, s[48:49], v5, v5, v8
	v_rcp_f32_e32 v3, v1
	s_nop 0
	v_fma_f32 v4, -v1, v3, 1.0
	v_fmac_f32_e32 v3, v4, v3
	v_div_scale_f32 v4, vcc, v8, v5, v8
	v_mul_f32_e32 v10, v4, v3
	v_fma_f32 v11, -v1, v10, v4
	v_fmac_f32_e32 v10, v11, v3
	v_fma_f32 v1, -v1, v10, v4
	v_div_fmas_f32 v1, v1, v3, v10
	v_div_fixup_f32 v8, v1, v5, v8
	v_mov_b32_e32 v3, 0
	global_store_dwordx2 v[6:7], v[8:9], off offset:512
.LBB30_445:                             ;   in Loop: Header=BB30_16 Depth=1
	s_or_b64 exec, exec, s[46:47]
	s_movk_i32 s41, 0x47
	v_cmp_gt_i32_e32 vcc, s41, v3
	s_mov_b64 s[46:47], -1
	s_and_saveexec_b64 s[48:49], vcc
; %bb.446:                              ;   in Loop: Header=BB30_16 Depth=1
	v_cmp_eq_u32_e32 vcc, 0, v3
	s_orn2_b64 s[46:47], vcc, exec
; %bb.447:                              ;   in Loop: Header=BB30_16 Depth=1
	s_or_b64 exec, exec, s[48:49]
	s_and_b64 exec, exec, s[46:47]
	s_cbranch_execz .LBB30_14
; %bb.448:                              ;   in Loop: Header=BB30_16 Depth=1
	v_accvgpr_read_b32 v1, a45
	v_add_u32_e32 v1, v1, v72
	v_cmp_gt_i32_e32 vcc, s96, v1
	v_mov_b32_e32 v3, 0x47
	s_and_saveexec_b64 s[46:47], vcc
	s_cbranch_execz .LBB30_450
; %bb.449:                              ;   in Loop: Header=BB30_16 Depth=1
	v_accvgpr_read_b32 v3, a140
	v_add_u32_e32 v3, 0, v3
	ds_read2_b32 v[4:5], v3 offset0:128 offset1:129
	ds_read_b32 v8, v3 offset:8960
	v_accvgpr_read_b32 v3, a139
	ds_read2st64_b32 v[10:11], v3 offset1:1
	ds_read_b32 v3, v3 offset:8448
	v_readlane_b32 s41, v254, 59
	v_accvgpr_read_b32 v12, a198
	v_accvgpr_read_b32 v13, a199
	v_mad_u64_u32 v[6:7], s[48:49], s41, v1, v[158:159]
	v_ashrrev_i32_e32 v7, 31, v6
	v_lshl_add_u64 v[6:7], v[6:7], 3, v[12:13]
	s_waitcnt lgkmcnt(1)
	v_cvt_f32_f16_sdwa v13, v10 dst_sel:DWORD dst_unused:UNUSED_PAD src0_sel:WORD_1
	v_cvt_f32_f16_e32 v12, v10
	s_waitcnt lgkmcnt(0)
	v_cvt_f32_f16_sdwa v15, v3 dst_sel:DWORD dst_unused:UNUSED_PAD src0_sel:WORD_1
	v_cvt_f32_f16_e32 v14, v3
	v_pk_fma_f32 v[12:13], v[4:5], v[12:13], 0 op_sel_hi:[0,1,0]
	v_pk_fma_f32 v[12:13], v[8:9], v[14:15], v[12:13] op_sel_hi:[0,1,1]
	v_div_scale_f32 v1, s[48:49], v5, v5, v13
	v_rcp_f32_e32 v3, v1
	s_nop 0
	v_fma_f32 v9, -v1, v3, 1.0
	v_fmac_f32_e32 v3, v9, v3
	v_div_scale_f32 v9, vcc, v13, v5, v13
	v_mul_f32_e32 v10, v9, v3
	v_fma_f32 v14, -v1, v10, v9
	v_fmac_f32_e32 v10, v14, v3
	v_fma_f32 v1, -v1, v10, v9
	v_div_fmas_f32 v1, v1, v3, v10
	v_div_fixup_f32 v13, v1, v5, v13
	v_div_scale_f32 v1, s[48:49], v5, v5, v12
	v_rcp_f32_e32 v3, v1
	s_nop 0
	v_fma_f32 v9, -v1, v3, 1.0
	v_fmac_f32_e32 v3, v9, v3
	v_div_scale_f32 v9, vcc, v12, v5, v12
	v_mul_f32_e32 v10, v9, v3
	v_fma_f32 v14, -v1, v10, v9
	v_fmac_f32_e32 v10, v14, v3
	v_fma_f32 v1, -v1, v10, v9
	v_div_fmas_f32 v1, v1, v3, v10
	v_div_fixup_f32 v12, v1, v5, v12
	v_accvgpr_read_b32 v1, a141
	ds_read_b32 v1, v1 offset:8448
	global_store_dwordx2 v[6:7], v[12:13], off
	v_cvt_f32_f16_sdwa v13, v11 dst_sel:DWORD dst_unused:UNUSED_PAD src0_sel:WORD_1
	v_cvt_f32_f16_e32 v12, v11
	v_pk_fma_f32 v[10:11], v[4:5], v[12:13], 0 op_sel_hi:[0,1,0]
	s_waitcnt lgkmcnt(0)
	v_cvt_f32_f16_sdwa v13, v1 dst_sel:DWORD dst_unused:UNUSED_PAD src0_sel:WORD_1
	v_cvt_f32_f16_e32 v12, v1
	v_pk_fma_f32 v[8:9], v[8:9], v[12:13], v[10:11] op_sel_hi:[0,1,1]
	v_div_scale_f32 v1, s[48:49], v5, v5, v9
	v_rcp_f32_e32 v3, v1
	s_nop 0
	v_fma_f32 v4, -v1, v3, 1.0
	v_fmac_f32_e32 v3, v4, v3
	v_div_scale_f32 v4, vcc, v9, v5, v9
	v_mul_f32_e32 v10, v4, v3
	v_fma_f32 v11, -v1, v10, v4
	v_fmac_f32_e32 v10, v11, v3
	v_fma_f32 v1, -v1, v10, v4
	v_div_fmas_f32 v1, v1, v3, v10
	v_div_fixup_f32 v9, v1, v5, v9
	v_div_scale_f32 v1, s[48:49], v5, v5, v8
	v_rcp_f32_e32 v3, v1
	s_nop 0
	v_fma_f32 v4, -v1, v3, 1.0
	v_fmac_f32_e32 v3, v4, v3
	v_div_scale_f32 v4, vcc, v8, v5, v8
	v_mul_f32_e32 v10, v4, v3
	v_fma_f32 v11, -v1, v10, v4
	v_fmac_f32_e32 v10, v11, v3
	v_fma_f32 v1, -v1, v10, v4
	v_div_fmas_f32 v1, v1, v3, v10
	v_div_fixup_f32 v8, v1, v5, v8
	v_mov_b32_e32 v3, 0
	global_store_dwordx2 v[6:7], v[8:9], off offset:512
.LBB30_450:                             ;   in Loop: Header=BB30_16 Depth=1
	s_or_b64 exec, exec, s[46:47]
	s_movk_i32 s41, 0x47
	v_cmp_gt_i32_e32 vcc, s41, v3
	s_mov_b64 s[46:47], -1
	s_and_saveexec_b64 s[48:49], vcc
; %bb.451:                              ;   in Loop: Header=BB30_16 Depth=1
	v_cmp_eq_u32_e32 vcc, 0, v3
	s_orn2_b64 s[46:47], vcc, exec
; %bb.452:                              ;   in Loop: Header=BB30_16 Depth=1
	s_or_b64 exec, exec, s[48:49]
	s_and_b64 exec, exec, s[46:47]
	s_cbranch_execz .LBB30_14
; %bb.453:                              ;   in Loop: Header=BB30_16 Depth=1
	v_accvgpr_read_b32 v1, a46
	v_add_u32_e32 v1, v1, v72
	v_cmp_gt_i32_e32 vcc, s96, v1
	s_and_b64 exec, exec, vcc
	s_cbranch_execz .LBB30_14
; %bb.454:                              ;   in Loop: Header=BB30_16 Depth=1
	v_accvgpr_read_b32 v3, a142
	v_add_u32_e32 v3, 0, v3
	ds_read2_b32 v[4:5], v3 offset0:128 offset1:129
	ds_read_b32 v8, v3 offset:8960
	v_accvgpr_read_b32 v3, a143
	ds_read2st64_b32 v[10:11], v3 offset1:1
	ds_read_b32 v3, v3 offset:8448
	v_readlane_b32 s41, v254, 59
	v_accvgpr_read_b32 v12, a198
	v_accvgpr_read_b32 v13, a199
	v_mad_u64_u32 v[6:7], s[46:47], s41, v1, v[158:159]
	v_ashrrev_i32_e32 v7, 31, v6
	v_lshl_add_u64 v[6:7], v[6:7], 3, v[12:13]
	s_waitcnt lgkmcnt(1)
	v_cvt_f32_f16_sdwa v13, v10 dst_sel:DWORD dst_unused:UNUSED_PAD src0_sel:WORD_1
	v_cvt_f32_f16_e32 v12, v10
	s_waitcnt lgkmcnt(0)
	v_cvt_f32_f16_sdwa v15, v3 dst_sel:DWORD dst_unused:UNUSED_PAD src0_sel:WORD_1
	v_cvt_f32_f16_e32 v14, v3
	v_pk_fma_f32 v[12:13], v[4:5], v[12:13], 0 op_sel_hi:[0,1,0]
	v_pk_fma_f32 v[12:13], v[8:9], v[14:15], v[12:13] op_sel_hi:[0,1,1]
	v_div_scale_f32 v1, s[46:47], v5, v5, v13
	v_rcp_f32_e32 v3, v1
	s_nop 0
	v_fma_f32 v9, -v1, v3, 1.0
	v_fmac_f32_e32 v3, v9, v3
	v_div_scale_f32 v9, vcc, v13, v5, v13
	v_mul_f32_e32 v10, v9, v3
	v_fma_f32 v14, -v1, v10, v9
	v_fmac_f32_e32 v10, v14, v3
	v_fma_f32 v1, -v1, v10, v9
	v_div_fmas_f32 v1, v1, v3, v10
	v_div_fixup_f32 v13, v1, v5, v13
	v_div_scale_f32 v1, s[46:47], v5, v5, v12
	v_rcp_f32_e32 v3, v1
	s_nop 0
	v_fma_f32 v9, -v1, v3, 1.0
	v_fmac_f32_e32 v3, v9, v3
	v_div_scale_f32 v9, vcc, v12, v5, v12
	v_mul_f32_e32 v10, v9, v3
	v_fma_f32 v14, -v1, v10, v9
	v_fmac_f32_e32 v10, v14, v3
	v_fma_f32 v1, -v1, v10, v9
	v_div_fmas_f32 v1, v1, v3, v10
	v_div_fixup_f32 v12, v1, v5, v12
	v_accvgpr_read_b32 v1, a144
	ds_read_b32 v1, v1 offset:8448
	global_store_dwordx2 v[6:7], v[12:13], off
	v_cvt_f32_f16_sdwa v13, v11 dst_sel:DWORD dst_unused:UNUSED_PAD src0_sel:WORD_1
	v_cvt_f32_f16_e32 v12, v11
	v_pk_fma_f32 v[10:11], v[4:5], v[12:13], 0 op_sel_hi:[0,1,0]
	s_waitcnt lgkmcnt(0)
	v_cvt_f32_f16_sdwa v13, v1 dst_sel:DWORD dst_unused:UNUSED_PAD src0_sel:WORD_1
	v_cvt_f32_f16_e32 v12, v1
	v_pk_fma_f32 v[8:9], v[8:9], v[12:13], v[10:11] op_sel_hi:[0,1,1]
	v_div_scale_f32 v1, s[46:47], v5, v5, v9
	v_rcp_f32_e32 v3, v1
	s_nop 0
	v_fma_f32 v4, -v1, v3, 1.0
	v_fmac_f32_e32 v3, v4, v3
	v_div_scale_f32 v4, vcc, v9, v5, v9
	v_mul_f32_e32 v10, v4, v3
	v_fma_f32 v11, -v1, v10, v4
	v_fmac_f32_e32 v10, v11, v3
	v_fma_f32 v1, -v1, v10, v4
	v_div_fmas_f32 v1, v1, v3, v10
	v_div_fixup_f32 v9, v1, v5, v9
	v_div_scale_f32 v1, s[46:47], v5, v5, v8
	v_rcp_f32_e32 v3, v1
	s_nop 0
	v_fma_f32 v4, -v1, v3, 1.0
	v_fmac_f32_e32 v3, v4, v3
	v_div_scale_f32 v4, vcc, v8, v5, v8
	v_mul_f32_e32 v10, v4, v3
	v_fma_f32 v11, -v1, v10, v4
	v_fmac_f32_e32 v10, v11, v3
	v_fma_f32 v1, -v1, v10, v4
	v_div_fmas_f32 v1, v1, v3, v10
	v_div_fixup_f32 v8, v1, v5, v8
	global_store_dwordx2 v[6:7], v[8:9], off offset:512
	s_branch .LBB30_14
.LBB30_455:                             ;   in Loop: Header=BB30_16 Depth=1
                                        ; implicit-def: $vgpr8_vgpr9_vgpr10_vgpr11
                                        ; implicit-def: $vgpr4_vgpr5_vgpr6_vgpr7
	s_branch .LBB30_148
.LBB30_456:                             ;   in Loop: Header=BB30_16 Depth=1
                                        ; implicit-def: $vgpr8_vgpr9_vgpr10_vgpr11
                                        ; implicit-def: $vgpr4_vgpr5_vgpr6_vgpr7
	s_branch .LBB30_364
.LBB30_457:
	v_readlane_b32 s16, v254, 23
	v_readlane_b32 s48, v254, 53
	;; [unrolled: 1-line block ×17, first 2 shown]
	v_accvgpr_read_b32 v137, a9
	v_accvgpr_read_b32 v138, a10
	;; [unrolled: 1-line block ×4, first 2 shown]
	v_readlane_b32 s24, v254, 31
	v_readlane_b32 s25, v254, 32
	;; [unrolled: 1-line block ×7, first 2 shown]
	s_andn2_b64 vcc, exec, s[44:45]
	s_cbranch_vccnz .LBB30_12
.LBB30_458:
	v_readlane_b32 s9, v254, 7
	s_abs_i32 s0, s9
	v_cvt_f32_u32_e32 v0, s0
	s_sub_i32 s5, 0, s0
	s_abs_i32 s4, s42
	s_xor_b32 s1, s42, s9
	v_rcp_iflag_f32_e32 v0, v0
	s_ashr_i32 s1, s1, 31
	v_readlane_b32 s10, v254, 6
	v_readlane_b32 s11, v254, 3
	v_mul_f32_e32 v0, 0x4f7ffffe, v0
	v_cvt_u32_f32_e32 v0, v0
	s_nop 0
	v_readfirstlane_b32 s6, v0
	s_mul_i32 s5, s5, s6
	s_mul_hi_u32 s5, s6, s5
	s_add_i32 s6, s6, s5
	s_mul_hi_u32 s5, s4, s6
	s_mul_i32 s6, s5, s0
	s_sub_i32 s4, s4, s6
	s_add_i32 s7, s5, 1
	s_sub_i32 s6, s4, s0
	s_cmp_ge_u32 s4, s0
	s_cselect_b32 s5, s7, s5
	s_cselect_b32 s4, s6, s4
	s_add_i32 s6, s5, 1
	s_cmp_ge_u32 s4, s0
	s_cselect_b32 s0, s6, s5
	s_abs_i32 s4, s10
	v_cvt_f32_u32_e32 v0, s4
	s_xor_b32 s0, s0, s1
	s_sub_i32 s5, 0, s4
	s_sub_i32 s8, s0, s1
	v_rcp_iflag_f32_e32 v0, v0
	s_mul_i32 s0, s8, s9
	s_sub_i32 s0, s42, s0
	s_abs_i32 s6, s0
	v_mul_f32_e32 v0, 0x4f7ffffe, v0
	v_cvt_u32_f32_e32 v0, v0
	s_xor_b32 s1, s0, s10
	s_ashr_i32 s1, s1, 31
	s_mov_b64 s[42:43], 0
	v_readfirstlane_b32 s7, v0
	s_mul_i32 s5, s5, s7
	s_mul_hi_u32 s5, s7, s5
	s_add_i32 s7, s7, s5
	s_mul_hi_u32 s5, s6, s7
	s_mul_i32 s7, s5, s4
	s_sub_i32 s6, s6, s7
	s_add_i32 s9, s5, 1
	s_sub_i32 s7, s6, s4
	s_cmp_ge_u32 s6, s4
	s_cselect_b32 s5, s9, s5
	s_cselect_b32 s6, s7, s6
	s_add_i32 s7, s5, 1
	s_cmp_ge_u32 s6, s4
	s_cselect_b32 s4, s7, s5
	s_abs_i32 s5, s11
	v_cvt_f32_u32_e32 v0, s5
	s_xor_b32 s4, s4, s1
	s_sub_i32 s6, 0, s5
	s_sub_i32 s9, s4, s1
	v_rcp_iflag_f32_e32 v0, v0
	s_mul_i32 s1, s9, s10
	s_sub_i32 s1, s0, s1
	s_abs_i32 s4, s1
	v_mul_f32_e32 v0, 0x4f7ffffe, v0
	v_cvt_u32_f32_e32 v0, v0
	s_xor_b32 s0, s1, s11
	s_ashr_i32 s0, s0, 31
	v_readfirstlane_b32 s7, v0
	s_mul_i32 s6, s6, s7
	s_mul_hi_u32 s6, s7, s6
	s_add_i32 s7, s7, s6
	s_mul_hi_u32 s6, s4, s7
	s_mul_i32 s7, s6, s5
	s_sub_i32 s4, s4, s7
	s_add_i32 s10, s6, 1
	s_sub_i32 s7, s4, s5
	s_cmp_ge_u32 s4, s5
	s_cselect_b32 s6, s10, s6
	s_cselect_b32 s4, s7, s4
	s_add_i32 s7, s6, 1
	s_cmp_ge_u32 s4, s5
	s_cselect_b32 s4, s7, s6
	s_xor_b32 s4, s4, s0
	s_sub_i32 s0, s4, s0
	s_mul_i32 s4, s0, s11
	s_sub_i32 s1, s1, s4
	s_abs_i32 s12, s1
	s_ashr_i32 s10, s8, 31
	s_mul_hi_u32 s11, s12, s90
	s_cmp_eq_u64 s[22:23], 0
	s_cbranch_scc1 .LBB30_460
; %bb.459:
	s_abs_i32 s4, s14
	v_cvt_f32_u32_e32 v0, s4
	s_sub_i32 s6, 0, s4
	s_abs_i32 s5, s8
	v_readlane_b32 s14, v254, 14
	v_rcp_iflag_f32_e32 v0, v0
	v_readlane_b32 s15, v254, 15
	v_mul_f32_e32 v0, 0x4f7ffffe, v0
	v_cvt_u32_f32_e32 v0, v0
	s_nop 0
	v_readfirstlane_b32 s7, v0
	s_mul_i32 s6, s6, s7
	s_mul_hi_u32 s6, s7, s6
	s_add_i32 s7, s7, s6
	s_mul_hi_u32 s6, s5, s7
	s_mul_i32 s6, s6, s4
	s_sub_i32 s5, s5, s6
	s_sub_i32 s6, s5, s4
	s_cmp_ge_u32 s5, s4
	s_cselect_b32 s5, s6, s5
	s_sub_i32 s6, s5, s4
	s_cmp_ge_u32 s5, s4
	s_cselect_b32 s4, s6, s5
	s_xor_b32 s4, s4, s10
	s_sub_i32 s4, s4, s10
	s_ashr_i32 s5, s4, 31
	s_mul_i32 s6, s4, s15
	s_mul_hi_u32 s7, s4, s14
	s_add_i32 s6, s7, s6
	s_mul_i32 s5, s5, s14
	s_add_i32 s6, s6, s5
	s_mul_i32 s4, s4, s14
	s_add_u32 s42, s22, s4
	s_addc_u32 s43, s23, s6
.LBB30_460:
	s_ashr_i32 s14, s1, 31
	v_readlane_b32 s1, v254, 2
	s_mul_i32 s13, s9, s1
	s_add_i32 s13, s13, s0
	v_cmp_le_f32_e64 s[0:1], s49, 0
	s_and_b64 vcc, exec, s[0:1]
	v_mov_b32_e32 v50, 1.0
	s_cbranch_vccnz .LBB30_462
; %bb.461:
	s_sub_i32 s0, s13, s2
	s_lshl_b32 s0, s0, 1
	s_add_i32 s4, s13, 1
	s_or_b32 s5, s0, 1
	s_cmp_lt_u32 s13, s2
	s_cselect_b64 vcc, -1, 0
	s_and_b64 s[0:1], vcc, exec
	v_mov_b32_e32 v0, s51
	v_mov_b32_e32 v1, s50
	s_cselect_b32 s0, s4, s5
	v_cndmask_b32_e32 v16, v0, v1, vcc
	v_cvt_f32_i32_e32 v0, s0
	v_cmp_neq_f32_e32 vcc, 1.0, v16
	s_mov_b32 s0, 0x3f2aaaab
	s_movk_i32 s2, 0x204
	v_cndmask_b32_e32 v17, 1.0, v0, vcc
	v_cmp_eq_f32_e32 vcc, 0, v17
	s_mov_b32 s5, 0x42b17218
	s_mov_b32 s4, 0x7f800000
	v_cndmask_b32_e64 v18, |v16|, 1.0, vcc
	v_frexp_mant_f32_e32 v0, v18
	v_cmp_gt_f32_e64 s[0:1], s0, v0
	v_cmp_gt_f32_e64 s[6:7], 0, v17
	s_nop 0
	v_cndmask_b32_e64 v1, 1.0, 2.0, s[0:1]
	v_mul_f32_e32 v0, v0, v1
	v_add_f32_e32 v3, 1.0, v0
	v_rcp_f32_e32 v8, v3
	v_add_f32_e32 v1, -1.0, v3
	v_sub_f32_e32 v5, v0, v1
	v_add_f32_e32 v1, -1.0, v0
	v_mul_f32_e32 v9, v1, v8
	v_mul_f32_e32 v2, v3, v9
	v_fma_f32 v4, v9, v3, -v2
	v_fmac_f32_e32 v4, v9, v5
	v_add_f32_e32 v0, v2, v4
	v_sub_f32_e32 v3, v1, v0
	v_pk_add_f32 v[6:7], v[0:1], v[2:3] neg_lo:[0,1] neg_hi:[0,1]
	v_mov_b32_e32 v5, v0
	v_pk_add_f32 v[0:1], v[6:7], v[4:5] neg_lo:[0,1] neg_hi:[0,1]
	v_mov_b32_e32 v4, 0x3e91f4c4
	v_add_f32_e32 v0, v0, v1
	v_add_f32_e32 v0, v3, v0
	v_mul_f32_e32 v1, v8, v0
	v_add_f32_e32 v0, v9, v1
	v_sub_f32_e32 v2, v0, v9
	v_sub_f32_e32 v10, v1, v2
	v_mul_f32_e32 v1, v0, v0
	v_fma_f32 v3, v0, v0, -v1
	v_add_f32_e32 v2, v10, v10
	v_fmac_f32_e32 v3, v0, v2
	v_add_f32_e32 v2, v1, v3
	v_fmac_f32_e32 v4, 0x3e76c4e1, v2
	v_fmaak_f32 v4, v2, v4, 0x3ecccdef
	v_sub_f32_e32 v1, v2, v1
	v_sub_f32_e32 v11, v3, v1
	v_mul_f32_e32 v1, v2, v4
	v_fma_f32 v3, v2, v4, -v1
	v_fmac_f32_e32 v3, v11, v4
	v_add_f32_e32 v4, v1, v3
	v_add_f32_e32 v5, 0x3f2aaaaa, v4
	v_sub_f32_e32 v1, v4, v1
	v_sub_f32_e32 v1, v3, v1
	v_add_f32_e32 v3, 0xbf2aaaaa, v5
	v_add_f32_e32 v1, 0x31739010, v1
	v_sub_f32_e32 v3, v4, v3
	v_pk_mul_f32 v[6:7], v[0:1], v[2:3]
	v_pk_add_f32 v[8:9], v[0:1], v[2:3]
	v_fma_f32 v4, v2, v0, -v6
	v_fmac_f32_e32 v4, v2, v10
	v_mov_b32_e32 v7, v9
	v_fmac_f32_e32 v4, v11, v0
	v_pk_add_f32 v[2:3], v[6:7], v[4:5]
	v_ldexp_f32 v12, v10, 1
	v_sub_f32_e32 v1, v2, v6
	v_sub_f32_e32 v1, v4, v1
	;; [unrolled: 1-line block ×3, first 2 shown]
	v_add_f32_e32 v7, v9, v4
	v_mov_b32_e32 v4, v3
	v_pk_mul_f32 v[4:5], v[2:3], v[4:5]
	v_cvt_f64_f32_e32 v[8:9], v18
	v_frexp_exp_i32_f64_e32 v5, v[8:9]
	v_subbrev_co_u32_e64 v5, s[0:1], 0, v5, s[0:1]
	v_cvt_f32_i32_e32 v5, v5
	v_fma_f32 v6, v2, v3, -v4
	v_fmac_f32_e32 v6, v2, v7
	s_mov_b32 s0, 0x3f317218
	v_mul_f32_e32 v2, 0x3f317218, v5
	v_fmac_f32_e32 v6, v1, v3
	v_fma_f32 v1, v5, s0, -v2
	v_fmamk_f32 v8, v5, 0xb102e308, v1
	v_ldexp_f32 v9, v0, 1
	v_add_f32_e32 v3, v4, v6
	v_pk_add_f32 v[0:1], v[2:3], v[8:9]
	v_mov_b32_e32 v10, v3
	v_mov_b32_e32 v11, v1
	;; [unrolled: 1-line block ×3, first 2 shown]
	v_pk_add_f32 v[4:5], v[10:11], v[4:5] neg_lo:[0,1] neg_hi:[0,1]
	v_mov_b32_e32 v7, v3
	v_pk_add_f32 v[4:5], v[6:7], v[4:5] neg_lo:[0,1] neg_hi:[0,1]
	v_mov_b32_e32 v9, v0
	v_add_f32_e32 v3, v12, v4
	v_add_f32_e32 v3, v3, v5
	v_pk_add_f32 v[4:5], v[0:1], v[2:3] neg_lo:[0,1] neg_hi:[0,1]
	v_pk_add_f32 v[6:7], v[0:1], v[2:3]
	v_mov_b32_e32 v10, v4
	v_mov_b32_e32 v11, v7
	v_pk_add_f32 v[10:11], v[8:9], v[10:11]
	v_pk_add_f32 v[4:5], v[8:9], v[4:5] neg_lo:[0,1] neg_hi:[0,1]
	v_mov_b32_e32 v2, v11
	v_pk_add_f32 v[12:13], v[2:3], v[0:1] neg_lo:[0,1] neg_hi:[0,1]
	v_mov_b32_e32 v10, v7
	v_mov_b32_e32 v13, v12
	;; [unrolled: 1-line block ×4, first 2 shown]
	v_pk_add_f32 v[14:15], v[6:7], v[12:13] neg_lo:[0,1] neg_hi:[0,1]
	v_pk_add_f32 v[0:1], v[10:11], v[0:1] neg_lo:[0,1] neg_hi:[0,1]
	v_mov_b32_e32 v8, v3
	v_pk_add_f32 v[0:1], v[8:9], v[0:1] neg_lo:[0,1] neg_hi:[0,1]
	v_mov_b32_e32 v14, v4
	v_pk_add_f32 v[6:7], v[14:15], v[0:1]
	v_mov_b32_e32 v5, v11
	v_mov_b32_e32 v8, v7
	v_pk_add_f32 v[8:9], v[6:7], v[8:9]
	s_nop 0
	v_pk_add_f32 v[2:3], v[2:3], v[8:9]
	v_mov_b32_e32 v1, v8
	v_mov_b32_e32 v7, v2
	v_pk_add_f32 v[10:11], v[6:7], v[4:5] neg_lo:[0,1] neg_hi:[0,1]
	s_nop 0
	v_sub_f32_e32 v3, v6, v10
	v_pk_add_f32 v[0:1], v[0:1], v[10:11] neg_lo:[0,1] neg_hi:[0,1]
	v_sub_f32_e32 v3, v4, v3
	v_add_f32_e32 v0, v0, v3
	v_add_f32_e32 v0, v0, v1
	v_add_f32_e32 v1, v2, v0
	v_sub_f32_e32 v2, v1, v2
	v_sub_f32_e32 v0, v0, v2
	v_mul_f32_e32 v2, v17, v1
	v_fma_f32 v1, v17, v1, -v2
	v_fmac_f32_e32 v1, v17, v0
	v_add_f32_e32 v0, v2, v1
	v_cmp_class_f32_e64 s[0:1], v2, s2
	v_sub_f32_e32 v3, v0, v2
	v_sub_f32_e32 v1, v1, v3
	v_cndmask_b32_e64 v0, v0, v2, s[0:1]
	v_mov_b32_e32 v2, 0x37000000
	v_cmp_eq_f32_e64 s[0:1], s5, v0
	s_nop 1
	v_cndmask_b32_e64 v2, 0, v2, s[0:1]
	v_sub_f32_e32 v3, v0, v2
	s_mov_b32 s0, 0x3fb8aa3b
	v_mul_f32_e32 v4, 0x3fb8aa3b, v3
	v_fma_f32 v5, v3, s0, -v4
	v_rndne_f32_e32 v6, v4
	v_fmamk_f32 v5, v3, 0x32a5705f, v5
	v_sub_f32_e32 v4, v4, v6
	v_add_f32_e32 v4, v4, v5
	v_exp_f32_e32 v4, v4
	v_cvt_i32_f32_e32 v5, v6
	v_cmp_neq_f32_e64 s[0:1], |v0|, s4
	s_nop 1
	v_cndmask_b32_e64 v0, 0, v1, s[0:1]
	s_mov_b32 s0, 0xc2ce8ed0
	v_ldexp_f32 v1, v4, v5
	v_cmp_ngt_f32_e64 s[0:1], s0, v3
	v_add_f32_e32 v0, v2, v0
	v_mov_b32_e32 v2, 0x7f800000
	v_cndmask_b32_e64 v1, 0, v1, s[0:1]
	v_cmp_nlt_f32_e64 s[0:1], s5, v3
	v_trunc_f32_e32 v3, v17
	v_mov_b32_e32 v4, 0x7fc00000
	v_cndmask_b32_e64 v1, v2, v1, s[0:1]
	v_fma_f32 v0, v1, v0, v1
	v_cmp_class_f32_e64 s[0:1], v1, s2
	s_brev_b32 s2, -2
	s_nop 0
	v_cndmask_b32_e64 v0, v0, v1, s[0:1]
	v_cndmask_b32_e64 v1, v16, 1.0, vcc
	v_cmp_eq_f32_e32 vcc, v3, v17
	v_mul_f32_e32 v3, 0.5, v17
	v_trunc_f32_e32 v5, v3
	v_cmp_neq_f32_e64 s[0:1], v5, v3
	s_and_b64 s[0:1], vcc, s[0:1]
	s_nop 0
	v_cndmask_b32_e64 v3, 1.0, v1, s[0:1]
	v_bfi_b32 v0, s2, v0, v3
	v_cndmask_b32_e32 v3, v4, v0, vcc
	v_cmp_gt_f32_e32 vcc, 0, v1
	s_nop 1
	v_cndmask_b32_e32 v0, v0, v3, vcc
	v_cmp_eq_f32_e32 vcc, s4, v18
	v_cmp_eq_f32_e64 s[4:5], 0, v1
	s_xor_b64 s[6:7], s[6:7], s[4:5]
	v_cndmask_b32_e64 v2, v2, 0, s[6:7]
	v_cndmask_b32_e64 v3, 0, v1, s[0:1]
	v_bfi_b32 v2, s2, v2, v3
	s_or_b64 vcc, vcc, s[4:5]
	v_cndmask_b32_e32 v0, v0, v2, vcc
	v_cmp_o_f32_e32 vcc, v1, v1
	s_nop 1
	v_cndmask_b32_e32 v50, v4, v0, vcc
.LBB30_462:
	s_mul_i32 s1, s11, s92
	v_readlane_b32 s0, v254, 22
	s_sub_i32 s1, s12, s1
	s_xor_b32 s0, s14, s0
	s_add_i32 s2, s11, 1
	s_sub_i32 s4, s1, s92
	s_cmp_ge_u32 s1, s92
	s_cselect_b32 s2, s2, s11
	s_cselect_b32 s1, s4, s1
	s_add_i32 s4, s2, 1
	s_cmp_ge_u32 s1, s92
	s_cselect_b32 s1, s4, s2
	s_xor_b32 s1, s1, s0
	s_sub_i32 s2, s1, s0
	s_cmp_eq_u64 s[26:27], 0
	s_cbranch_scc1 .LBB30_464
; %bb.463:
	v_readlane_b32 s0, v254, 0
	s_mul_i32 s0, s8, s0
	s_add_i32 s0, s2, s0
	s_ashr_i32 s1, s0, 31
	s_lshl_b64 s[0:1], s[0:1], 2
	s_add_u32 s0, s26, s0
	s_addc_u32 s1, s27, s1
	v_mov_b32_e32 v0, 0
	global_load_dword v0, v0, s[0:1]
	s_waitcnt vmcnt(0)
	v_ashrrev_i32_e32 v1, 31, v0
	v_lshrrev_b32_e32 v1, 26, v1
	v_add_u32_e32 v0, v0, v1
	v_ashrrev_i32_e32 v0, 6, v0
	v_min_i32_e32 v77, v77, v0
.LBB30_464:
	v_readlane_b32 s4, v254, 8
	v_readlane_b32 s5, v254, 9
	s_mul_i32 s0, s8, s5
	s_ashr_i32 s1, s0, 31
	s_add_u32 s0, s16, s0
	s_mul_i32 s13, s13, s4
	s_addc_u32 s1, s17, s1
	s_ashr_i32 s4, s13, 31
	s_add_u32 s0, s0, s13
	s_addc_u32 s1, s1, s4
	s_lshl_b32 s2, s2, 5
	v_add_u32_e32 v36, s2, v194
	v_and_b32_e32 v64, 0x3ff, v19
	v_cmp_le_i32_e32 vcc, s96, v36
	s_and_saveexec_b64 s[4:5], vcc
	s_xor_b64 s[4:5], exec, s[4:5]
	s_cbranch_execz .LBB30_466
; %bb.465:
	s_movk_i32 s6, 0x84
	v_mad_u32_u24 v0, v194, s6, v64
	v_lshl_add_u32 v0, v0, 2, 0
	v_mov_b32_e32 v1, 0
	ds_write2st64_b32 v0, v1, v1 offset1:1
.LBB30_466:
	s_andn2_saveexec_b64 s[4:5], s[4:5]
	s_cbranch_execz .LBB30_468
; %bb.467:
	v_mad_u64_u32 v[0:1], s[6:7], v36, s93, v[64:65]
	v_ashrrev_i32_e32 v1, 31, v0
	v_lshl_add_u64 v[0:1], v[0:1], 3, s[0:1]
	global_load_dwordx2 v[2:3], v[0:1], off
	global_load_dwordx2 v[4:5], v[0:1], off offset:512
	s_movk_i32 s6, 0x84
	s_waitcnt vmcnt(1)
	v_cvt_f16_f32_e32 v0, v2
	v_cvt_f16_f32_e32 v1, v3
	s_waitcnt vmcnt(0)
	v_cvt_f16_f32_e32 v2, v4
	v_cvt_f16_f32_e32 v3, v5
	v_mad_u32_u24 v4, v194, s6, v64
	v_pack_b32_f16 v0, v0, v1
	v_lshl_add_u32 v4, v4, 2, 0
	v_pack_b32_f16 v1, v2, v3
	v_pk_mul_f16 v0, v196, v0
	v_pk_mul_f16 v1, v196, v1
	ds_write2st64_b32 v4, v0, v1 offset1:1
.LBB30_468:
	s_or_b64 exec, exec, s[4:5]
	v_add_u32_e32 v37, s2, v154
	v_cmp_le_i32_e32 vcc, s96, v37
	s_and_saveexec_b64 s[4:5], vcc
	s_xor_b64 s[4:5], exec, s[4:5]
	s_cbranch_execz .LBB30_470
; %bb.469:
	s_movk_i32 s6, 0x84
	v_mad_u32_u24 v0, v154, s6, v64
	v_lshl_add_u32 v0, v0, 2, 0
	v_mov_b32_e32 v1, 0
	ds_write2st64_b32 v0, v1, v1 offset1:1
                                        ; implicit-def: $vgpr154
.LBB30_470:
	s_andn2_saveexec_b64 s[4:5], s[4:5]
	s_cbranch_execz .LBB30_472
; %bb.471:
	v_mad_u64_u32 v[0:1], s[6:7], v37, s93, v[64:65]
	v_ashrrev_i32_e32 v1, 31, v0
	v_lshl_add_u64 v[0:1], v[0:1], 3, s[0:1]
	global_load_dwordx2 v[2:3], v[0:1], off
	global_load_dwordx2 v[4:5], v[0:1], off offset:512
	s_movk_i32 s6, 0x84
	s_waitcnt vmcnt(1)
	v_cvt_f16_f32_e32 v0, v2
	v_cvt_f16_f32_e32 v1, v3
	s_waitcnt vmcnt(0)
	v_cvt_f16_f32_e32 v2, v4
	v_cvt_f16_f32_e32 v3, v5
	v_mad_u32_u24 v4, v154, s6, v64
	v_pack_b32_f16 v0, v0, v1
	v_lshl_add_u32 v4, v4, 2, 0
	v_pack_b32_f16 v1, v2, v3
	v_pk_mul_f16 v0, v196, v0
	v_pk_mul_f16 v1, v196, v1
	ds_write2st64_b32 v4, v0, v1 offset1:1
.LBB30_472:
	s_or_b64 exec, exec, s[4:5]
	v_add_u32_e32 v38, s2, v153
	v_cmp_le_i32_e32 vcc, s96, v38
	s_and_saveexec_b64 s[4:5], vcc
	s_xor_b64 s[4:5], exec, s[4:5]
	s_cbranch_execz .LBB30_474
; %bb.473:
	s_movk_i32 s6, 0x84
	v_mad_u32_u24 v0, v153, s6, v64
	v_lshl_add_u32 v0, v0, 2, 0
	v_mov_b32_e32 v1, 0
	ds_write2st64_b32 v0, v1, v1 offset1:1
                                        ; implicit-def: $vgpr153
.LBB30_474:
	s_andn2_saveexec_b64 s[4:5], s[4:5]
	s_cbranch_execz .LBB30_476
; %bb.475:
	v_mad_u64_u32 v[0:1], s[6:7], v38, s93, v[64:65]
	v_ashrrev_i32_e32 v1, 31, v0
	v_lshl_add_u64 v[0:1], v[0:1], 3, s[0:1]
	global_load_dwordx2 v[2:3], v[0:1], off
	global_load_dwordx2 v[4:5], v[0:1], off offset:512
	s_movk_i32 s6, 0x84
	s_waitcnt vmcnt(1)
	v_cvt_f16_f32_e32 v0, v2
	v_cvt_f16_f32_e32 v1, v3
	s_waitcnt vmcnt(0)
	v_cvt_f16_f32_e32 v2, v4
	v_cvt_f16_f32_e32 v3, v5
	v_mad_u32_u24 v4, v153, s6, v64
	v_pack_b32_f16 v0, v0, v1
	v_lshl_add_u32 v4, v4, 2, 0
	v_pack_b32_f16 v1, v2, v3
	v_pk_mul_f16 v0, v196, v0
	v_pk_mul_f16 v1, v196, v1
	ds_write2st64_b32 v4, v0, v1 offset1:1
.LBB30_476:
	s_or_b64 exec, exec, s[4:5]
	v_add_u32_e32 v39, s2, v152
	v_cmp_le_i32_e32 vcc, s96, v39
	s_and_saveexec_b64 s[4:5], vcc
	s_xor_b64 s[4:5], exec, s[4:5]
	s_cbranch_execz .LBB30_478
; %bb.477:
	s_movk_i32 s6, 0x84
	v_mad_u32_u24 v0, v152, s6, v64
	v_lshl_add_u32 v0, v0, 2, 0
	v_mov_b32_e32 v1, 0
	ds_write2st64_b32 v0, v1, v1 offset1:1
                                        ; implicit-def: $vgpr152
.LBB30_478:
	s_andn2_saveexec_b64 s[4:5], s[4:5]
	s_cbranch_execz .LBB30_480
; %bb.479:
	v_mad_u64_u32 v[0:1], s[6:7], v39, s93, v[64:65]
	v_ashrrev_i32_e32 v1, 31, v0
	v_lshl_add_u64 v[0:1], v[0:1], 3, s[0:1]
	global_load_dwordx2 v[2:3], v[0:1], off
	global_load_dwordx2 v[4:5], v[0:1], off offset:512
	s_movk_i32 s6, 0x84
	s_waitcnt vmcnt(1)
	v_cvt_f16_f32_e32 v0, v2
	v_cvt_f16_f32_e32 v1, v3
	s_waitcnt vmcnt(0)
	v_cvt_f16_f32_e32 v2, v4
	v_cvt_f16_f32_e32 v3, v5
	v_mad_u32_u24 v4, v152, s6, v64
	v_pack_b32_f16 v0, v0, v1
	v_lshl_add_u32 v4, v4, 2, 0
	v_pack_b32_f16 v1, v2, v3
	v_pk_mul_f16 v0, v196, v0
	v_pk_mul_f16 v1, v196, v1
	ds_write2st64_b32 v4, v0, v1 offset1:1
.LBB30_480:
	s_or_b64 exec, exec, s[4:5]
	v_add_u32_e32 v41, s2, v201
	v_cmp_le_i32_e32 vcc, s96, v41
	s_and_saveexec_b64 s[4:5], vcc
	s_xor_b64 s[4:5], exec, s[4:5]
	s_cbranch_execz .LBB30_482
; %bb.481:
	s_movk_i32 s6, 0x84
	v_mad_u32_u24 v0, v201, s6, v64
	v_lshl_add_u32 v0, v0, 2, 0
	v_mov_b32_e32 v1, 0
	ds_write2st64_b32 v0, v1, v1 offset1:1
                                        ; implicit-def: $vgpr201
.LBB30_482:
	s_andn2_saveexec_b64 s[4:5], s[4:5]
	s_cbranch_execz .LBB30_484
; %bb.483:
	v_mad_u64_u32 v[0:1], s[6:7], v41, s93, v[64:65]
	v_ashrrev_i32_e32 v1, 31, v0
	v_lshl_add_u64 v[0:1], v[0:1], 3, s[0:1]
	global_load_dwordx2 v[2:3], v[0:1], off
	global_load_dwordx2 v[4:5], v[0:1], off offset:512
	s_movk_i32 s6, 0x84
	s_waitcnt vmcnt(1)
	v_cvt_f16_f32_e32 v0, v2
	v_cvt_f16_f32_e32 v1, v3
	s_waitcnt vmcnt(0)
	v_cvt_f16_f32_e32 v2, v4
	v_cvt_f16_f32_e32 v3, v5
	v_mad_u32_u24 v4, v201, s6, v64
	v_pack_b32_f16 v0, v0, v1
	v_lshl_add_u32 v4, v4, 2, 0
	v_pack_b32_f16 v1, v2, v3
	v_pk_mul_f16 v0, v196, v0
	v_pk_mul_f16 v1, v196, v1
	ds_write2st64_b32 v4, v0, v1 offset1:1
.LBB30_484:
	s_or_b64 exec, exec, s[4:5]
	v_add_u32_e32 v44, s2, v199
	v_cmp_le_i32_e32 vcc, s96, v44
	s_and_saveexec_b64 s[4:5], vcc
	s_xor_b64 s[4:5], exec, s[4:5]
	s_cbranch_execz .LBB30_486
; %bb.485:
	s_movk_i32 s6, 0x84
	v_mad_u32_u24 v0, v199, s6, v64
	v_lshl_add_u32 v0, v0, 2, 0
	v_mov_b32_e32 v1, 0
	ds_write2st64_b32 v0, v1, v1 offset1:1
                                        ; implicit-def: $vgpr199
.LBB30_486:
	s_andn2_saveexec_b64 s[4:5], s[4:5]
	s_cbranch_execz .LBB30_488
; %bb.487:
	v_mad_u64_u32 v[0:1], s[6:7], v44, s93, v[64:65]
	v_ashrrev_i32_e32 v1, 31, v0
	v_lshl_add_u64 v[0:1], v[0:1], 3, s[0:1]
	global_load_dwordx2 v[2:3], v[0:1], off
	global_load_dwordx2 v[4:5], v[0:1], off offset:512
	s_movk_i32 s6, 0x84
	s_waitcnt vmcnt(1)
	v_cvt_f16_f32_e32 v0, v2
	v_cvt_f16_f32_e32 v1, v3
	s_waitcnt vmcnt(0)
	v_cvt_f16_f32_e32 v2, v4
	v_cvt_f16_f32_e32 v3, v5
	v_mad_u32_u24 v4, v199, s6, v64
	v_pack_b32_f16 v0, v0, v1
	v_lshl_add_u32 v4, v4, 2, 0
	v_pack_b32_f16 v1, v2, v3
	v_pk_mul_f16 v0, v196, v0
	v_pk_mul_f16 v1, v196, v1
	ds_write2st64_b32 v4, v0, v1 offset1:1
.LBB30_488:
	s_or_b64 exec, exec, s[4:5]
	v_add_u32_e32 v45, s2, v198
	v_cmp_le_i32_e32 vcc, s96, v45
	s_and_saveexec_b64 s[4:5], vcc
	s_xor_b64 s[4:5], exec, s[4:5]
	s_cbranch_execz .LBB30_490
; %bb.489:
	s_movk_i32 s6, 0x84
	v_mad_u32_u24 v0, v198, s6, v64
	v_lshl_add_u32 v0, v0, 2, 0
	v_mov_b32_e32 v1, 0
	ds_write2st64_b32 v0, v1, v1 offset1:1
                                        ; implicit-def: $vgpr198
.LBB30_490:
	s_andn2_saveexec_b64 s[4:5], s[4:5]
	s_cbranch_execz .LBB30_492
; %bb.491:
	v_mad_u64_u32 v[0:1], s[6:7], v45, s93, v[64:65]
	v_ashrrev_i32_e32 v1, 31, v0
	v_lshl_add_u64 v[0:1], v[0:1], 3, s[0:1]
	global_load_dwordx2 v[2:3], v[0:1], off
	global_load_dwordx2 v[4:5], v[0:1], off offset:512
	s_movk_i32 s6, 0x84
	s_waitcnt vmcnt(1)
	v_cvt_f16_f32_e32 v0, v2
	v_cvt_f16_f32_e32 v1, v3
	s_waitcnt vmcnt(0)
	v_cvt_f16_f32_e32 v2, v4
	v_cvt_f16_f32_e32 v3, v5
	v_mad_u32_u24 v4, v198, s6, v64
	v_pack_b32_f16 v0, v0, v1
	v_lshl_add_u32 v4, v4, 2, 0
	v_pack_b32_f16 v1, v2, v3
	v_pk_mul_f16 v0, v196, v0
	v_pk_mul_f16 v1, v196, v1
	ds_write2st64_b32 v4, v0, v1 offset1:1
.LBB30_492:
	s_or_b64 exec, exec, s[4:5]
	v_add_u32_e32 v46, s2, v197
	v_cmp_le_i32_e32 vcc, s96, v46
	s_and_saveexec_b64 s[4:5], vcc
	s_xor_b64 s[4:5], exec, s[4:5]
	s_cbranch_execz .LBB30_494
; %bb.493:
	s_movk_i32 s2, 0x84
	v_mad_u32_u24 v0, v197, s2, v64
	v_lshl_add_u32 v0, v0, 2, 0
	v_mov_b32_e32 v1, 0
	ds_write2st64_b32 v0, v1, v1 offset1:1
                                        ; implicit-def: $vgpr196
                                        ; implicit-def: $vgpr197
.LBB30_494:
	s_andn2_saveexec_b64 s[4:5], s[4:5]
	s_cbranch_execz .LBB30_496
; %bb.495:
	v_mad_u64_u32 v[0:1], s[6:7], v46, s93, v[64:65]
	v_ashrrev_i32_e32 v1, 31, v0
	v_lshl_add_u64 v[0:1], v[0:1], 3, s[0:1]
	global_load_dwordx2 v[2:3], v[0:1], off
	global_load_dwordx2 v[4:5], v[0:1], off offset:512
	s_movk_i32 s0, 0x84
	s_waitcnt vmcnt(1)
	v_cvt_f16_f32_e32 v0, v2
	v_cvt_f16_f32_e32 v1, v3
	s_waitcnt vmcnt(0)
	v_cvt_f16_f32_e32 v2, v4
	v_cvt_f16_f32_e32 v3, v5
	v_mad_u32_u24 v4, v197, s0, v64
	v_pack_b32_f16 v0, v0, v1
	v_lshl_add_u32 v4, v4, 2, 0
	v_pack_b32_f16 v1, v2, v3
	v_pk_mul_f16 v0, v196, v0
	v_pk_mul_f16 v1, v196, v1
	ds_write2st64_b32 v4, v0, v1 offset1:1
.LBB30_496:
	s_or_b64 exec, exec, s[4:5]
	v_readlane_b32 s4, v254, 12
	v_readlane_b32 s5, v254, 13
	s_mul_i32 s0, s8, s5
	s_mul_hi_u32 s1, s8, s4
	s_add_i32 s0, s1, s0
	s_mul_i32 s1, s10, s4
	s_add_i32 s0, s0, s1
	s_mul_i32 s1, s8, s4
	v_readlane_b32 s4, v254, 18
	v_readlane_b32 s7, v254, 21
	s_add_u32 s1, s20, s1
	v_readlane_b32 s5, v254, 19
	s_mul_i32 s2, s9, s7
	s_addc_u32 s0, s21, s0
	s_mov_b64 s[12:13], s[4:5]
	s_ashr_i32 s4, s2, 31
	s_add_u32 s33, s1, s2
	s_addc_u32 s41, s0, s4
	s_mul_i32 s0, s8, s13
	s_mul_hi_u32 s1, s8, s12
	s_add_i32 s0, s1, s0
	s_mul_i32 s10, s10, s12
	v_readlane_b32 s4, v254, 16
	s_add_i32 s0, s0, s10
	s_mul_i32 s8, s8, s12
	v_readlane_b32 s5, v254, 17
	s_add_u32 s1, s18, s8
	s_mul_i32 s9, s9, s5
	s_addc_u32 s0, s19, s0
	s_ashr_i32 s4, s9, 31
	s_add_u32 s2, s1, s9
	v_lshrrev_b32_e32 v1, 3, v64
	s_addc_u32 s53, s0, s4
	v_and_b32_e32 v32, 0x1ff0, v138
	s_movk_i32 s0, 0x210
	v_and_b32_e32 v156, 15, v64
	v_and_b32_e32 v141, 0x7e, v1
	v_mad_u32_u24 v0, v32, s0, 0
	v_mul_u32_u24_e32 v54, 0x210, v156
	v_lshlrev_b32_e32 v55, 2, v141
	v_add3_u32 v0, v0, v54, v55
	s_waitcnt lgkmcnt(0)
	s_barrier
	ds_read2_b64 v[28:31], v0 offset1:4
	ds_read2_b64 v[24:27], v0 offset0:8 offset1:12
	ds_read2_b64 v[20:23], v0 offset0:16 offset1:20
	;; [unrolled: 1-line block ×7, first 2 shown]
	v_add_u32_e32 v136, -1, v77
	v_cmp_ge_i32_e32 vcc, s52, v136
	s_mov_b32 s54, 0
	s_and_b64 vcc, exec, vcc
	v_mov_b32_e32 v118, 0
	v_or_b32_e32 v43, v32, v156
	v_lshlrev_b32_e32 v52, 1, v64
	v_mbcnt_lo_u32_b32 v74, -1, 0
	v_lshrrev_b32_e32 v47, 5, v64
	v_lshlrev_b32_e32 v140, 2, v64
	v_lshrrev_b32_e32 v51, 2, v64
	v_and_b32_e32 v113, 8, v138
	v_lshlrev_b32_e32 v112, 1, v156
	v_readlane_b32 s6, v254, 20
	s_waitcnt lgkmcnt(0)
	s_barrier
	s_cbranch_vccnz .LBB30_541
; %bb.497:
	v_readlane_b32 s6, v254, 10
	v_readlane_b32 s7, v254, 11
	v_mov_b32_e32 v32, 0
	v_mul_hi_u32 v33, s6, v36
	v_add_u32_e32 v33, v36, v33
	v_lshrrev_b32_e32 v33, s7, v33
	v_mul_lo_u32 v33, v33, s96
	v_sub_u32_e32 v33, v36, v33
	v_mov_b32_e32 v53, v32
	v_mad_i64_i32 v[56:57], s[4:5], v33, s40, 0
	v_mul_u32_u24_e32 v33, 0x90, v194
	v_lshl_add_u64 v[34:35], s[42:43], 0, v[52:53]
	v_add3_u32 v53, 0, v33, v52
	v_mul_hi_u32 v33, s6, v37
	v_add_u32_e32 v33, v37, v33
	v_lshrrev_b32_e32 v33, s7, v33
	v_mul_lo_u32 v33, v33, s96
	v_sub_u32_e32 v33, v37, v33
	v_mad_i64_i32 v[58:59], s[4:5], v33, s40, 0
	v_add_u32_e32 v33, 0x240, v53
	v_accvgpr_write_b32 a29, v33
	v_mul_hi_u32 v33, s6, v38
	v_add_u32_e32 v33, v38, v33
	v_lshrrev_b32_e32 v33, s7, v33
	v_mul_lo_u32 v33, v33, s96
	v_sub_u32_e32 v33, v38, v33
	v_mad_i64_i32 v[60:61], s[4:5], v33, s40, 0
	v_add_u32_e32 v33, 0x480, v53
	v_accvgpr_write_b32 a32, v33
	;; [unrolled: 8-line block ×5, first 2 shown]
	v_mul_hi_u32 v33, s6, v45
	v_add_u32_e32 v33, v45, v33
	v_lshrrev_b32_e32 v33, s7, v33
	v_mul_lo_u32 v33, v33, s96
	v_sub_u32_e32 v33, v45, v33
	v_mad_i64_i32 v[70:71], s[4:5], v33, s40, 0
	v_mul_hi_u32 v33, s6, v46
	v_add_u32_e32 v33, v46, v33
	v_lshrrev_b32_e32 v33, s7, v33
	v_mul_lo_u32 v33, v33, s96
	v_sub_u32_e32 v33, v46, v33
	v_accvgpr_write_b32 a30, v34
	v_mad_i64_i32 v[72:73], s[4:5], v33, s40, 0
	v_mbcnt_hi_u32_b32 v33, -1, v74
	v_accvgpr_write_b32 a31, v35
	v_and_b32_e32 v34, 64, v33
	v_add_u32_e32 v34, 64, v34
	v_xor_b32_e32 v35, 32, v33
	v_cmp_lt_i32_e32 vcc, v35, v34
	s_cmp_lg_u64 s[42:43], 0
	s_cselect_b64 s[44:45], -1, 0
	v_cndmask_b32_e32 v35, v33, v35, vcc
	v_lshlrev_b32_e32 v146, 2, v35
	v_xor_b32_e32 v35, 16, v33
	v_cmp_lt_i32_e32 vcc, v35, v34
	v_accvgpr_write_b32 a15, v74
	s_lshl_b32 s19, s78, 3
	v_cndmask_b32_e32 v33, v33, v35, vcc
	v_lshlrev_b32_e32 v147, 2, v33
	v_lshl_add_u32 v33, v194, 1, v47
	v_mul_lo_u32 v74, s78, v33
	v_add_u32_e32 v76, s19, v74
	v_add_u32_e32 v78, s19, v76
	;; [unrolled: 1-line block ×7, first 2 shown]
	s_add_i32 s19, 0, 0x60
	v_accvgpr_write_b32 a28, v47
	v_mov_b32_e32 v47, s19
	s_add_i32 s19, 0, 0x80
	v_accvgpr_write_b32 a16, v51
	v_mov_b32_e32 v51, s19
	s_add_i32 s19, 0, 0xa0
	v_mov_b32_e32 v65, s19
	s_add_i32 s19, 0, 0xc0
	v_mov_b32_e32 v107, s19
	s_add_i32 s19, 0, 0xe0
	s_movk_i32 s18, 0x90
	v_mov_b32_e32 v111, s19
	s_add_i32 s19, 0, 0x100
	v_accvgpr_write_b32 a22, v41
	v_mad_u32_u24 v41, v43, s18, 0
	v_mul_lo_u32 v90, s98, v33
	s_lshl_b32 s18, s98, 3
	v_mov_b32_e32 v116, s19
	s_add_i32 s19, 0, 0x120
	v_add_u32_e32 v92, s18, v90
	v_mov_b32_e32 v119, s19
	s_add_i32 s19, 0, 0x140
	v_and_b32_e32 v34, 0x7c, v140
	v_add_u32_e32 v94, s18, v92
	v_mov_b32_e32 v122, s19
	s_add_i32 s19, 0, 0x160
	v_accvgpr_write_b32 a18, v36
	v_accvgpr_write_b32 a20, v38
	v_mul_u32_u24_e32 v35, 0x210, v33
	v_lshlrev_b32_e32 v36, 2, v34
	v_lshrrev_b32_e32 v38, 2, v64
	v_add_u32_e32 v96, s18, v94
	v_mov_b32_e32 v125, s19
	s_add_i32 s19, 0, 0x180
	v_accvgpr_write_b32 a21, v39
	v_add3_u32 v148, 0, v35, v36
	v_and_b32_e32 v35, 16, v137
	v_and_b32_e32 v39, 0xfc, v38
	v_add_u32_e32 v98, s18, v96
	v_mov_b32_e32 v129, s19
	s_add_i32 s19, 0, 0x1a0
	v_accvgpr_write_b32 a19, v37
	v_mul_u32_u24_e32 v37, 0x210, v35
	v_add_u32_e32 v40, v35, v39
	v_add_u16_e32 v35, v35, v39
	v_add_u32_e32 v100, s18, v98
	v_mov_b32_e32 v132, s19
	s_add_i32 s19, 0, 0x1c0
	v_lshrrev_b16_e32 v35, 1, v35
	v_add_u32_e32 v102, s18, v100
	v_mov_b32_e32 v135, s19
	s_add_i32 s19, 0, 0x1e0
	v_accvgpr_write_b32 a12, v140
	v_cmp_gt_u32_e64 s[36:37], 64, v33
	v_cmp_gt_u32_e64 s[4:5], 56, v33
	;; [unrolled: 1-line block ×8, first 2 shown]
	v_lshl_add_u32 v35, v35, 2, v41
	v_lshl_add_u32 v41, v40, 1, v41
	v_add_u32_e32 v104, s18, v102
	s_movk_i32 s18, 0x420
	v_mul_u32_u24_e32 v33, 0x420, v113
	v_mov_b32_e32 v140, s19
	v_accvgpr_write_b32 a9, v137
	v_add_u32_e32 v128, 64, v41
	v_add_u32_e32 v137, 0x44, v41
	v_mad_u32_u24 v41, v113, s18, 0
	v_add3_u32 v42, 0, 32, v33
	v_add3_u32 v33, 0, 64, v33
	v_mad_u32_u24 v47, v113, s18, v47
	v_mad_u32_u24 v51, v113, s18, v51
	;; [unrolled: 1-line block ×13, first 2 shown]
	v_cmp_gt_u32_e64 s[18:19], 64, v40
	v_cmp_gt_u32_e64 s[20:21], 63, v40
	;; [unrolled: 1-line block ×8, first 2 shown]
	v_mul_u32_u24_e32 v40, 0x108, v39
	v_accvgpr_write_b32 a14, v141
	v_accvgpr_write_b32 a10, v138
	;; [unrolled: 1-line block ×4, first 2 shown]
	v_add3_u32 v36, 0, v54, v55
	v_accvgpr_write_b32 a17, v43
	v_add_u32_e32 v158, v41, v112
	v_add_u32_e32 v43, 0x4200, v42
	;; [unrolled: 1-line block ×16, first 2 shown]
	v_or_b32_e32 v144, v40, v156
	v_or_b32_e32 v38, 3, v38
	v_accvgpr_write_b32 a11, v139
	v_accvgpr_write_b32 a25, v44
	;; [unrolled: 1-line block ×3, first 2 shown]
	s_mov_b64 s[46:47], src_private_base
	v_accvgpr_write_b32 a24, v55
	v_add_u32_e32 v159, 0x4200, v158
	v_add_u32_e32 v160, 32, v158
	;; [unrolled: 1-line block ×31, first 2 shown]
	v_mul_u32_u24_e32 v177, 0x210, v39
	v_mul_u32_u24_e32 v178, 0x210, v38
	v_lshlrev_b32_e32 v38, 1, v144
	v_lshlrev_b32_e32 v39, 1, v40
	v_cmp_lt_u32_e64 s[0:1], 63, v64
	v_add_u32_e32 v143, 0xd80, v53
	v_add_u32_e32 v145, 0xfc0, v53
	s_mov_b32 s46, 0
	v_ashrrev_i32_e32 v75, 31, v74
	v_add_u32_e32 v149, 0x1080, v148
	v_ashrrev_i32_e32 v77, 31, v76
	v_add_u32_e32 v150, 0x2100, v148
	;; [unrolled: 2-line block ×7, first 2 shown]
	v_ashrrev_i32_e32 v89, 31, v88
	v_ashrrev_i32_e32 v91, 31, v90
	;; [unrolled: 1-line block ×9, first 2 shown]
	v_accvgpr_write_b32 a13, v156
	v_add_u32_e32 v179, v41, v38
	v_add_u32_e32 v180, v158, v39
	;; [unrolled: 1-line block ×48, first 2 shown]
	v_mov_b32_e32 v106, v50
	v_mov_b32_e32 v107, v50
	s_lshl_b32 s48, s52, 6
	v_mov_b32_e32 v123, 0xfeffffff
	v_lshlrev_b32_e32 v108, 2, v34
	v_add_u32_e32 v227, v36, v37
	s_mov_b32 s55, 0x3f200000
	s_mov_b32 s56, 0x3fb8aa3b
	;; [unrolled: 1-line block ×4, first 2 shown]
	v_mov_b32_e32 v228, 0x3ca908c9
	s_brev_b32 s59, -2
	v_add_u32_e32 v229, 0x8400, v35
	s_mov_b32 s60, 0xc1a00000
	s_mov_b32 s61, 0x5040100
	v_add_u32_e32 v230, v44, v177
	v_add_u32_e32 v231, v46, v177
	;; [unrolled: 1-line block ×15, first 2 shown]
	v_mov_b32_e32 v245, 0x7f800000
	v_mov_b32_e32 v126, 0
	;; [unrolled: 1-line block ×34, first 2 shown]
                                        ; implicit-def: $vgpr33
                                        ; implicit-def: $vgpr33
	;; [unrolled: 1-line block ×3, first 2 shown]
	s_andn2_b64 vcc, exec, s[44:45]
	s_ashr_i32 s49, s48, 31
	s_cbranch_vccnz .LBB30_503
.LBB30_498:
                                        ; implicit-def: $sgpr62
	s_and_saveexec_b64 s[50:51], s[0:1]
	s_xor_b64 s[50:51], exec, s[50:51]
	s_cbranch_execz .LBB30_500
; %bb.499:
	v_accvgpr_read_b32 v33, a29
	ds_write_b16 v33, v32 offset:33792
	v_accvgpr_read_b32 v33, a32
	ds_write_b16 v33, v32 offset:33792
	;; [unrolled: 2-line block ×3, first 2 shown]
	ds_write_b16 v33, v32 offset:33792
	s_mov_b32 s62, 0
.LBB30_500:
	s_or_saveexec_b64 s[50:51], s[50:51]
	v_mov_b32_e32 v33, s62
	v_mov_b32_e32 v34, s62
	;; [unrolled: 1-line block ×4, first 2 shown]
	s_xor_b64 exec, exec, s[50:51]
	s_cbranch_execz .LBB30_502
; %bb.501:
	v_accvgpr_read_b32 v35, a31
	v_accvgpr_read_b32 v34, a30
	v_lshl_add_u64 v[36:37], s[48:49], 1, v[34:35]
	v_lshl_add_u64 v[34:35], v[56:57], 1, v[36:37]
	flat_load_ushort v33, v[34:35]
	v_lshl_add_u64 v[34:35], v[58:59], 1, v[36:37]
	flat_load_ushort v38, v[34:35]
	;; [unrolled: 2-line block ×4, first 2 shown]
	s_waitcnt vmcnt(0) lgkmcnt(0)
	ds_write_b16 v53, v33 offset:33792
	v_accvgpr_read_b32 v33, a29
	ds_write_b16 v33, v38 offset:33792
	v_accvgpr_read_b32 v33, a32
	;; [unrolled: 2-line block ×3, first 2 shown]
	ds_write_b16 v33, v34 offset:33792
	v_lshl_add_u64 v[34:35], v[66:67], 1, v[36:37]
	flat_load_ushort v33, v[34:35]
	v_lshl_add_u64 v[34:35], v[68:69], 1, v[36:37]
	v_lshl_add_u64 v[38:39], v[70:71], 1, v[36:37]
	;; [unrolled: 1-line block ×3, first 2 shown]
	flat_load_ushort v34, v[34:35]
	s_nop 0
	flat_load_ushort v36, v[36:37]
	s_nop 0
	flat_load_ushort v35, v[38:39]
.LBB30_502:
	s_or_b64 exec, exec, s[50:51]
	v_accvgpr_read_b32 v37, a34
	s_waitcnt vmcnt(0) lgkmcnt(0)
	ds_write_b16 v37, v33 offset:33792
	v_accvgpr_read_b32 v33, a35
	ds_write_b16 v33, v34 offset:33792
	ds_write_b16 v143, v35 offset:33792
	;; [unrolled: 1-line block ×3, first 2 shown]
.LBB30_503:                             ; =>This Inner Loop Header: Depth=1
	s_mul_hi_i32 s51, s48, s78
	s_mul_i32 s50, s48, s78
	s_lshl_b64 s[50:51], s[50:51], 2
	s_add_u32 s50, s2, s50
	s_addc_u32 s51, s53, s51
	v_mov_b32_e32 v33, v32
	v_mov_b32_e32 v34, v32
	;; [unrolled: 1-line block ×3, first 2 shown]
	scratch_store_dwordx4 off, v[32:35], off
	v_mov_b32_e32 v109, v32
	v_mov_b32_e32 v38, s46
	v_lshl_add_u64 v[34:35], v[74:75], 2, s[50:51]
	v_lshl_add_u64 v[34:35], v[34:35], 0, v[108:109]
	v_mov_b32_e32 v33, s47
	v_cndmask_b32_e64 v35, v33, v35, s[36:37]
	v_cndmask_b32_e64 v34, v38, v34, s[36:37]
	flat_load_dwordx4 v[34:37], v[34:35]
                                        ; implicit-def: $vgpr45
	s_waitcnt vmcnt(0) lgkmcnt(0)
	ds_write_b128 v148, v[34:37]
	v_lshl_add_u64 v[34:35], v[76:77], 2, s[50:51]
	v_lshl_add_u64 v[34:35], v[34:35], 0, v[108:109]
	v_cndmask_b32_e64 v35, v33, v35, s[4:5]
	v_cndmask_b32_e64 v34, v38, v34, s[4:5]
	flat_load_dwordx4 v[34:37], v[34:35]
	s_waitcnt vmcnt(0) lgkmcnt(0)
	ds_write_b128 v149, v[34:37]
	v_lshl_add_u64 v[34:35], v[78:79], 2, s[50:51]
	v_lshl_add_u64 v[34:35], v[34:35], 0, v[108:109]
	v_cndmask_b32_e64 v35, v33, v35, s[6:7]
	v_cndmask_b32_e64 v34, v38, v34, s[6:7]
	flat_load_dwordx4 v[34:37], v[34:35]
	;; [unrolled: 7-line block ×7, first 2 shown]
	v_add_u32_e32 v33, 0x4000, v227
	s_waitcnt vmcnt(0) lgkmcnt(0)
	ds_write_b128 v155, v[34:37]
	s_waitcnt lgkmcnt(0)
	s_barrier
	ds_read2_b64 v[34:37], v227 offset1:4
	s_waitcnt lgkmcnt(0)
	v_mfma_f32_16x16x16_f16 a[0:3], v[34:35], v[28:29], 0
	v_mfma_f32_16x16x16_f16 a[0:3], v[36:37], v[30:31], a[0:3]
	ds_read2_b64 v[34:37], v227 offset0:8 offset1:12
	s_waitcnt lgkmcnt(0)
	v_mfma_f32_16x16x16_f16 a[0:3], v[34:35], v[24:25], a[0:3]
	v_mfma_f32_16x16x16_f16 a[0:3], v[36:37], v[26:27], a[0:3]
	ds_read2_b64 v[34:37], v227 offset0:16 offset1:20
	;; [unrolled: 4-line block ×15, first 2 shown]
	v_accvgpr_read_b32 v33, a0
	v_cmp_nlt_f32_e64 s[50:51], |v33|, s55
	s_waitcnt lgkmcnt(0)
	v_mfma_f32_16x16x16_f16 a[4:7], v[34:35], v[0:1], a[4:7]
	s_barrier
	v_mfma_f32_16x16x16_f16 a[4:7], v[36:37], v[2:3], a[4:7]
	s_and_saveexec_b64 s[62:63], s[50:51]
	s_xor_b64 s[50:51], exec, s[62:63]
	s_cbranch_execz .LBB30_505
; %bb.504:                              ;   in Loop: Header=BB30_503 Depth=1
	v_add_f32_e64 v34, |v33|, |v33|
	v_mul_f32_e32 v35, 0x3fb8aa3b, v34
	v_rndne_f32_e32 v36, v35
	v_sub_f32_e32 v37, v35, v36
	v_fma_f32 v35, v34, s56, -v35
	v_fmac_f32_e32 v35, 0x32a5705f, v34
	v_add_f32_e32 v35, v37, v35
	v_cvt_i32_f32_e32 v36, v36
	v_exp_f32_e32 v35, v35
	v_cmp_ngt_f32_e32 vcc, s57, v34
	v_ldexp_f32 v35, v35, v36
	s_nop 0
	v_cndmask_b32_e32 v35, 0, v35, vcc
	v_cmp_nlt_f32_e32 vcc, s58, v34
	s_nop 1
	v_cndmask_b32_e32 v34, v245, v35, vcc
	v_add_f32_e32 v34, 1.0, v34
	v_rcp_f32_e32 v34, v34
	s_nop 0
	v_fma_f32 v45, v34, -2.0, 1.0
.LBB30_505:                             ;   in Loop: Header=BB30_503 Depth=1
	s_andn2_saveexec_b64 s[50:51], s[50:51]
; %bb.506:                              ;   in Loop: Header=BB30_503 Depth=1
	v_mul_f32_e32 v34, v33, v33
	v_fmamk_f32 v35, v34, 0xbbbac73d, v228
	v_fmaak_f32 v35, v34, v35, 0xbd5c1c4e
	v_fmaak_f32 v35, v34, v35, 0x3e088382
	;; [unrolled: 1-line block ×3, first 2 shown]
	v_mul_f32_e64 v35, |v33|, v35
	v_fma_f32 v45, v34, v35, |v33|
; %bb.507:                              ;   in Loop: Header=BB30_503 Depth=1
	s_or_b64 exec, exec, s[50:51]
	v_accvgpr_read_b32 v37, a3
	v_accvgpr_read_b32 v35, a1
	;; [unrolled: 1-line block ×4, first 2 shown]
	v_cmp_nlt_f32_e64 s[50:51], |v35|, s55
                                        ; implicit-def: $vgpr34
	s_and_saveexec_b64 s[62:63], s[50:51]
	s_xor_b64 s[50:51], exec, s[62:63]
	s_cbranch_execz .LBB30_509
; %bb.508:                              ;   in Loop: Header=BB30_503 Depth=1
	v_add_f32_e64 v34, |v35|, |v35|
	v_mul_f32_e32 v38, 0x3fb8aa3b, v34
	v_rndne_f32_e32 v39, v38
	v_sub_f32_e32 v40, v38, v39
	v_fma_f32 v38, v34, s56, -v38
	v_fmac_f32_e32 v38, 0x32a5705f, v34
	v_add_f32_e32 v38, v40, v38
	v_cvt_i32_f32_e32 v39, v39
	v_exp_f32_e32 v38, v38
	v_cmp_ngt_f32_e32 vcc, s57, v34
	v_ldexp_f32 v38, v38, v39
	s_nop 0
	v_cndmask_b32_e32 v38, 0, v38, vcc
	v_cmp_nlt_f32_e32 vcc, s58, v34
	s_nop 1
	v_cndmask_b32_e32 v34, v245, v38, vcc
	v_add_f32_e32 v34, 1.0, v34
	v_rcp_f32_e32 v34, v34
	s_nop 0
	v_fma_f32 v34, v34, -2.0, 1.0
.LBB30_509:                             ;   in Loop: Header=BB30_503 Depth=1
	s_andn2_saveexec_b64 s[50:51], s[50:51]
; %bb.510:                              ;   in Loop: Header=BB30_503 Depth=1
	v_mul_f32_e32 v34, v35, v35
	v_fmamk_f32 v38, v34, 0xbbbac73d, v228
	v_fmaak_f32 v38, v34, v38, 0xbd5c1c4e
	v_fmaak_f32 v38, v34, v38, 0x3e088382
	;; [unrolled: 1-line block ×3, first 2 shown]
	v_mul_f32_e64 v38, |v35|, v38
	v_fma_f32 v34, v34, v38, |v35|
; %bb.511:                              ;   in Loop: Header=BB30_503 Depth=1
	s_or_b64 exec, exec, s[50:51]
	v_cmp_nlt_f32_e64 s[50:51], |v36|, s55
                                        ; implicit-def: $vgpr48
	s_and_saveexec_b64 s[62:63], s[50:51]
	s_xor_b64 s[50:51], exec, s[62:63]
	s_cbranch_execz .LBB30_513
; %bb.512:                              ;   in Loop: Header=BB30_503 Depth=1
	v_add_f32_e64 v38, |v36|, |v36|
	v_mul_f32_e32 v39, 0x3fb8aa3b, v38
	v_rndne_f32_e32 v40, v39
	v_sub_f32_e32 v41, v39, v40
	v_fma_f32 v39, v38, s56, -v39
	v_fmac_f32_e32 v39, 0x32a5705f, v38
	v_add_f32_e32 v39, v41, v39
	v_cvt_i32_f32_e32 v40, v40
	v_exp_f32_e32 v39, v39
	v_cmp_ngt_f32_e32 vcc, s57, v38
	v_ldexp_f32 v39, v39, v40
	s_nop 0
	v_cndmask_b32_e32 v39, 0, v39, vcc
	v_cmp_nlt_f32_e32 vcc, s58, v38
	s_nop 1
	v_cndmask_b32_e32 v38, v245, v39, vcc
	v_add_f32_e32 v38, 1.0, v38
	v_rcp_f32_e32 v38, v38
	s_nop 0
	v_fma_f32 v48, v38, -2.0, 1.0
.LBB30_513:                             ;   in Loop: Header=BB30_503 Depth=1
	s_andn2_saveexec_b64 s[50:51], s[50:51]
; %bb.514:                              ;   in Loop: Header=BB30_503 Depth=1
	v_mul_f32_e32 v38, v36, v36
	v_fmamk_f32 v39, v38, 0xbbbac73d, v228
	v_fmaak_f32 v39, v38, v39, 0xbd5c1c4e
	v_fmaak_f32 v39, v38, v39, 0x3e088382
	;; [unrolled: 1-line block ×3, first 2 shown]
	v_mul_f32_e64 v39, |v36|, v39
	v_fma_f32 v48, v38, v39, |v36|
; %bb.515:                              ;   in Loop: Header=BB30_503 Depth=1
	s_or_b64 exec, exec, s[50:51]
	v_cmp_nlt_f32_e64 s[50:51], |v37|, s55
                                        ; implicit-def: $vgpr49
	s_and_saveexec_b64 s[62:63], s[50:51]
	s_xor_b64 s[50:51], exec, s[62:63]
	s_cbranch_execz .LBB30_517
; %bb.516:                              ;   in Loop: Header=BB30_503 Depth=1
	v_add_f32_e64 v38, |v37|, |v37|
	v_mul_f32_e32 v39, 0x3fb8aa3b, v38
	v_rndne_f32_e32 v40, v39
	v_sub_f32_e32 v41, v39, v40
	v_fma_f32 v39, v38, s56, -v39
	v_fmac_f32_e32 v39, 0x32a5705f, v38
	v_add_f32_e32 v39, v41, v39
	v_cvt_i32_f32_e32 v40, v40
	v_exp_f32_e32 v39, v39
	v_cmp_ngt_f32_e32 vcc, s57, v38
	v_ldexp_f32 v39, v39, v40
	s_nop 0
	v_cndmask_b32_e32 v39, 0, v39, vcc
	v_cmp_nlt_f32_e32 vcc, s58, v38
	s_nop 1
	v_cndmask_b32_e32 v38, v245, v39, vcc
	v_add_f32_e32 v38, 1.0, v38
	v_rcp_f32_e32 v38, v38
	s_nop 0
	v_fma_f32 v49, v38, -2.0, 1.0
.LBB30_517:                             ;   in Loop: Header=BB30_503 Depth=1
	s_andn2_saveexec_b64 s[50:51], s[50:51]
; %bb.518:                              ;   in Loop: Header=BB30_503 Depth=1
	v_mul_f32_e32 v38, v37, v37
	v_fmamk_f32 v39, v38, 0xbbbac73d, v228
	v_fmaak_f32 v39, v38, v39, 0xbd5c1c4e
	v_fmaak_f32 v39, v38, v39, 0x3e088382
	;; [unrolled: 1-line block ×3, first 2 shown]
	v_mul_f32_e64 v39, |v37|, v39
	v_fma_f32 v49, v38, v39, |v37|
; %bb.519:                              ;   in Loop: Header=BB30_503 Depth=1
	s_or_b64 exec, exec, s[50:51]
	v_accvgpr_read_b32 v41, a7
	v_accvgpr_read_b32 v38, a4
	;; [unrolled: 1-line block ×4, first 2 shown]
	v_cmp_nlt_f32_e64 s[50:51], |v38|, s55
                                        ; implicit-def: $vgpr42
	s_and_saveexec_b64 s[62:63], s[50:51]
	s_xor_b64 s[50:51], exec, s[62:63]
	s_cbranch_execz .LBB30_521
; %bb.520:                              ;   in Loop: Header=BB30_503 Depth=1
	v_add_f32_e64 v42, |v38|, |v38|
	v_mul_f32_e32 v43, 0x3fb8aa3b, v42
	v_rndne_f32_e32 v44, v43
	v_sub_f32_e32 v46, v43, v44
	v_fma_f32 v43, v42, s56, -v43
	v_fmac_f32_e32 v43, 0x32a5705f, v42
	v_add_f32_e32 v43, v46, v43
	v_cvt_i32_f32_e32 v44, v44
	v_exp_f32_e32 v43, v43
	v_cmp_ngt_f32_e32 vcc, s57, v42
	v_ldexp_f32 v43, v43, v44
	s_nop 0
	v_cndmask_b32_e32 v43, 0, v43, vcc
	v_cmp_nlt_f32_e32 vcc, s58, v42
	s_nop 1
	v_cndmask_b32_e32 v42, v245, v43, vcc
	v_add_f32_e32 v42, 1.0, v42
	v_rcp_f32_e32 v42, v42
	s_nop 0
	v_fma_f32 v42, v42, -2.0, 1.0
.LBB30_521:                             ;   in Loop: Header=BB30_503 Depth=1
	s_andn2_saveexec_b64 s[50:51], s[50:51]
; %bb.522:                              ;   in Loop: Header=BB30_503 Depth=1
	v_mul_f32_e32 v42, v38, v38
	v_fmamk_f32 v43, v42, 0xbbbac73d, v228
	v_fmaak_f32 v43, v42, v43, 0xbd5c1c4e
	v_fmaak_f32 v43, v42, v43, 0x3e088382
	;; [unrolled: 1-line block ×3, first 2 shown]
	v_mul_f32_e64 v43, |v38|, v43
	v_fma_f32 v42, v42, v43, |v38|
; %bb.523:                              ;   in Loop: Header=BB30_503 Depth=1
	s_or_b64 exec, exec, s[50:51]
	v_cmp_nlt_f32_e64 s[50:51], |v39|, s55
                                        ; implicit-def: $vgpr43
	s_and_saveexec_b64 s[62:63], s[50:51]
	s_xor_b64 s[50:51], exec, s[62:63]
	s_cbranch_execz .LBB30_525
; %bb.524:                              ;   in Loop: Header=BB30_503 Depth=1
	v_add_f32_e64 v43, |v39|, |v39|
	v_mul_f32_e32 v44, 0x3fb8aa3b, v43
	v_rndne_f32_e32 v46, v44
	v_sub_f32_e32 v47, v44, v46
	v_fma_f32 v44, v43, s56, -v44
	v_fmac_f32_e32 v44, 0x32a5705f, v43
	v_add_f32_e32 v44, v47, v44
	v_cvt_i32_f32_e32 v46, v46
	v_exp_f32_e32 v44, v44
	v_cmp_ngt_f32_e32 vcc, s57, v43
	v_ldexp_f32 v44, v44, v46
	s_nop 0
	v_cndmask_b32_e32 v44, 0, v44, vcc
	v_cmp_nlt_f32_e32 vcc, s58, v43
	s_nop 1
	v_cndmask_b32_e32 v43, v245, v44, vcc
	v_add_f32_e32 v43, 1.0, v43
	v_rcp_f32_e32 v43, v43
	s_nop 0
	v_fma_f32 v43, v43, -2.0, 1.0
.LBB30_525:                             ;   in Loop: Header=BB30_503 Depth=1
	s_andn2_saveexec_b64 s[50:51], s[50:51]
; %bb.526:                              ;   in Loop: Header=BB30_503 Depth=1
	v_mul_f32_e32 v43, v39, v39
	v_fmamk_f32 v44, v43, 0xbbbac73d, v228
	v_fmaak_f32 v44, v43, v44, 0xbd5c1c4e
	v_fmaak_f32 v44, v43, v44, 0x3e088382
	;; [unrolled: 1-line block ×3, first 2 shown]
	v_mul_f32_e64 v44, |v39|, v44
	v_fma_f32 v43, v43, v44, |v39|
; %bb.527:                              ;   in Loop: Header=BB30_503 Depth=1
	s_or_b64 exec, exec, s[50:51]
	v_cmp_nlt_f32_e64 s[50:51], |v40|, s55
                                        ; implicit-def: $vgpr44
	s_and_saveexec_b64 s[62:63], s[50:51]
	s_xor_b64 s[50:51], exec, s[62:63]
	s_cbranch_execz .LBB30_529
; %bb.528:                              ;   in Loop: Header=BB30_503 Depth=1
	v_add_f32_e64 v44, |v40|, |v40|
	v_mul_f32_e32 v46, 0x3fb8aa3b, v44
	v_rndne_f32_e32 v47, v46
	v_sub_f32_e32 v51, v46, v47
	v_fma_f32 v46, v44, s56, -v46
	v_fmac_f32_e32 v46, 0x32a5705f, v44
	v_add_f32_e32 v46, v51, v46
	v_cvt_i32_f32_e32 v47, v47
	v_exp_f32_e32 v46, v46
	v_cmp_ngt_f32_e32 vcc, s57, v44
	v_ldexp_f32 v46, v46, v47
	s_nop 0
	v_cndmask_b32_e32 v46, 0, v46, vcc
	v_cmp_nlt_f32_e32 vcc, s58, v44
	s_nop 1
	v_cndmask_b32_e32 v44, v245, v46, vcc
	v_add_f32_e32 v44, 1.0, v44
	v_rcp_f32_e32 v44, v44
	s_nop 0
	v_fma_f32 v44, v44, -2.0, 1.0
.LBB30_529:                             ;   in Loop: Header=BB30_503 Depth=1
	s_andn2_saveexec_b64 s[50:51], s[50:51]
; %bb.530:                              ;   in Loop: Header=BB30_503 Depth=1
	v_mul_f32_e32 v44, v40, v40
	v_fmamk_f32 v46, v44, 0xbbbac73d, v228
	v_fmaak_f32 v46, v44, v46, 0xbd5c1c4e
	v_fmaak_f32 v46, v44, v46, 0x3e088382
	;; [unrolled: 1-line block ×3, first 2 shown]
	v_mul_f32_e64 v46, |v40|, v46
	v_fma_f32 v44, v44, v46, |v40|
; %bb.531:                              ;   in Loop: Header=BB30_503 Depth=1
	s_or_b64 exec, exec, s[50:51]
	v_cmp_nlt_f32_e64 s[50:51], |v41|, s55
                                        ; implicit-def: $vgpr51
	s_and_saveexec_b64 s[62:63], s[50:51]
	s_xor_b64 s[50:51], exec, s[62:63]
	s_cbranch_execz .LBB30_533
; %bb.532:                              ;   in Loop: Header=BB30_503 Depth=1
	v_add_f32_e64 v46, |v41|, |v41|
	v_mul_f32_e32 v47, 0x3fb8aa3b, v46
	v_rndne_f32_e32 v51, v47
	v_sub_f32_e32 v54, v47, v51
	v_fma_f32 v47, v46, s56, -v47
	v_fmac_f32_e32 v47, 0x32a5705f, v46
	v_add_f32_e32 v47, v54, v47
	v_cvt_i32_f32_e32 v51, v51
	v_exp_f32_e32 v47, v47
	v_cmp_ngt_f32_e32 vcc, s57, v46
	v_ldexp_f32 v47, v47, v51
	s_nop 0
	v_cndmask_b32_e32 v47, 0, v47, vcc
	v_cmp_nlt_f32_e32 vcc, s58, v46
	s_nop 1
	v_cndmask_b32_e32 v46, v245, v47, vcc
	v_add_f32_e32 v46, 1.0, v46
	v_rcp_f32_e32 v46, v46
	s_nop 0
	v_fma_f32 v51, v46, -2.0, 1.0
.LBB30_533:                             ;   in Loop: Header=BB30_503 Depth=1
	s_andn2_saveexec_b64 s[50:51], s[50:51]
; %bb.534:                              ;   in Loop: Header=BB30_503 Depth=1
	v_mul_f32_e32 v46, v41, v41
	v_fmamk_f32 v47, v46, 0xbbbac73d, v228
	v_fmaak_f32 v47, v46, v47, 0xbd5c1c4e
	v_fmaak_f32 v47, v46, v47, 0x3e088382
	;; [unrolled: 1-line block ×3, first 2 shown]
	v_mul_f32_e64 v47, |v41|, v47
	v_fma_f32 v51, v46, v47, |v41|
; %bb.535:                              ;   in Loop: Header=BB30_503 Depth=1
	s_or_b64 exec, exec, s[50:51]
	v_bfi_b32 v33, s59, v45, v33
	v_mul_f32_e32 v46, s3, v33
	v_bfi_b32 v33, s59, v34, v35
	v_bfi_b32 v38, s59, v42, v38
	v_mul_f32_e32 v47, s3, v33
	v_bfi_b32 v33, s59, v48, v36
	v_mul_f32_e32 v42, s3, v38
	;; [unrolled: 2-line block ×6, first 2 shown]
	v_mul_f32_e32 v45, s3, v33
	s_and_b64 vcc, exec, s[44:45]
	s_cbranch_vccz .LBB30_540
; %bb.536:                              ;   in Loop: Header=BB30_503 Depth=1
	ds_read2_b32 v[34:35], v229 offset1:1
	ds_read_b32 v33, v128 offset:33792
	ds_read_b32 v38, v137 offset:33792
	v_mov_b32_e32 v51, v50
	s_waitcnt lgkmcnt(2)
	v_cvt_f32_f16_e32 v36, v34
	v_cvt_f32_f16_sdwa v37, v34 dst_sel:DWORD dst_unused:UNUSED_PAD src0_sel:WORD_1
	v_cvt_f32_f16_e32 v34, v35
	v_cvt_f32_f16_sdwa v35, v35 dst_sel:DWORD dst_unused:UNUSED_PAD src0_sel:WORD_1
	s_waitcnt lgkmcnt(1)
	v_cvt_f32_f16_sdwa v139, v33 dst_sel:DWORD dst_unused:UNUSED_PAD src0_sel:WORD_1
	s_waitcnt lgkmcnt(0)
	v_cvt_f32_f16_sdwa v141, v38 dst_sel:DWORD dst_unused:UNUSED_PAD src0_sel:WORD_1
	v_cvt_f32_f16_e32 v140, v38
	v_cvt_f32_f16_e32 v138, v33
	v_pk_fma_f32 v[40:41], v[50:51], v[34:35], v[48:49]
	v_pk_fma_f32 v[38:39], v[106:107], v[36:37], v[46:47]
	;; [unrolled: 1-line block ×4, first 2 shown]
	s_cbranch_execnz .LBB30_538
.LBB30_537:                             ;   in Loop: Header=BB30_503 Depth=1
	v_mov_b64_e32 v[34:35], v[42:43]
	v_mov_b64_e32 v[38:39], v[46:47]
	v_mov_b64_e32 v[36:37], v[44:45]
	v_mov_b64_e32 v[40:41], v[48:49]
.LBB30_538:                             ;   in Loop: Header=BB30_503 Depth=1
	v_add_f32_e32 v33, 0x40051340, v38
	v_max_f32_e32 v42, v123, v123
	v_max_f32_e32 v33, v42, v33
	v_cndmask_b32_e64 v33, v123, v33, s[18:19]
	v_add_f32_e32 v42, 0x40051340, v39
	v_max_f32_e32 v43, v33, v33
	v_max_f32_e32 v42, v43, v42
	v_cndmask_b32_e64 v33, v33, v42, s[20:21]
	;; [unrolled: 4-line block ×8, first 2 shown]
	ds_bpermute_b32 v42, v146, v33
	v_max_f32_e32 v33, v33, v33
	v_cndmask_b32_e64 v40, v40, v40, s[20:21]
	v_cndmask_b32_e64 v41, v41, v41, s[20:21]
	;; [unrolled: 1-line block ×3, first 2 shown]
	s_waitcnt lgkmcnt(0)
	v_max_f32_e32 v42, v42, v42
	v_max_f32_e32 v33, v33, v42
	ds_bpermute_b32 v42, v147, v33
	v_cndmask_b32_e64 v36, v36, v36, s[26:27]
	v_cndmask_b32_e64 v37, v37, v37, s[26:27]
	s_mul_hi_i32 s51, s48, s98
	s_mul_i32 s50, s48, s98
	s_waitcnt lgkmcnt(0)
	v_max_f32_e32 v42, v42, v42
	v_max_f32_e32 v42, v33, v42
	v_sub_f32_e32 v33, v38, v42
	v_mul_f32_e32 v38, 0x3fb8aa3b, v33
	v_fma_f32 v43, v33, s56, -v38
	v_rndne_f32_e32 v44, v38
	v_fmac_f32_e32 v43, 0x32a5705f, v33
	v_sub_f32_e32 v38, v38, v44
	v_add_f32_e32 v38, v38, v43
	v_exp_f32_e32 v38, v38
	v_cvt_i32_f32_e32 v43, v44
	v_cmp_ngt_f32_e32 vcc, s57, v33
	v_sub_f32_e32 v40, v40, v42
	v_sub_f32_e32 v34, v34, v42
	v_ldexp_f32 v38, v38, v43
	v_cndmask_b32_e32 v38, 0, v38, vcc
	v_cmp_nlt_f32_e32 vcc, s58, v33
	s_lshl_b64 s[50:51], s[50:51], 2
	s_add_u32 s50, s33, s50
	v_cndmask_b32_e32 v33, v245, v38, vcc
	v_cndmask_b32_e64 v38, 0, v33, s[18:19]
	v_sub_f32_e32 v33, v39, v42
	v_mul_f32_e32 v39, 0x3fb8aa3b, v33
	v_fma_f32 v43, v33, s56, -v39
	v_rndne_f32_e32 v44, v39
	v_fmac_f32_e32 v43, 0x32a5705f, v33
	v_sub_f32_e32 v39, v39, v44
	v_add_f32_e32 v39, v39, v43
	v_exp_f32_e32 v39, v39
	v_cvt_i32_f32_e32 v43, v44
	v_cmp_ngt_f32_e32 vcc, s57, v33
	s_addc_u32 s51, s41, s51
	s_add_i32 s52, s52, 1
	v_ldexp_f32 v39, v39, v43
	v_cndmask_b32_e32 v39, 0, v39, vcc
	v_cmp_nlt_f32_e32 vcc, s58, v33
	v_mov_b32_e32 v33, s54
	s_add_i32 s48, s48, 64
	v_cndmask_b32_e32 v39, v245, v39, vcc
	v_add_f32_e32 v43, v39, v38
	v_cndmask_b32_e64 v39, v33, v39, s[20:21]
	v_cndmask_b32_e64 v33, v38, v43, s[20:21]
	v_mul_f32_e32 v43, 0x3fb8aa3b, v40
	v_fma_f32 v44, v40, s56, -v43
	v_rndne_f32_e32 v45, v43
	v_fmac_f32_e32 v44, 0x32a5705f, v40
	v_sub_f32_e32 v43, v43, v45
	v_add_f32_e32 v43, v43, v44
	v_exp_f32_e32 v43, v43
	v_cvt_i32_f32_e32 v44, v45
	v_cmp_ngt_f32_e32 vcc, s57, v40
	v_ldexp_f32 v43, v43, v44
	s_nop 0
	v_cndmask_b32_e32 v43, 0, v43, vcc
	v_cmp_nlt_f32_e32 vcc, s58, v40
	v_mov_b32_e32 v40, s54
	s_nop 0
	v_cndmask_b32_e32 v43, v245, v43, vcc
	v_add_f32_e32 v44, v33, v43
	v_cndmask_b32_e64 v54, v40, v43, s[22:23]
	v_cndmask_b32_e64 v40, v33, v44, s[22:23]
	v_sub_f32_e32 v33, v41, v42
	v_mul_f32_e32 v41, 0x3fb8aa3b, v33
	v_fma_f32 v43, v33, s56, -v41
	v_rndne_f32_e32 v44, v41
	v_fmac_f32_e32 v43, 0x32a5705f, v33
	v_sub_f32_e32 v41, v41, v44
	v_add_f32_e32 v41, v41, v43
	v_exp_f32_e32 v41, v41
	v_cvt_i32_f32_e32 v43, v44
	v_cmp_ngt_f32_e32 vcc, s57, v33
	v_ldexp_f32 v41, v41, v43
	s_nop 0
	v_cndmask_b32_e32 v41, 0, v41, vcc
	v_cmp_nlt_f32_e32 vcc, s58, v33
	v_mov_b32_e32 v33, s54
	s_nop 0
	v_cndmask_b32_e32 v41, v245, v41, vcc
	v_add_f32_e32 v43, v40, v41
	v_cndmask_b32_e64 v55, v33, v41, s[24:25]
	v_cndmask_b32_e64 v33, v40, v43, s[24:25]
	v_mul_f32_e32 v40, 0x3fb8aa3b, v34
	v_fma_f32 v41, v34, s56, -v40
	v_rndne_f32_e32 v43, v40
	v_fmac_f32_e32 v41, 0x32a5705f, v34
	v_sub_f32_e32 v40, v40, v43
	v_add_f32_e32 v40, v40, v41
	v_exp_f32_e32 v40, v40
	v_cvt_i32_f32_e32 v41, v43
	v_cmp_ngt_f32_e32 vcc, s57, v34
	v_ldexp_f32 v40, v40, v41
	s_nop 0
	v_cndmask_b32_e32 v40, 0, v40, vcc
	v_cmp_nlt_f32_e32 vcc, s58, v34
	v_mov_b32_e32 v34, s54
	s_nop 0
	v_cndmask_b32_e32 v40, v245, v40, vcc
	v_add_f32_e32 v41, v40, v33
	v_cndmask_b32_e64 v109, v34, v40, s[26:27]
	v_cndmask_b32_e64 v34, v33, v41, s[26:27]
	v_sub_f32_e32 v33, v35, v42
	v_mul_f32_e32 v35, 0x3fb8aa3b, v33
	v_fma_f32 v40, v33, s56, -v35
	v_rndne_f32_e32 v41, v35
	v_fmac_f32_e32 v40, 0x32a5705f, v33
	v_sub_f32_e32 v35, v35, v41
	v_add_f32_e32 v35, v35, v40
	v_exp_f32_e32 v35, v35
	v_cvt_i32_f32_e32 v40, v41
	v_cmp_ngt_f32_e32 vcc, s57, v33
	v_ldexp_f32 v35, v35, v40
	s_nop 0
	v_cndmask_b32_e32 v35, 0, v35, vcc
	v_cmp_nlt_f32_e32 vcc, s58, v33
	v_mov_b32_e32 v33, s54
	s_nop 0
	v_cndmask_b32_e32 v35, v245, v35, vcc
	v_add_f32_e32 v40, v35, v34
	v_cndmask_b32_e64 v35, v33, v35, s[28:29]
	v_cndmask_b32_e64 v33, v34, v40, s[28:29]
	v_sub_f32_e32 v34, v36, v42
	v_mul_f32_e32 v36, 0x3fb8aa3b, v34
	v_fma_f32 v40, v34, s56, -v36
	v_rndne_f32_e32 v41, v36
	v_fmac_f32_e32 v40, 0x32a5705f, v34
	v_sub_f32_e32 v36, v36, v41
	v_add_f32_e32 v36, v36, v40
	v_exp_f32_e32 v36, v36
	v_cvt_i32_f32_e32 v40, v41
	v_cmp_ngt_f32_e32 vcc, s57, v34
	v_cvt_f16_f32_e32 v35, v35
	v_ldexp_f32 v36, v36, v40
	v_cndmask_b32_e32 v36, 0, v36, vcc
	v_cmp_nlt_f32_e32 vcc, s58, v34
	v_mov_b32_e32 v34, s54
	s_nop 0
	v_cndmask_b32_e32 v36, v245, v36, vcc
	v_add_f32_e32 v40, v36, v33
	v_cndmask_b32_e64 v34, v34, v36, s[30:31]
	v_cndmask_b32_e64 v36, v33, v40, s[30:31]
	v_sub_f32_e32 v33, v37, v42
	v_mul_f32_e32 v37, 0x3fb8aa3b, v33
	v_fma_f32 v40, v33, s56, -v37
	v_rndne_f32_e32 v41, v37
	v_fmac_f32_e32 v40, 0x32a5705f, v33
	v_sub_f32_e32 v37, v37, v41
	v_add_f32_e32 v37, v37, v40
	v_exp_f32_e32 v37, v37
	v_cvt_i32_f32_e32 v40, v41
	v_cmp_ngt_f32_e32 vcc, s57, v33
	v_cvt_f16_f32_e32 v34, v34
	v_ldexp_f32 v37, v37, v40
	v_cndmask_b32_e32 v37, 0, v37, vcc
	v_cmp_nlt_f32_e32 vcc, s58, v33
	v_mov_b32_e32 v33, s54
	s_nop 0
	v_cndmask_b32_e32 v37, v245, v37, vcc
	v_add_f32_e32 v40, v37, v36
	v_cndmask_b32_e64 v40, v36, v40, s[34:35]
	v_sub_f32_e32 v36, v123, v42
	v_cndmask_b32_e64 v33, v33, v37, s[34:35]
	v_mul_f32_e32 v37, 0x3fb8aa3b, v36
	v_fma_f32 v41, v36, s56, -v37
	v_rndne_f32_e32 v43, v37
	v_fmac_f32_e32 v41, 0x32a5705f, v36
	v_sub_f32_e32 v37, v37, v43
	v_add_f32_e32 v37, v37, v41
	v_exp_f32_e32 v37, v37
	v_cvt_i32_f32_e32 v41, v43
	v_cmp_ngt_f32_e32 vcc, s57, v36
	v_cvt_f16_f32_e32 v33, v33
	v_ldexp_f32 v37, v37, v41
	v_cndmask_b32_e32 v37, 0, v37, vcc
	v_cmp_nlt_f32_e32 vcc, s58, v36
	s_nop 1
	v_cndmask_b32_e32 v37, v245, v37, vcc
	v_cmp_le_f32_e32 vcc, s60, v36
	s_nop 1
	v_cndmask_b32_e32 v36, 0, v37, vcc
	v_fmac_f32_e32 v40, v126, v36
	v_cvt_f16_f32_e32 v36, v36
	v_cvt_f16_f32_e32 v37, v39
	v_cmp_lt_i32_e32 vcc, s52, v136
	s_and_b64 vcc, exec, vcc
	v_pk_mul_f16 v120, v36, v120 op_sel_hi:[0,1]
	v_pk_mul_f16 v118, v36, v118 op_sel_hi:[0,1]
	;; [unrolled: 1-line block ×32, first 2 shown]
	v_cvt_f16_f32_e32 v36, v38
	v_pack_b32_f16 v38, v36, v37
	v_cvt_f16_f32_e32 v36, v54
	v_cvt_f16_f32_e32 v37, v55
	v_mov_b32_e32 v54, s46
	v_pack_b32_f16 v39, v36, v37
	v_cvt_f16_f32_e32 v36, v109
	v_pack_b32_f16 v37, v34, v33
	v_mov_b32_e32 v109, v32
	v_mov_b32_e32 v33, s47
	v_pack_b32_f16 v36, v36, v35
	v_lshl_add_u64 v[34:35], v[90:91], 2, s[50:51]
	v_lshl_add_u64 v[34:35], v[34:35], 0, v[108:109]
	v_cndmask_b32_e64 v115, v33, v35, s[36:37]
	v_cndmask_b32_e64 v114, v54, v34, s[36:37]
	v_lshl_add_u64 v[34:35], v[92:93], 2, s[50:51]
	v_lshl_add_u64 v[34:35], v[34:35], 0, v[108:109]
	v_cndmask_b32_e64 v125, v33, v35, s[4:5]
	v_cndmask_b32_e64 v124, v54, v34, s[4:5]
	;; [unrolled: 4-line block ×8, first 2 shown]
	v_mov_b32_e32 v33, v32
	v_mov_b32_e32 v34, v32
	;; [unrolled: 1-line block ×3, first 2 shown]
	scratch_store_dwordx4 off, v[32:35], off
	flat_load_dwordx4 v[114:117], v[114:115]
	s_waitcnt vmcnt(0) lgkmcnt(0)
	ds_write_b128 v148, v[114:117]
	flat_load_dwordx4 v[114:117], v[124:125]
	v_add_u32_e32 v33, v158, v177
	s_waitcnt vmcnt(0) lgkmcnt(0)
	ds_write_b128 v149, v[114:117]
	flat_load_dwordx4 v[114:117], v[138:139]
	v_cvt_f32_f16_e32 v138, v49
	v_cvt_f32_f16_sdwa v139, v49 dst_sel:DWORD dst_unused:UNUSED_PAD src0_sel:WORD_1
	s_waitcnt vmcnt(0) lgkmcnt(0)
	ds_write_b128 v150, v[114:117]
	flat_load_dwordx4 v[114:117], v[140:141]
	v_cvt_f32_f16_e32 v140, v48
	v_cvt_f32_f16_sdwa v141, v48 dst_sel:DWORD dst_unused:UNUSED_PAD src0_sel:WORD_1
	s_waitcnt vmcnt(0) lgkmcnt(0)
	ds_write_b128 v151, v[114:117]
	flat_load_dwordx4 v[114:117], v[126:127]
	s_waitcnt vmcnt(0) lgkmcnt(0)
	ds_write_b128 v152, v[114:117]
	flat_load_dwordx4 v[114:117], v[110:111]
	;; [unrolled: 3-line block ×4, first 2 shown]
	s_waitcnt vmcnt(0) lgkmcnt(0)
	ds_write_b128 v155, v[114:117]
	s_waitcnt lgkmcnt(0)
	s_barrier
	ds_read_u16 v34, v33 offset:528
	ds_read_u16 v35, v180 offset:1056
	v_add_u32_e32 v33, v158, v178
	ds_read_u16 v54, v33
	ds_read_u16 v55, v33 offset:32
	v_cvt_f32_f16_e32 v114, v120
	v_cvt_f32_f16_sdwa v115, v120 dst_sel:DWORD dst_unused:UNUSED_PAD src0_sel:WORD_1
	v_cvt_f32_f16_e32 v116, v118
	s_waitcnt lgkmcnt(1)
	v_perm_b32 v35, v54, v35, s61
	ds_read_u16 v54, v179
	ds_read_u16 v109, v179 offset:32
	v_cvt_f32_f16_sdwa v117, v118 dst_sel:DWORD dst_unused:UNUSED_PAD src0_sel:WORD_1
	v_accvgpr_write_b32 a0, v114
	v_accvgpr_write_b32 a1, v115
	s_waitcnt lgkmcnt(1)
	v_perm_b32 v34, v34, v54, s61
	v_accvgpr_write_b32 a2, v116
	v_accvgpr_write_b32 a3, v117
	v_add_u32_e32 v114, v159, v177
	ds_read_u16 v111, v179 offset:16896
	v_mfma_f32_16x16x16_f16 a[0:3], v[34:35], v[38:39], a[0:3]
	ds_read_u16 v118, v114 offset:528
	ds_read_u16 v120, v181 offset:1056
	;; [unrolled: 1-line block ×3, first 2 shown]
	s_nop 3
	v_accvgpr_read_b32 v34, a0
	v_cvt_f16_f32_e32 v34, v34
	v_accvgpr_read_b32 v35, a1
	v_accvgpr_read_b32 v54, a2
	;; [unrolled: 1-line block ×3, first 2 shown]
	v_cvt_f16_f32_e32 v35, v35
	v_cvt_f16_f32_e32 v54, v54
	;; [unrolled: 1-line block ×3, first 2 shown]
	v_cvt_f32_f16_e32 v114, v34
	v_cvt_f32_f16_e32 v115, v35
	;; [unrolled: 1-line block ×4, first 2 shown]
	s_waitcnt lgkmcnt(0)
	v_perm_b32 v35, v121, v120, s61
	v_perm_b32 v34, v118, v111, s61
	v_accvgpr_write_b32 a0, v114
	v_accvgpr_write_b32 a1, v115
	v_accvgpr_write_b32 a2, v116
	v_accvgpr_write_b32 a3, v117
	v_cvt_f32_f16_e32 v114, v130
	v_cvt_f32_f16_sdwa v115, v130 dst_sel:DWORD dst_unused:UNUSED_PAD src0_sel:WORD_1
	v_mfma_f32_16x16x16_f16 a[0:3], v[34:35], v[36:37], a[0:3]
	v_cvt_f32_f16_e32 v116, v129
	v_cvt_f32_f16_sdwa v117, v129 dst_sel:DWORD dst_unused:UNUSED_PAD src0_sel:WORD_1
	s_nop 4
	v_accvgpr_read_b32 v34, a0
	v_accvgpr_read_b32 v35, a1
	v_cvt_f16_f32_e32 v34, v34
	v_cvt_f16_f32_e32 v35, v35
	v_accvgpr_read_b32 v54, a2
	v_accvgpr_read_b32 v110, a3
	v_accvgpr_write_b32 a0, v114
	v_pack_b32_f16 v120, v34, v35
	v_add_u32_e32 v34, v160, v177
	ds_read_u16 v34, v34 offset:528
	ds_read_u16 v35, v182 offset:1056
	v_accvgpr_write_b32 a1, v115
	v_accvgpr_write_b32 a2, v116
	;; [unrolled: 1-line block ×3, first 2 shown]
	s_waitcnt lgkmcnt(1)
	v_perm_b32 v34, v34, v109, s61
	s_waitcnt lgkmcnt(0)
	v_perm_b32 v35, v55, v35, s61
	v_cvt_f16_f32_e32 v54, v54
	v_cvt_f16_f32_e32 v110, v110
	v_mfma_f32_16x16x16_f16 a[0:3], v[34:35], v[38:39], a[0:3]
	v_add_u32_e32 v114, v160, v178
	v_pack_b32_f16 v118, v54, v110
	ds_read_u16 v109, v183 offset:16896
	ds_read_u16 v110, v230 offset:528
	;; [unrolled: 1-line block ×3, first 2 shown]
	s_nop 1
	v_accvgpr_read_b32 v34, a0
	v_cvt_f16_f32_e32 v34, v34
	v_accvgpr_read_b32 v35, a1
	v_accvgpr_read_b32 v54, a2
	;; [unrolled: 1-line block ×3, first 2 shown]
	ds_read_u16 v121, v114 offset:16896
	v_cvt_f16_f32_e32 v35, v35
	v_cvt_f16_f32_e32 v54, v54
	v_cvt_f16_f32_e32 v55, v55
	v_cvt_f32_f16_e32 v114, v34
	v_cvt_f32_f16_e32 v115, v35
	v_cvt_f32_f16_e32 v116, v54
	v_cvt_f32_f16_e32 v117, v55
	s_waitcnt lgkmcnt(0)
	v_perm_b32 v35, v121, v111, s61
	v_perm_b32 v34, v110, v109, s61
	v_accvgpr_write_b32 a0, v114
	v_accvgpr_write_b32 a1, v115
	v_accvgpr_write_b32 a2, v116
	v_accvgpr_write_b32 a3, v117
	v_cvt_f32_f16_e32 v114, v133
	v_cvt_f32_f16_sdwa v115, v133 dst_sel:DWORD dst_unused:UNUSED_PAD src0_sel:WORD_1
	v_mfma_f32_16x16x16_f16 a[0:3], v[34:35], v[36:37], a[0:3]
	v_cvt_f32_f16_e32 v116, v132
	v_cvt_f32_f16_sdwa v117, v132 dst_sel:DWORD dst_unused:UNUSED_PAD src0_sel:WORD_1
	s_nop 4
	v_accvgpr_read_b32 v34, a0
	v_accvgpr_read_b32 v35, a1
	v_cvt_f16_f32_e32 v34, v34
	v_cvt_f16_f32_e32 v35, v35
	v_accvgpr_read_b32 v54, a2
	v_accvgpr_read_b32 v55, a3
	v_cvt_f16_f32_e32 v54, v54
	v_cvt_f16_f32_e32 v55, v55
	v_pack_b32_f16 v130, v34, v35
	v_add_u32_e32 v35, v161, v177
	ds_read_u16 v34, v179 offset:64
	v_pack_b32_f16 v129, v54, v55
	ds_read_u16 v54, v35 offset:528
	ds_read_u16 v35, v185 offset:1056
	ds_read_u16 v55, v33 offset:64
	v_accvgpr_write_b32 a0, v114
	v_accvgpr_write_b32 a1, v115
	s_waitcnt lgkmcnt(2)
	v_perm_b32 v34, v54, v34, s61
	v_accvgpr_write_b32 a2, v116
	s_waitcnt lgkmcnt(0)
	v_perm_b32 v35, v55, v35, s61
	v_accvgpr_write_b32 a3, v117
	v_add_u32_e32 v114, v161, v178
	ds_read_u16 v109, v186 offset:16896
	ds_read_u16 v110, v231 offset:528
	ds_read_u16 v111, v187 offset:1056
	v_mfma_f32_16x16x16_f16 a[0:3], v[34:35], v[38:39], a[0:3]
	ds_read_u16 v121, v114 offset:16896
	s_nop 5
	v_accvgpr_read_b32 v34, a0
	v_cvt_f16_f32_e32 v34, v34
	v_accvgpr_read_b32 v35, a1
	v_accvgpr_read_b32 v54, a2
	v_accvgpr_read_b32 v55, a3
	v_cvt_f16_f32_e32 v35, v35
	v_cvt_f16_f32_e32 v54, v54
	v_cvt_f16_f32_e32 v55, v55
	v_cvt_f32_f16_e32 v114, v34
	v_cvt_f32_f16_e32 v115, v35
	v_cvt_f32_f16_e32 v116, v54
	v_cvt_f32_f16_e32 v117, v55
	s_waitcnt lgkmcnt(0)
	v_perm_b32 v35, v121, v111, s61
	v_perm_b32 v34, v110, v109, s61
	v_accvgpr_write_b32 a0, v114
	v_accvgpr_write_b32 a1, v115
	v_accvgpr_write_b32 a2, v116
	v_accvgpr_write_b32 a3, v117
	v_cvt_f32_f16_e32 v114, v135
	v_cvt_f32_f16_sdwa v115, v135 dst_sel:DWORD dst_unused:UNUSED_PAD src0_sel:WORD_1
	v_mfma_f32_16x16x16_f16 a[0:3], v[34:35], v[36:37], a[0:3]
	v_cvt_f32_f16_e32 v116, v134
	v_cvt_f32_f16_sdwa v117, v134 dst_sel:DWORD dst_unused:UNUSED_PAD src0_sel:WORD_1
	s_nop 4
	v_accvgpr_read_b32 v34, a0
	v_accvgpr_read_b32 v35, a1
	v_cvt_f16_f32_e32 v34, v34
	v_cvt_f16_f32_e32 v35, v35
	v_accvgpr_read_b32 v54, a2
	v_accvgpr_read_b32 v55, a3
	v_cvt_f16_f32_e32 v54, v54
	v_cvt_f16_f32_e32 v55, v55
	v_pack_b32_f16 v133, v34, v35
	v_add_u32_e32 v35, v162, v177
	ds_read_u16 v34, v179 offset:96
	v_pack_b32_f16 v132, v54, v55
	ds_read_u16 v54, v35 offset:528
	ds_read_u16 v35, v188 offset:1056
	ds_read_u16 v55, v33 offset:96
	v_accvgpr_write_b32 a0, v114
	v_accvgpr_write_b32 a1, v115
	s_waitcnt lgkmcnt(2)
	v_perm_b32 v34, v54, v34, s61
	v_accvgpr_write_b32 a2, v116
	s_waitcnt lgkmcnt(0)
	v_perm_b32 v35, v55, v35, s61
	v_accvgpr_write_b32 a3, v117
	v_add_u32_e32 v114, v162, v178
	ds_read_u16 v109, v189 offset:16896
	ds_read_u16 v110, v232 offset:528
	ds_read_u16 v111, v190 offset:1056
	v_mfma_f32_16x16x16_f16 a[0:3], v[34:35], v[38:39], a[0:3]
	ds_read_u16 v121, v114 offset:16896
	s_nop 5
	v_accvgpr_read_b32 v34, a0
	v_cvt_f16_f32_e32 v34, v34
	v_accvgpr_read_b32 v35, a1
	v_accvgpr_read_b32 v54, a2
	v_accvgpr_read_b32 v55, a3
	;; [unrolled: 55-line block ×8, first 2 shown]
	v_cvt_f16_f32_e32 v35, v35
	v_cvt_f16_f32_e32 v54, v54
	;; [unrolled: 1-line block ×3, first 2 shown]
	v_cvt_f32_f16_e32 v114, v34
	v_cvt_f32_f16_e32 v115, v35
	v_cvt_f32_f16_e32 v116, v54
	v_cvt_f32_f16_e32 v117, v55
	s_waitcnt lgkmcnt(0)
	v_perm_b32 v35, v121, v111, s61
	v_perm_b32 v34, v110, v109, s61
	v_accvgpr_write_b32 a0, v114
	v_accvgpr_write_b32 a1, v115
	;; [unrolled: 1-line block ×4, first 2 shown]
	v_cvt_f32_f16_e32 v114, v123
	v_cvt_f32_f16_sdwa v115, v123 dst_sel:DWORD dst_unused:UNUSED_PAD src0_sel:WORD_1
	v_mfma_f32_16x16x16_f16 a[0:3], v[34:35], v[36:37], a[0:3]
	v_cvt_f32_f16_e32 v116, v65
	v_cvt_f32_f16_sdwa v117, v65 dst_sel:DWORD dst_unused:UNUSED_PAD src0_sel:WORD_1
	v_add_u32_e32 v111, v171, v178
	s_nop 3
	v_accvgpr_read_b32 v34, a0
	v_accvgpr_read_b32 v35, a1
	v_cvt_f16_f32_e32 v34, v34
	v_cvt_f16_f32_e32 v35, v35
	v_accvgpr_read_b32 v54, a2
	v_accvgpr_read_b32 v55, a3
	v_cvt_f16_f32_e32 v54, v54
	v_cvt_f16_f32_e32 v55, v55
	v_pack_b32_f16 v253, v34, v35
	v_add_u32_e32 v35, v171, v177
	ds_read_u16 v34, v179 offset:320
	v_pack_b32_f16 v252, v54, v55
	ds_read_u16 v35, v35 offset:528
	ds_read_u16 v109, v209 offset:1056
	;; [unrolled: 1-line block ×3, first 2 shown]
	v_accvgpr_write_b32 a0, v114
	v_accvgpr_write_b32 a1, v115
	;; [unrolled: 1-line block ×4, first 2 shown]
	s_waitcnt lgkmcnt(0)
	v_perm_b32 v55, v54, v109, s61
	v_perm_b32 v54, v35, v34, s61
	ds_read_u16 v65, v210 offset:16896
	ds_read_u16 v109, v239 offset:528
	;; [unrolled: 1-line block ×3, first 2 shown]
	v_mfma_f32_16x16x16_f16 a[0:3], v[54:55], v[38:39], a[0:3]
	ds_read_u16 v111, v111 offset:16896
	s_nop 5
	v_accvgpr_read_b32 v34, a0
	v_cvt_f16_f32_e32 v34, v34
	v_accvgpr_read_b32 v35, a1
	v_accvgpr_read_b32 v54, a2
	;; [unrolled: 1-line block ×3, first 2 shown]
	v_cvt_f16_f32_e32 v35, v35
	v_cvt_f16_f32_e32 v54, v54
	;; [unrolled: 1-line block ×3, first 2 shown]
	v_cvt_f32_f16_e32 v114, v34
	v_cvt_f32_f16_e32 v115, v35
	;; [unrolled: 1-line block ×4, first 2 shown]
	s_waitcnt lgkmcnt(0)
	v_perm_b32 v35, v111, v110, s61
	v_perm_b32 v34, v109, v65, s61
	v_accvgpr_write_b32 a0, v114
	v_accvgpr_write_b32 a1, v115
	;; [unrolled: 1-line block ×4, first 2 shown]
	v_cvt_f32_f16_e32 v114, v119
	v_cvt_f32_f16_sdwa v115, v119 dst_sel:DWORD dst_unused:UNUSED_PAD src0_sel:WORD_1
	v_mfma_f32_16x16x16_f16 a[0:3], v[34:35], v[36:37], a[0:3]
	v_cvt_f32_f16_e32 v116, v51
	v_cvt_f32_f16_sdwa v117, v51 dst_sel:DWORD dst_unused:UNUSED_PAD src0_sel:WORD_1
	v_add_u32_e32 v111, v172, v178
	s_nop 3
	v_accvgpr_read_b32 v34, a0
	v_accvgpr_read_b32 v35, a1
	v_cvt_f16_f32_e32 v34, v34
	v_cvt_f16_f32_e32 v35, v35
	v_accvgpr_read_b32 v54, a2
	v_accvgpr_read_b32 v55, a3
	v_cvt_f16_f32_e32 v54, v54
	v_cvt_f16_f32_e32 v55, v55
	v_pack_b32_f16 v65, v34, v35
	v_add_u32_e32 v35, v172, v177
	ds_read_u16 v34, v179 offset:352
	v_pack_b32_f16 v125, v54, v55
	ds_read_u16 v54, v35 offset:528
	ds_read_u16 v35, v212 offset:1056
	;; [unrolled: 1-line block ×3, first 2 shown]
	v_accvgpr_write_b32 a0, v114
	v_accvgpr_write_b32 a1, v115
	s_waitcnt lgkmcnt(2)
	v_perm_b32 v34, v54, v34, s61
	v_accvgpr_write_b32 a2, v116
	s_waitcnt lgkmcnt(0)
	v_perm_b32 v35, v55, v35, s61
	v_accvgpr_write_b32 a3, v117
	ds_read_u16 v55, v213 offset:16896
	ds_read_u16 v109, v240 offset:528
	;; [unrolled: 1-line block ×3, first 2 shown]
	v_mfma_f32_16x16x16_f16 a[0:3], v[34:35], v[38:39], a[0:3]
	ds_read_u16 v111, v111 offset:16896
	s_nop 5
	v_accvgpr_read_b32 v34, a0
	v_cvt_f16_f32_e32 v34, v34
	v_accvgpr_read_b32 v35, a1
	v_accvgpr_read_b32 v51, a2
	;; [unrolled: 1-line block ×3, first 2 shown]
	v_cvt_f16_f32_e32 v35, v35
	v_cvt_f16_f32_e32 v51, v51
	;; [unrolled: 1-line block ×3, first 2 shown]
	v_cvt_f32_f16_e32 v114, v34
	v_cvt_f32_f16_e32 v115, v35
	;; [unrolled: 1-line block ×4, first 2 shown]
	s_waitcnt lgkmcnt(0)
	v_perm_b32 v35, v111, v110, s61
	v_perm_b32 v34, v109, v55, s61
	v_accvgpr_write_b32 a0, v114
	v_accvgpr_write_b32 a1, v115
	;; [unrolled: 1-line block ×4, first 2 shown]
	v_add_u32_e32 v109, v173, v178
	s_nop 0
	v_mfma_f32_16x16x16_f16 a[0:3], v[34:35], v[36:37], a[0:3]
	s_nop 6
	v_accvgpr_read_b32 v34, a0
	v_accvgpr_read_b32 v35, a1
	v_cvt_f16_f32_e32 v34, v34
	v_cvt_f16_f32_e32 v35, v35
	v_accvgpr_read_b32 v51, a2
	v_accvgpr_read_b32 v54, a3
	v_cvt_f16_f32_e32 v51, v51
	v_cvt_f16_f32_e32 v54, v54
	v_pack_b32_f16 v119, v34, v35
	v_add_u32_e32 v35, v173, v177
	ds_read_u16 v34, v179 offset:384
	v_pack_b32_f16 v117, v51, v54
	ds_read_u16 v51, v35 offset:528
	ds_read_u16 v35, v215 offset:1056
	;; [unrolled: 1-line block ×3, first 2 shown]
	v_accvgpr_write_b32 a0, v138
	v_accvgpr_write_b32 a1, v139
	s_waitcnt lgkmcnt(2)
	v_perm_b32 v34, v51, v34, s61
	v_accvgpr_write_b32 a2, v140
	s_waitcnt lgkmcnt(0)
	v_perm_b32 v35, v54, v35, s61
	v_accvgpr_write_b32 a3, v141
	ds_read_u16 v51, v216 offset:16896
	ds_read_u16 v54, v241 offset:528
	;; [unrolled: 1-line block ×3, first 2 shown]
	v_mfma_f32_16x16x16_f16 a[0:3], v[34:35], v[38:39], a[0:3]
	ds_read_u16 v109, v109 offset:16896
	s_nop 5
	v_accvgpr_read_b32 v34, a0
	v_cvt_f16_f32_e32 v34, v34
	v_accvgpr_read_b32 v35, a1
	v_accvgpr_read_b32 v48, a2
	;; [unrolled: 1-line block ×3, first 2 shown]
	v_cvt_f16_f32_e32 v35, v35
	v_cvt_f16_f32_e32 v48, v48
	;; [unrolled: 1-line block ×3, first 2 shown]
	v_cvt_f32_f16_e32 v138, v34
	v_cvt_f32_f16_e32 v139, v35
	;; [unrolled: 1-line block ×4, first 2 shown]
	s_waitcnt lgkmcnt(0)
	v_perm_b32 v35, v109, v55, s61
	v_perm_b32 v34, v54, v51, s61
	v_accvgpr_write_b32 a0, v138
	v_accvgpr_write_b32 a1, v139
	;; [unrolled: 1-line block ×4, first 2 shown]
	v_cvt_f32_f16_e32 v138, v47
	v_cvt_f32_f16_sdwa v139, v47 dst_sel:DWORD dst_unused:UNUSED_PAD src0_sel:WORD_1
	v_mfma_f32_16x16x16_f16 a[0:3], v[34:35], v[36:37], a[0:3]
	v_cvt_f32_f16_e32 v140, v46
	v_cvt_f32_f16_sdwa v141, v46 dst_sel:DWORD dst_unused:UNUSED_PAD src0_sel:WORD_1
	s_nop 4
	v_accvgpr_read_b32 v34, a0
	v_accvgpr_read_b32 v35, a1
	v_cvt_f16_f32_e32 v34, v34
	v_cvt_f16_f32_e32 v35, v35
	v_accvgpr_read_b32 v48, a2
	v_accvgpr_read_b32 v49, a3
	v_cvt_f16_f32_e32 v48, v48
	v_cvt_f16_f32_e32 v49, v49
	v_pack_b32_f16 v116, v34, v35
	v_add_u32_e32 v35, v174, v177
	ds_read_u16 v34, v179 offset:416
	v_pack_b32_f16 v115, v48, v49
	ds_read_u16 v48, v35 offset:528
	ds_read_u16 v35, v218 offset:1056
	;; [unrolled: 1-line block ×3, first 2 shown]
	v_accvgpr_write_b32 a0, v138
	v_accvgpr_write_b32 a1, v139
	s_waitcnt lgkmcnt(2)
	v_perm_b32 v34, v48, v34, s61
	v_accvgpr_write_b32 a2, v140
	s_waitcnt lgkmcnt(0)
	v_perm_b32 v35, v49, v35, s61
	v_accvgpr_write_b32 a3, v141
	ds_read_u16 v51, v219 offset:16896
	ds_read_u16 v54, v242 offset:528
	;; [unrolled: 1-line block ×3, first 2 shown]
	v_mfma_f32_16x16x16_f16 a[0:3], v[34:35], v[38:39], a[0:3]
	s_nop 6
	v_accvgpr_read_b32 v46, a2
	v_cvt_f16_f32_e32 v48, v46
	v_accvgpr_read_b32 v46, a3
	v_accvgpr_read_b32 v34, a0
	v_cvt_f16_f32_e32 v49, v46
	v_add_u32_e32 v46, v174, v178
	v_cvt_f16_f32_e32 v34, v34
	v_accvgpr_read_b32 v35, a1
	ds_read_u16 v109, v46 offset:16896
	v_cvt_f16_f32_e32 v35, v35
	v_cvt_f32_f16_e32 v46, v34
	v_cvt_f32_f16_e32 v48, v48
	;; [unrolled: 1-line block ×4, first 2 shown]
	s_waitcnt lgkmcnt(0)
	v_perm_b32 v35, v109, v55, s61
	v_perm_b32 v34, v54, v51, s61
	v_accvgpr_write_b32 a0, v46
	v_accvgpr_write_b32 a1, v47
	;; [unrolled: 1-line block ×4, first 2 shown]
	v_cvt_f32_f16_e32 v48, v44
	v_cvt_f32_f16_sdwa v49, v44 dst_sel:DWORD dst_unused:UNUSED_PAD src0_sel:WORD_1
	v_mfma_f32_16x16x16_f16 a[0:3], v[34:35], v[36:37], a[0:3]
	s_nop 6
	v_accvgpr_read_b32 v34, a0
	v_accvgpr_read_b32 v35, a1
	v_cvt_f16_f32_e32 v34, v34
	v_cvt_f16_f32_e32 v35, v35
	v_accvgpr_read_b32 v46, a2
	v_accvgpr_read_b32 v47, a3
	v_cvt_f16_f32_e32 v46, v46
	v_pack_b32_f16 v114, v34, v35
	v_add_u32_e32 v35, v175, v177
	v_cvt_f16_f32_e32 v47, v47
	ds_read_u16 v34, v179 offset:448
	ds_read_u16 v51, v35 offset:528
	;; [unrolled: 1-line block ×4, first 2 shown]
	v_pack_b32_f16 v111, v46, v47
	v_cvt_f32_f16_e32 v46, v45
	v_cvt_f32_f16_sdwa v47, v45 dst_sel:DWORD dst_unused:UNUSED_PAD src0_sel:WORD_1
	s_waitcnt lgkmcnt(0)
	v_perm_b32 v35, v54, v35, s61
	v_perm_b32 v34, v51, v34, s61
	v_accvgpr_write_b32 a0, v46
	v_accvgpr_write_b32 a1, v47
	;; [unrolled: 1-line block ×4, first 2 shown]
	ds_read_u16 v48, v222 offset:16896
	ds_read_u16 v49, v243 offset:528
	;; [unrolled: 1-line block ×3, first 2 shown]
	v_mfma_f32_16x16x16_f16 a[0:3], v[34:35], v[38:39], a[0:3]
	s_nop 6
	v_accvgpr_read_b32 v44, a2
	v_cvt_f16_f32_e32 v46, v44
	v_accvgpr_read_b32 v44, a3
	v_accvgpr_read_b32 v34, a0
	v_cvt_f16_f32_e32 v47, v44
	v_add_u32_e32 v44, v175, v178
	v_cvt_f16_f32_e32 v34, v34
	v_accvgpr_read_b32 v35, a1
	ds_read_u16 v54, v44 offset:16896
	v_cvt_f16_f32_e32 v35, v35
	v_cvt_f32_f16_e32 v44, v34
	v_cvt_f32_f16_e32 v46, v46
	;; [unrolled: 1-line block ×4, first 2 shown]
	s_waitcnt lgkmcnt(0)
	v_perm_b32 v35, v54, v51, s61
	v_perm_b32 v34, v49, v48, s61
	v_accvgpr_write_b32 a0, v44
	v_accvgpr_write_b32 a1, v45
	;; [unrolled: 1-line block ×4, first 2 shown]
	v_cvt_f32_f16_e32 v46, v41
	v_cvt_f32_f16_sdwa v47, v41 dst_sel:DWORD dst_unused:UNUSED_PAD src0_sel:WORD_1
	v_mfma_f32_16x16x16_f16 a[0:3], v[34:35], v[36:37], a[0:3]
	s_nop 6
	v_accvgpr_read_b32 v34, a0
	v_accvgpr_read_b32 v35, a1
	v_cvt_f16_f32_e32 v34, v34
	v_cvt_f16_f32_e32 v35, v35
	v_accvgpr_read_b32 v44, a2
	v_accvgpr_read_b32 v45, a3
	v_cvt_f16_f32_e32 v44, v44
	v_pack_b32_f16 v124, v34, v35
	v_add_u32_e32 v35, v176, v177
	v_cvt_f16_f32_e32 v45, v45
	ds_read_u16 v34, v179 offset:480
	ds_read_u16 v48, v35 offset:528
	;; [unrolled: 1-line block ×4, first 2 shown]
	v_pack_b32_f16 v131, v44, v45
	v_cvt_f32_f16_e32 v44, v43
	v_cvt_f32_f16_sdwa v45, v43 dst_sel:DWORD dst_unused:UNUSED_PAD src0_sel:WORD_1
	s_waitcnt lgkmcnt(0)
	v_perm_b32 v35, v33, v35, s61
	v_perm_b32 v34, v48, v34, s61
	v_accvgpr_write_b32 a0, v44
	v_accvgpr_write_b32 a1, v45
	;; [unrolled: 1-line block ×4, first 2 shown]
	v_add_u32_e32 v44, v176, v178
	s_nop 0
	v_mfma_f32_16x16x16_f16 a[0:3], v[34:35], v[38:39], a[0:3]
	ds_read_u16 v39, v225 offset:16896
	ds_read_u16 v41, v244 offset:528
	;; [unrolled: 1-line block ×4, first 2 shown]
	s_waitcnt lgkmcnt(0)
	s_barrier
	s_nop 0
	v_accvgpr_read_b32 v33, a0
	v_cvt_f16_f32_e32 v33, v33
	v_accvgpr_read_b32 v34, a1
	v_accvgpr_read_b32 v35, a2
	;; [unrolled: 1-line block ×3, first 2 shown]
	v_cvt_f16_f32_e32 v34, v34
	v_cvt_f16_f32_e32 v35, v35
	;; [unrolled: 1-line block ×3, first 2 shown]
	v_cvt_f32_f16_e32 v44, v33
	v_cvt_f32_f16_e32 v45, v34
	;; [unrolled: 1-line block ×4, first 2 shown]
	v_perm_b32 v35, v48, v43, s61
	v_perm_b32 v34, v41, v39, s61
	v_accvgpr_write_b32 a0, v44
	v_accvgpr_write_b32 a1, v45
	v_accvgpr_write_b32 a2, v46
	v_accvgpr_write_b32 a3, v47
	s_nop 1
	v_mfma_f32_16x16x16_f16 a[0:3], v[34:35], v[36:37], a[0:3]
	s_nop 6
	v_accvgpr_read_b32 v33, a0
	v_accvgpr_read_b32 v34, a1
	;; [unrolled: 1-line block ×4, first 2 shown]
	v_cvt_f16_f32_e32 v33, v33
	v_cvt_f16_f32_e32 v34, v34
	;; [unrolled: 1-line block ×4, first 2 shown]
	v_pack_b32_f16 v122, v33, v34
	v_pack_b32_f16 v121, v35, v36
	s_cbranch_vccz .LBB30_542
; %bb.539:                              ;   in Loop: Header=BB30_503 Depth=1
	v_mov_b32_e32 v126, v40
	v_mov_b32_e32 v123, v42
	s_andn2_b64 vcc, exec, s[44:45]
	s_ashr_i32 s49, s48, 31
	s_cbranch_vccz .LBB30_498
	s_branch .LBB30_503
.LBB30_540:                             ;   in Loop: Header=BB30_503 Depth=1
                                        ; implicit-def: $vgpr38_vgpr39_vgpr40_vgpr41
                                        ; implicit-def: $vgpr34_vgpr35_vgpr36_vgpr37
	s_branch .LBB30_537
.LBB30_541:
	v_mov_b32_e32 v40, 0
	v_mov_b32_e32 v42, 0xfeffffff
	;; [unrolled: 1-line block ×33, first 2 shown]
	s_branch .LBB30_543
.LBB30_542:
	v_accvgpr_read_b32 v194, a8
	v_accvgpr_read_b32 v137, a9
	;; [unrolled: 1-line block ×21, first 2 shown]
.LBB30_543:
	s_lshl_b32 s16, s52, 6
	v_readlane_b32 s0, v254, 4
	s_sub_i32 s24, s0, s16
	s_cmp_lg_u64 s[42:43], 0
	s_cselect_b64 s[20:21], -1, 0
	s_ashr_i32 s17, s16, 31
	s_cmp_eq_u64 s[42:43], 0
	v_readlane_b32 s1, v254, 5
	s_cbranch_scc1 .LBB30_561
; %bb.544:
	s_lshl_b64 s[0:1], s[16:17], 1
	s_add_u32 s0, s42, s0
	s_addc_u32 s1, s43, s1
	v_mov_b32_e32 v53, 0
	v_cmp_gt_i32_e32 vcc, s24, v64
	v_lshl_add_u64 v[32:33], s[0:1], 0, v[52:53]
	v_mov_b32_e32 v35, 0
	s_and_saveexec_b64 s[0:1], vcc
	s_cbranch_execz .LBB30_546
; %bb.545:
	v_readlane_b32 s4, v254, 10
	v_readlane_b32 s5, v254, 11
	s_nop 0
	v_mul_hi_u32 v34, s4, v36
	v_add_u32_e32 v34, v36, v34
	v_lshrrev_b32_e32 v34, s5, v34
	v_mul_lo_u32 v34, v34, s96
	v_sub_u32_e32 v34, v36, v34
	v_mad_i64_i32 v[34:35], s[4:5], v34, s40, 0
	v_lshl_add_u64 v[34:35], v[34:35], 1, v[32:33]
	flat_load_ushort v35, v[34:35]
.LBB30_546:
	s_or_b64 exec, exec, s[0:1]
	s_movk_i32 s0, 0x90
	v_mad_u32_u24 v34, v194, s0, 0
	v_lshl_add_u32 v36, v64, 1, v34
	s_waitcnt vmcnt(0) lgkmcnt(0)
	ds_write_b16 v36, v35 offset:33792
	s_and_saveexec_b64 s[0:1], vcc
	s_cbranch_execz .LBB30_548
; %bb.547:
	v_readlane_b32 s4, v254, 10
	v_readlane_b32 s5, v254, 11
	s_nop 0
	v_mul_hi_u32 v35, s4, v37
	v_add_u32_e32 v35, v37, v35
	v_lshrrev_b32_e32 v35, s5, v35
	v_mul_lo_u32 v35, v35, s96
	v_sub_u32_e32 v35, v37, v35
	v_mad_i64_i32 v[36:37], s[4:5], v35, s40, 0
	v_lshl_add_u64 v[36:37], v[36:37], 1, v[32:33]
	flat_load_ushort v53, v[36:37]
.LBB30_548:
	s_or_b64 exec, exec, s[0:1]
	v_add_u32_e32 v35, 0x240, v34
	v_lshl_add_u32 v34, v64, 1, v35
	s_waitcnt vmcnt(0) lgkmcnt(0)
	ds_write_b16 v34, v53 offset:33792
	v_mov_b32_e32 v34, 0
	v_mov_b32_e32 v36, 0
	s_and_saveexec_b64 s[0:1], vcc
	s_cbranch_execz .LBB30_550
; %bb.549:
	v_readlane_b32 s4, v254, 10
	v_readlane_b32 s5, v254, 11
	s_nop 0
	v_mul_hi_u32 v36, s4, v38
	v_add_u32_e32 v36, v38, v36
	v_lshrrev_b32_e32 v36, s5, v36
	v_mul_lo_u32 v36, v36, s96
	v_sub_u32_e32 v36, v38, v36
	v_mad_i64_i32 v[36:37], s[4:5], v36, s40, 0
	v_lshl_add_u64 v[36:37], v[36:37], 1, v[32:33]
	flat_load_ushort v36, v[36:37]
.LBB30_550:
	s_or_b64 exec, exec, s[0:1]
	v_add_u32_e32 v35, 0x240, v35
	v_lshl_add_u32 v37, v64, 1, v35
	s_waitcnt vmcnt(0) lgkmcnt(0)
	ds_write_b16 v37, v36 offset:33792
	s_and_saveexec_b64 s[0:1], vcc
	s_cbranch_execz .LBB30_552
; %bb.551:
	v_readlane_b32 s4, v254, 10
	v_readlane_b32 s5, v254, 11
	s_nop 0
	v_mul_hi_u32 v34, s4, v39
	v_add_u32_e32 v34, v39, v34
	v_lshrrev_b32_e32 v34, s5, v34
	v_mul_lo_u32 v34, v34, s96
	v_sub_u32_e32 v34, v39, v34
	v_mad_i64_i32 v[36:37], s[4:5], v34, s40, 0
	v_lshl_add_u64 v[36:37], v[36:37], 1, v[32:33]
	flat_load_ushort v34, v[36:37]
.LBB30_552:
	s_or_b64 exec, exec, s[0:1]
	v_add_u32_e32 v35, 0x240, v35
	v_lshl_add_u32 v36, v64, 1, v35
	s_waitcnt vmcnt(0) lgkmcnt(0)
	ds_write_b16 v36, v34 offset:33792
	v_mov_b32_e32 v34, 0
	v_mov_b32_e32 v36, 0
	s_and_saveexec_b64 s[0:1], vcc
	s_cbranch_execz .LBB30_554
; %bb.553:
	v_readlane_b32 s4, v254, 10
	v_readlane_b32 s5, v254, 11
	s_nop 0
	v_mul_hi_u32 v36, s4, v41
	v_add_u32_e32 v36, v41, v36
	v_lshrrev_b32_e32 v36, s5, v36
	v_mul_lo_u32 v36, v36, s96
	v_sub_u32_e32 v36, v41, v36
	v_mad_i64_i32 v[36:37], s[4:5], v36, s40, 0
	v_lshl_add_u64 v[36:37], v[36:37], 1, v[32:33]
	flat_load_ushort v36, v[36:37]
.LBB30_554:
	s_or_b64 exec, exec, s[0:1]
	v_add_u32_e32 v35, 0x240, v35
	;; [unrolled: 42-line block ×3, first 2 shown]
	v_lshl_add_u32 v35, v64, 1, v35
	s_waitcnt vmcnt(0) lgkmcnt(0)
	ds_write_b16 v35, v36 offset:33792
	s_and_saveexec_b64 s[0:1], vcc
	s_cbranch_execz .LBB30_560
; %bb.559:
	v_readlane_b32 s4, v254, 10
	v_readlane_b32 s5, v254, 11
	s_nop 0
	v_mul_hi_u32 v34, s4, v46
	v_add_u32_e32 v34, v46, v34
	v_lshrrev_b32_e32 v34, s5, v34
	v_mul_lo_u32 v34, v34, s96
	v_sub_u32_e32 v34, v46, v34
	v_mad_i64_i32 v[36:37], s[4:5], v34, s40, 0
	v_lshl_add_u64 v[32:33], v[36:37], 1, v[32:33]
	flat_load_ushort v34, v[32:33]
.LBB30_560:
	s_or_b64 exec, exec, s[0:1]
	s_waitcnt vmcnt(0) lgkmcnt(0)
	ds_write_b16 v35, v34 offset:34368
.LBB30_561:
	s_mul_hi_i32 s1, s16, s78
	s_mul_i32 s0, s16, s78
	v_mov_b32_e32 v36, 0
	s_lshl_b64 s[0:1], s[0:1], 2
	v_mov_b32_e32 v37, v36
	v_mov_b32_e32 v38, v36
	;; [unrolled: 1-line block ×3, first 2 shown]
	v_lshl_add_u32 v34, v194, 1, v47
	s_add_u32 s4, s2, s0
	scratch_store_dwordx4 off, v[36:39], off
	s_addc_u32 s5, s53, s1
	v_and_b32_e32 v32, 0x7c, v140
	v_mul_lo_u32 v38, s78, v34
	v_ashrrev_i32_e32 v39, 31, v38
	s_mov_b64 s[0:1], src_private_base
	v_lshlrev_b32_e32 v32, 2, v32
	v_lshl_add_u64 v[44:45], v[38:39], 2, s[4:5]
	v_mov_b32_e32 v33, v36
	v_lshl_add_u64 v[36:37], v[44:45], 0, v[32:33]
	v_mov_b32_e32 v35, s1
	v_cmp_gt_i32_e64 s[14:15], s24, v34
	v_mov_b32_e32 v41, 0
	s_lshl_b32 s2, s78, 3
	v_cndmask_b32_e64 v37, v35, v37, s[14:15]
	v_cndmask_b32_e64 v36, v41, v36, s[14:15]
	flat_load_dwordx4 v[44:47], v[36:37]
	v_add_u32_e32 v38, s2, v38
	v_ashrrev_i32_e32 v39, 31, v38
	v_mul_u32_u24_e32 v36, 0x210, v34
	v_add_u32_e32 v37, 8, v34
	v_lshl_add_u64 v[48:49], v[38:39], 2, s[4:5]
	v_add3_u32 v36, 0, v36, v32
	v_lshl_add_u64 v[48:49], v[48:49], 0, v[32:33]
	v_cmp_gt_i32_e64 s[8:9], s24, v37
	v_add_u32_e32 v38, s2, v38
	v_ashrrev_i32_e32 v39, 31, v38
	v_cndmask_b32_e64 v49, v35, v49, s[8:9]
	v_cndmask_b32_e64 v48, v41, v48, s[8:9]
	v_add_u32_e32 v37, 16, v34
	v_cmp_gt_i32_e64 s[10:11], s24, v37
	v_add_u32_e32 v37, 24, v34
	v_cmp_gt_i32_e64 s[12:13], s24, v37
	;; [unrolled: 2-line block ×5, first 2 shown]
	v_add_u32_e32 v37, 56, v34
	s_waitcnt vmcnt(0) lgkmcnt(0)
	ds_write_b128 v36, v[44:47]
	flat_load_dwordx4 v[44:47], v[48:49]
	v_lshl_add_u64 v[48:49], v[38:39], 2, s[4:5]
	v_lshl_add_u64 v[48:49], v[48:49], 0, v[32:33]
	v_cndmask_b32_e64 v49, v35, v49, s[10:11]
	v_cndmask_b32_e64 v48, v41, v48, s[10:11]
	v_add_u32_e32 v38, s2, v38
	v_ashrrev_i32_e32 v39, 31, v38
	s_waitcnt vmcnt(0) lgkmcnt(0)
	ds_write_b128 v36, v[44:47] offset:4224
	flat_load_dwordx4 v[44:47], v[48:49]
	v_lshl_add_u64 v[48:49], v[38:39], 2, s[4:5]
	v_lshl_add_u64 v[48:49], v[48:49], 0, v[32:33]
	v_cndmask_b32_e64 v49, v35, v49, s[12:13]
	v_cndmask_b32_e64 v48, v41, v48, s[12:13]
	v_add_u32_e32 v38, s2, v38
	v_ashrrev_i32_e32 v39, 31, v38
	s_waitcnt vmcnt(0) lgkmcnt(0)
	ds_write_b128 v36, v[44:47] offset:8448
	flat_load_dwordx4 v[44:47], v[48:49]
	v_lshl_add_u64 v[48:49], v[38:39], 2, s[4:5]
	v_lshl_add_u64 v[48:49], v[48:49], 0, v[32:33]
	v_cndmask_b32_e64 v49, v35, v49, s[6:7]
	v_cndmask_b32_e64 v48, v41, v48, s[6:7]
	v_add_u32_e32 v38, s2, v38
	v_ashrrev_i32_e32 v39, 31, v38
	s_waitcnt vmcnt(0) lgkmcnt(0)
	ds_write_b128 v36, v[44:47] offset:12672
	flat_load_dwordx4 v[44:47], v[48:49]
	v_lshl_add_u64 v[48:49], v[38:39], 2, s[4:5]
	v_lshl_add_u64 v[48:49], v[48:49], 0, v[32:33]
	v_cndmask_b32_e64 v49, v35, v49, s[18:19]
	v_cndmask_b32_e64 v48, v41, v48, s[18:19]
	v_add_u32_e32 v38, s2, v38
	v_ashrrev_i32_e32 v39, 31, v38
	s_waitcnt vmcnt(0) lgkmcnt(0)
	ds_write_b128 v36, v[44:47] offset:16896
	flat_load_dwordx4 v[44:47], v[48:49]
	v_lshl_add_u64 v[48:49], v[38:39], 2, s[4:5]
	v_lshl_add_u64 v[48:49], v[48:49], 0, v[32:33]
	v_cndmask_b32_e64 v49, v35, v49, s[0:1]
	v_cndmask_b32_e64 v48, v41, v48, s[0:1]
	v_add_u32_e32 v38, s2, v38
	v_ashrrev_i32_e32 v39, 31, v38
	v_lshl_add_u64 v[38:39], v[38:39], 2, s[4:5]
	v_lshl_add_u64 v[38:39], v[38:39], 0, v[32:33]
	v_cmp_gt_i32_e64 s[4:5], s24, v37
	v_and_b32_e32 v33, 16, v137
	v_mul_u32_u24_e32 v37, 0x210, v33
	v_cndmask_b32_e64 v39, v35, v39, s[4:5]
	v_cndmask_b32_e64 v38, v41, v38, s[4:5]
	v_add_u32_e32 v35, 0, v54
	v_add3_u32 v35, v35, v55, v37
	v_add_u32_e32 v37, 0x4000, v35
	s_mov_b32 s2, 0x3f200000
	s_waitcnt vmcnt(0) lgkmcnt(0)
	ds_write_b128 v36, v[44:47] offset:21120
	flat_load_dwordx4 v[44:47], v[48:49]
	s_waitcnt vmcnt(0) lgkmcnt(0)
	ds_write_b128 v36, v[44:47] offset:25344
	flat_load_dwordx4 v[44:47], v[38:39]
	s_waitcnt vmcnt(0) lgkmcnt(0)
	ds_write_b128 v36, v[44:47] offset:29568
	s_waitcnt lgkmcnt(0)
	s_barrier
	ds_read2_b64 v[44:47], v35 offset1:4
	ds_read2_b64 v[52:55], v37 offset0:64 offset1:68
	s_waitcnt lgkmcnt(1)
	v_mfma_f32_16x16x16_f16 a[0:3], v[44:45], v[28:29], 0
	s_waitcnt lgkmcnt(0)
	v_mfma_f32_16x16x16_f16 a[4:7], v[52:53], v[28:29], 0
	v_mfma_f32_16x16x16_f16 a[0:3], v[46:47], v[30:31], a[0:3]
	ds_read2_b64 v[44:47], v37 offset0:72 offset1:76
	v_mfma_f32_16x16x16_f16 a[4:7], v[54:55], v[30:31], a[4:7]
	ds_read2_b64 v[28:31], v35 offset0:8 offset1:12
	s_waitcnt lgkmcnt(0)
	v_mfma_f32_16x16x16_f16 a[0:3], v[28:29], v[24:25], a[0:3]
	v_mfma_f32_16x16x16_f16 a[4:7], v[44:45], v[24:25], a[4:7]
	v_mfma_f32_16x16x16_f16 a[0:3], v[30:31], v[26:27], a[0:3]
	ds_read2_b64 v[28:31], v37 offset0:80 offset1:84
	v_mfma_f32_16x16x16_f16 a[4:7], v[46:47], v[26:27], a[4:7]
	ds_read2_b64 v[24:27], v35 offset0:16 offset1:20
	s_waitcnt lgkmcnt(0)
	v_mfma_f32_16x16x16_f16 a[0:3], v[24:25], v[20:21], a[0:3]
	;; [unrolled: 7-line block ×6, first 2 shown]
	v_mfma_f32_16x16x16_f16 a[4:7], v[12:13], v[4:5], a[4:7]
                                        ; implicit-def: $vgpr12
	v_mfma_f32_16x16x16_f16 a[0:3], v[10:11], v[6:7], a[0:3]
	ds_read2_b64 v[8:11], v37 offset0:120 offset1:124
	v_mfma_f32_16x16x16_f16 a[4:7], v[14:15], v[6:7], a[4:7]
	ds_read2_b64 v[4:7], v35 offset0:56 offset1:60
	s_waitcnt lgkmcnt(0)
	s_barrier
	v_mfma_f32_16x16x16_f16 a[0:3], v[4:5], v[0:1], a[0:3]
	v_mfma_f32_16x16x16_f16 a[8:11], v[8:9], v[0:1], a[4:7]
	v_mfma_f32_16x16x16_f16 a[4:7], v[6:7], v[2:3], a[0:3]
	v_mfma_f32_16x16x16_f16 a[0:3], v[10:11], v[2:3], a[8:11]
	s_nop 5
	v_accvgpr_read_b32 v11, a4
	v_cmp_nlt_f32_e64 s[22:23], |v11|, s2
	s_and_saveexec_b64 s[26:27], s[22:23]
	s_xor_b64 s[22:23], exec, s[26:27]
	s_cbranch_execz .LBB30_563
; %bb.562:
	v_add_f32_e64 v0, |v11|, |v11|
	v_mul_f32_e32 v1, 0x3fb8aa3b, v0
	s_mov_b32 s2, 0x3fb8aa3b
	v_rndne_f32_e32 v2, v1
	v_sub_f32_e32 v3, v1, v2
	v_fma_f32 v1, v0, s2, -v1
	v_fmamk_f32 v1, v0, 0x32a5705f, v1
	v_add_f32_e32 v1, v3, v1
	v_exp_f32_e32 v1, v1
	v_cvt_i32_f32_e32 v2, v2
	s_mov_b32 s2, 0xc2ce8ed0
	v_cmp_ngt_f32_e32 vcc, s2, v0
	s_mov_b32 s2, 0x42b17218
	v_ldexp_f32 v1, v1, v2
	v_cndmask_b32_e32 v1, 0, v1, vcc
	v_mov_b32_e32 v2, 0x7f800000
	v_cmp_nlt_f32_e32 vcc, s2, v0
	s_nop 1
	v_cndmask_b32_e32 v0, v2, v1, vcc
	v_add_f32_e32 v0, 1.0, v0
	v_rcp_f32_e32 v0, v0
	s_nop 0
	v_fma_f32 v12, v0, -2.0, 1.0
.LBB30_563:
	s_or_saveexec_b64 s[22:23], s[22:23]
	v_accvgpr_read_b32 v0, a4
	v_accvgpr_read_b32 v1, a5
	v_accvgpr_read_b32 v2, a6
	v_accvgpr_read_b32 v3, a7
	s_xor_b64 exec, exec, s[22:23]
; %bb.564:
	v_mul_f32_e32 v0, v11, v11
	v_mov_b32_e32 v4, 0x3ca908c9
	v_fmac_f32_e32 v4, 0xbbbac73d, v0
	v_fmaak_f32 v4, v0, v4, 0xbd5c1c4e
	v_fmaak_f32 v4, v0, v4, 0x3e088382
	v_fmaak_f32 v4, v0, v4, 0xbeaaaa99
	v_mul_f32_e64 v4, |v11|, v4
	v_fma_f32 v12, v0, v4, |v11|
; %bb.565:
	s_or_b64 exec, exec, s[22:23]
	s_mov_b32 s2, 0x3f200000
	v_cmp_nlt_f32_e64 s[22:23], |v1|, s2
                                        ; implicit-def: $vgpr0
	s_and_saveexec_b64 s[26:27], s[22:23]
	s_xor_b64 s[22:23], exec, s[26:27]
	s_cbranch_execz .LBB30_567
; %bb.566:
	v_add_f32_e64 v0, |v1|, |v1|
	v_mul_f32_e32 v4, 0x3fb8aa3b, v0
	s_mov_b32 s2, 0x3fb8aa3b
	v_rndne_f32_e32 v5, v4
	v_sub_f32_e32 v6, v4, v5
	v_fma_f32 v4, v0, s2, -v4
	v_fmamk_f32 v4, v0, 0x32a5705f, v4
	v_add_f32_e32 v4, v6, v4
	v_exp_f32_e32 v4, v4
	v_cvt_i32_f32_e32 v5, v5
	s_mov_b32 s2, 0xc2ce8ed0
	v_cmp_ngt_f32_e32 vcc, s2, v0
	s_mov_b32 s2, 0x42b17218
	v_ldexp_f32 v4, v4, v5
	v_cndmask_b32_e32 v4, 0, v4, vcc
	v_mov_b32_e32 v5, 0x7f800000
	v_cmp_nlt_f32_e32 vcc, s2, v0
	s_nop 1
	v_cndmask_b32_e32 v0, v5, v4, vcc
	v_add_f32_e32 v0, 1.0, v0
	v_rcp_f32_e32 v0, v0
	s_nop 0
	v_fma_f32 v0, v0, -2.0, 1.0
.LBB30_567:
	s_andn2_saveexec_b64 s[22:23], s[22:23]
; %bb.568:
	v_mul_f32_e32 v0, v1, v1
	v_mov_b32_e32 v4, 0x3ca908c9
	v_fmac_f32_e32 v4, 0xbbbac73d, v0
	v_fmaak_f32 v4, v0, v4, 0xbd5c1c4e
	v_fmaak_f32 v4, v0, v4, 0x3e088382
	;; [unrolled: 1-line block ×3, first 2 shown]
	v_mul_f32_e64 v4, |v1|, v4
	v_fma_f32 v0, v0, v4, |v1|
; %bb.569:
	s_or_b64 exec, exec, s[22:23]
	s_mov_b32 s2, 0x3f200000
	v_cmp_nlt_f32_e64 s[22:23], |v2|, s2
                                        ; implicit-def: $vgpr14
	s_and_saveexec_b64 s[26:27], s[22:23]
	s_xor_b64 s[22:23], exec, s[26:27]
	s_cbranch_execz .LBB30_571
; %bb.570:
	v_add_f32_e64 v4, |v2|, |v2|
	v_mul_f32_e32 v5, 0x3fb8aa3b, v4
	s_mov_b32 s2, 0x3fb8aa3b
	v_rndne_f32_e32 v6, v5
	v_sub_f32_e32 v7, v5, v6
	v_fma_f32 v5, v4, s2, -v5
	v_fmamk_f32 v5, v4, 0x32a5705f, v5
	v_add_f32_e32 v5, v7, v5
	v_exp_f32_e32 v5, v5
	v_cvt_i32_f32_e32 v6, v6
	s_mov_b32 s2, 0xc2ce8ed0
	v_cmp_ngt_f32_e32 vcc, s2, v4
	s_mov_b32 s2, 0x42b17218
	v_ldexp_f32 v5, v5, v6
	v_cndmask_b32_e32 v5, 0, v5, vcc
	v_mov_b32_e32 v6, 0x7f800000
	v_cmp_nlt_f32_e32 vcc, s2, v4
	s_nop 1
	v_cndmask_b32_e32 v4, v6, v5, vcc
	v_add_f32_e32 v4, 1.0, v4
	v_rcp_f32_e32 v4, v4
	s_nop 0
	v_fma_f32 v14, v4, -2.0, 1.0
.LBB30_571:
	s_andn2_saveexec_b64 s[22:23], s[22:23]
; %bb.572:
	v_mul_f32_e32 v4, v2, v2
	v_mov_b32_e32 v5, 0x3ca908c9
	v_fmac_f32_e32 v5, 0xbbbac73d, v4
	v_fmaak_f32 v5, v4, v5, 0xbd5c1c4e
	v_fmaak_f32 v5, v4, v5, 0x3e088382
	;; [unrolled: 1-line block ×3, first 2 shown]
	v_mul_f32_e64 v5, |v2|, v5
	v_fma_f32 v14, v4, v5, |v2|
; %bb.573:
	s_or_b64 exec, exec, s[22:23]
	s_mov_b32 s2, 0x3f200000
	v_cmp_nlt_f32_e64 s[22:23], |v3|, s2
                                        ; implicit-def: $vgpr15
	s_and_saveexec_b64 s[26:27], s[22:23]
	s_xor_b64 s[22:23], exec, s[26:27]
	s_cbranch_execz .LBB30_575
; %bb.574:
	v_add_f32_e64 v4, |v3|, |v3|
	v_mul_f32_e32 v5, 0x3fb8aa3b, v4
	s_mov_b32 s2, 0x3fb8aa3b
	v_rndne_f32_e32 v6, v5
	v_sub_f32_e32 v7, v5, v6
	v_fma_f32 v5, v4, s2, -v5
	v_fmamk_f32 v5, v4, 0x32a5705f, v5
	v_add_f32_e32 v5, v7, v5
	v_exp_f32_e32 v5, v5
	v_cvt_i32_f32_e32 v6, v6
	s_mov_b32 s2, 0xc2ce8ed0
	v_cmp_ngt_f32_e32 vcc, s2, v4
	s_mov_b32 s2, 0x42b17218
	v_ldexp_f32 v5, v5, v6
	v_cndmask_b32_e32 v5, 0, v5, vcc
	v_mov_b32_e32 v6, 0x7f800000
	v_cmp_nlt_f32_e32 vcc, s2, v4
	s_nop 1
	v_cndmask_b32_e32 v4, v6, v5, vcc
	v_add_f32_e32 v4, 1.0, v4
	v_rcp_f32_e32 v4, v4
	s_nop 0
	v_fma_f32 v15, v4, -2.0, 1.0
.LBB30_575:
	s_or_saveexec_b64 s[22:23], s[22:23]
	v_accvgpr_read_b32 v7, a3
	v_accvgpr_read_b32 v6, a2
	;; [unrolled: 1-line block ×4, first 2 shown]
	s_xor_b64 exec, exec, s[22:23]
; %bb.576:
	v_mul_f32_e32 v8, v3, v3
	v_mov_b32_e32 v9, 0x3ca908c9
	v_fmac_f32_e32 v9, 0xbbbac73d, v8
	v_fmaak_f32 v9, v8, v9, 0xbd5c1c4e
	v_fmaak_f32 v9, v8, v9, 0x3e088382
	;; [unrolled: 1-line block ×3, first 2 shown]
	v_mul_f32_e64 v9, |v3|, v9
	v_fma_f32 v15, v8, v9, |v3|
; %bb.577:
	s_or_b64 exec, exec, s[22:23]
	s_mov_b32 s2, 0x3f200000
	v_cmp_nlt_f32_e64 s[22:23], |v4|, s2
                                        ; implicit-def: $vgpr8
	s_and_saveexec_b64 s[26:27], s[22:23]
	s_xor_b64 s[22:23], exec, s[26:27]
	s_cbranch_execz .LBB30_579
; %bb.578:
	v_add_f32_e64 v8, |v4|, |v4|
	v_mul_f32_e32 v9, 0x3fb8aa3b, v8
	s_mov_b32 s2, 0x3fb8aa3b
	v_rndne_f32_e32 v10, v9
	v_sub_f32_e32 v13, v9, v10
	v_fma_f32 v9, v8, s2, -v9
	v_fmamk_f32 v9, v8, 0x32a5705f, v9
	v_add_f32_e32 v9, v13, v9
	v_exp_f32_e32 v9, v9
	v_cvt_i32_f32_e32 v10, v10
	s_mov_b32 s2, 0xc2ce8ed0
	v_cmp_ngt_f32_e32 vcc, s2, v8
	s_mov_b32 s2, 0x42b17218
	v_ldexp_f32 v9, v9, v10
	v_cndmask_b32_e32 v9, 0, v9, vcc
	v_mov_b32_e32 v10, 0x7f800000
	v_cmp_nlt_f32_e32 vcc, s2, v8
	s_nop 1
	v_cndmask_b32_e32 v8, v10, v9, vcc
	v_add_f32_e32 v8, 1.0, v8
	v_rcp_f32_e32 v8, v8
	s_nop 0
	v_fma_f32 v8, v8, -2.0, 1.0
.LBB30_579:
	s_andn2_saveexec_b64 s[22:23], s[22:23]
; %bb.580:
	v_mul_f32_e32 v8, v4, v4
	v_mov_b32_e32 v9, 0x3ca908c9
	v_fmac_f32_e32 v9, 0xbbbac73d, v8
	v_fmaak_f32 v9, v8, v9, 0xbd5c1c4e
	v_fmaak_f32 v9, v8, v9, 0x3e088382
	;; [unrolled: 1-line block ×3, first 2 shown]
	v_mul_f32_e64 v9, |v4|, v9
	v_fma_f32 v8, v8, v9, |v4|
; %bb.581:
	s_or_b64 exec, exec, s[22:23]
	s_mov_b32 s2, 0x3f200000
	v_cmp_nlt_f32_e64 s[22:23], |v5|, s2
                                        ; implicit-def: $vgpr9
	s_and_saveexec_b64 s[26:27], s[22:23]
	s_xor_b64 s[22:23], exec, s[26:27]
	s_cbranch_execz .LBB30_583
; %bb.582:
	v_add_f32_e64 v9, |v5|, |v5|
	v_mul_f32_e32 v10, 0x3fb8aa3b, v9
	s_mov_b32 s2, 0x3fb8aa3b
	v_rndne_f32_e32 v13, v10
	v_sub_f32_e32 v16, v10, v13
	v_fma_f32 v10, v9, s2, -v10
	v_fmamk_f32 v10, v9, 0x32a5705f, v10
	v_add_f32_e32 v10, v16, v10
	v_exp_f32_e32 v10, v10
	v_cvt_i32_f32_e32 v13, v13
	s_mov_b32 s2, 0xc2ce8ed0
	v_cmp_ngt_f32_e32 vcc, s2, v9
	s_mov_b32 s2, 0x42b17218
	v_ldexp_f32 v10, v10, v13
	v_cndmask_b32_e32 v10, 0, v10, vcc
	v_mov_b32_e32 v13, 0x7f800000
	v_cmp_nlt_f32_e32 vcc, s2, v9
	s_nop 1
	v_cndmask_b32_e32 v9, v13, v10, vcc
	v_add_f32_e32 v9, 1.0, v9
	v_rcp_f32_e32 v9, v9
	s_nop 0
	v_fma_f32 v9, v9, -2.0, 1.0
.LBB30_583:
	s_andn2_saveexec_b64 s[22:23], s[22:23]
; %bb.584:
	v_mul_f32_e32 v9, v5, v5
	v_mov_b32_e32 v10, 0x3ca908c9
	v_fmac_f32_e32 v10, 0xbbbac73d, v9
	v_fmaak_f32 v10, v9, v10, 0xbd5c1c4e
	v_fmaak_f32 v10, v9, v10, 0x3e088382
	;; [unrolled: 1-line block ×3, first 2 shown]
	v_mul_f32_e64 v10, |v5|, v10
	v_fma_f32 v9, v9, v10, |v5|
; %bb.585:
	s_or_b64 exec, exec, s[22:23]
	s_mov_b32 s2, 0x3f200000
	v_cmp_nlt_f32_e64 s[22:23], |v6|, s2
                                        ; implicit-def: $vgpr10
	s_and_saveexec_b64 s[26:27], s[22:23]
	s_xor_b64 s[22:23], exec, s[26:27]
	s_cbranch_execz .LBB30_587
; %bb.586:
	v_add_f32_e64 v10, |v6|, |v6|
	v_mul_f32_e32 v13, 0x3fb8aa3b, v10
	s_mov_b32 s2, 0x3fb8aa3b
	v_rndne_f32_e32 v16, v13
	v_sub_f32_e32 v17, v13, v16
	v_fma_f32 v13, v10, s2, -v13
	v_fmamk_f32 v13, v10, 0x32a5705f, v13
	v_add_f32_e32 v13, v17, v13
	v_exp_f32_e32 v13, v13
	v_cvt_i32_f32_e32 v16, v16
	s_mov_b32 s2, 0xc2ce8ed0
	v_cmp_ngt_f32_e32 vcc, s2, v10
	s_mov_b32 s2, 0x42b17218
	v_ldexp_f32 v13, v13, v16
	v_cndmask_b32_e32 v13, 0, v13, vcc
	v_mov_b32_e32 v16, 0x7f800000
	v_cmp_nlt_f32_e32 vcc, s2, v10
	s_nop 1
	v_cndmask_b32_e32 v10, v16, v13, vcc
	v_add_f32_e32 v10, 1.0, v10
	v_rcp_f32_e32 v10, v10
	s_nop 0
	v_fma_f32 v10, v10, -2.0, 1.0
.LBB30_587:
	s_andn2_saveexec_b64 s[22:23], s[22:23]
; %bb.588:
	v_mul_f32_e32 v10, v6, v6
	v_mov_b32_e32 v13, 0x3ca908c9
	v_fmac_f32_e32 v13, 0xbbbac73d, v10
	v_fmaak_f32 v13, v10, v13, 0xbd5c1c4e
	v_fmaak_f32 v13, v10, v13, 0x3e088382
	;; [unrolled: 1-line block ×3, first 2 shown]
	v_mul_f32_e64 v13, |v6|, v13
	v_fma_f32 v10, v10, v13, |v6|
; %bb.589:
	s_or_b64 exec, exec, s[22:23]
	s_mov_b32 s2, 0x3f200000
	v_cmp_nlt_f32_e64 s[22:23], |v7|, s2
                                        ; implicit-def: $vgpr16
	s_and_saveexec_b64 s[26:27], s[22:23]
	s_xor_b64 s[22:23], exec, s[26:27]
	s_cbranch_execz .LBB30_591
; %bb.590:
	v_add_f32_e64 v13, |v7|, |v7|
	v_mul_f32_e32 v16, 0x3fb8aa3b, v13
	s_mov_b32 s2, 0x3fb8aa3b
	v_rndne_f32_e32 v17, v16
	v_sub_f32_e32 v18, v16, v17
	v_fma_f32 v16, v13, s2, -v16
	v_fmamk_f32 v16, v13, 0x32a5705f, v16
	v_add_f32_e32 v16, v18, v16
	v_exp_f32_e32 v16, v16
	v_cvt_i32_f32_e32 v17, v17
	s_mov_b32 s2, 0xc2ce8ed0
	v_cmp_ngt_f32_e32 vcc, s2, v13
	s_mov_b32 s2, 0x42b17218
	v_ldexp_f32 v16, v16, v17
	v_cndmask_b32_e32 v16, 0, v16, vcc
	v_mov_b32_e32 v17, 0x7f800000
	v_cmp_nlt_f32_e32 vcc, s2, v13
	s_nop 1
	v_cndmask_b32_e32 v13, v17, v16, vcc
	v_add_f32_e32 v13, 1.0, v13
	v_rcp_f32_e32 v13, v13
	s_nop 0
	v_fma_f32 v16, v13, -2.0, 1.0
.LBB30_591:
	s_andn2_saveexec_b64 s[22:23], s[22:23]
; %bb.592:
	v_mul_f32_e32 v13, v7, v7
	v_mov_b32_e32 v16, 0x3ca908c9
	v_fmac_f32_e32 v16, 0xbbbac73d, v13
	v_fmaak_f32 v16, v13, v16, 0xbd5c1c4e
	v_fmaak_f32 v16, v13, v16, 0x3e088382
	;; [unrolled: 1-line block ×3, first 2 shown]
	v_mul_f32_e64 v16, |v7|, v16
	v_fma_f32 v16, v13, v16, |v7|
; %bb.593:
	s_or_b64 exec, exec, s[22:23]
	s_brev_b32 s2, -2
	v_bfi_b32 v4, s2, v8, v4
	v_bfi_b32 v0, s2, v0, v1
	v_mul_f32_e32 v8, s3, v4
	v_bfi_b32 v4, s2, v9, v5
	v_mul_f32_e32 v13, s3, v0
	v_bfi_b32 v0, s2, v14, v2
	v_mul_f32_e32 v9, s3, v4
	v_bfi_b32 v4, s2, v10, v6
	v_mul_f32_e32 v14, s3, v0
	v_bfi_b32 v0, s2, v15, v3
	v_mul_f32_e32 v10, s3, v4
	v_bfi_b32 v4, s2, v12, v11
	v_mul_f32_e32 v15, s3, v0
	v_bfi_b32 v0, s2, v16, v7
	v_mul_f32_e32 v12, s3, v4
	v_mul_f32_e32 v11, s3, v0
	s_and_b64 vcc, exec, s[20:21]
	s_cbranch_vccz .LBB30_595
; %bb.594:
	v_lshrrev_b32_e32 v19, 2, v64
	v_and_b32_e32 v18, 0xfc, v19
	v_add_u16_e32 v0, v33, v18
	v_add_u32_e32 v16, v33, v18
	s_movk_i32 s2, 0x90
	v_lshrrev_b16_e32 v0, 1, v0
	v_mad_u32_u24 v2, v43, s2, 0
	v_lshlrev_b32_e32 v0, 2, v0
	s_mov_b32 s2, 0x8400
	v_add_u32_e32 v39, 32, v16
	v_add_u32_e32 v41, 34, v16
	v_add3_u32 v0, v2, v0, s2
	v_lshl_add_u32 v3, v39, 1, v2
	v_lshl_add_u32 v2, v41, 1, v2
	ds_read2_b32 v[0:1], v0 offset1:1
	ds_read_b32 v3, v3 offset:33792
	ds_read_b32 v2, v2 offset:33792
	s_mov_b64 s[2:3], 0
	s_waitcnt lgkmcnt(2)
	v_cvt_f32_f16_e32 v4, v0
	v_cvt_f32_f16_sdwa v5, v0 dst_sel:DWORD dst_unused:UNUSED_PAD src0_sel:WORD_1
	v_cvt_f32_f16_e32 v0, v1
	v_cvt_f32_f16_sdwa v1, v1 dst_sel:DWORD dst_unused:UNUSED_PAD src0_sel:WORD_1
	s_waitcnt lgkmcnt(1)
	v_cvt_f32_f16_e32 v20, v3
	s_waitcnt lgkmcnt(0)
	v_cvt_f32_f16_e32 v6, v2
	v_cvt_f32_f16_sdwa v7, v2 dst_sel:DWORD dst_unused:UNUSED_PAD src0_sel:WORD_1
	v_cvt_f32_f16_sdwa v21, v3 dst_sel:DWORD dst_unused:UNUSED_PAD src0_sel:WORD_1
	v_pk_fma_f32 v[2:3], v[50:51], v[0:1], v[14:15] op_sel_hi:[0,1,1]
	v_pk_fma_f32 v[0:1], v[50:51], v[4:5], v[12:13] op_sel_hi:[0,1,1]
	v_pk_fma_f32 v[6:7], v[50:51], v[6:7], v[10:11] op_sel_hi:[0,1,1]
	v_pk_fma_f32 v[4:5], v[50:51], v[20:21], v[8:9] op_sel_hi:[0,1,1]
	s_branch .LBB30_596
.LBB30_595:
	s_mov_b64 s[2:3], -1
                                        ; implicit-def: $vgpr0_vgpr1_vgpr2_vgpr3
                                        ; implicit-def: $vgpr4_vgpr5_vgpr6_vgpr7
                                        ; implicit-def: $vgpr19
                                        ; implicit-def: $vgpr18
                                        ; implicit-def: $vgpr16
                                        ; implicit-def: $vgpr39
                                        ; implicit-def: $vgpr41
.LBB30_596:
	v_add_u32_e32 v27, 0x1080, v36
	v_add_u32_e32 v26, 0x2100, v36
	;; [unrolled: 1-line block ×6, first 2 shown]
	s_andn2_b64 vcc, exec, s[2:3]
	v_add_u32_e32 v29, 0x7380, v36
	s_cbranch_vccnz .LBB30_598
; %bb.597:
	v_and_b32_e32 v18, 0xfc, v51
	v_add_u32_e32 v16, v33, v18
	v_mov_b64_e32 v[4:5], v[8:9]
	v_mov_b64_e32 v[0:1], v[12:13]
	v_add_u32_e32 v39, 32, v16
	v_add_u32_e32 v41, 34, v16
	v_mov_b32_e32 v19, v51
	v_mov_b64_e32 v[6:7], v[10:11]
	v_mov_b64_e32 v[2:3], v[14:15]
.LBB30_598:
	s_mul_hi_i32 s3, s16, s98
	s_mul_i32 s2, s16, s98
	s_lshl_b64 s[2:3], s[2:3], 2
	s_add_u32 s2, s33, s2
	v_mul_lo_u32 v8, s98, v34
	s_addc_u32 s3, s41, s3
	v_ashrrev_i32_e32 v9, 31, v8
	s_mov_b64 s[16:17], src_private_base
	v_lshl_add_u64 v[10:11], v[8:9], 2, s[2:3]
	v_mov_b32_e32 v33, 0
	v_lshl_add_u64 v[10:11], v[10:11], 0, v[32:33]
	v_mov_b32_e32 v44, s17
	v_mov_b32_e32 v45, 0
	v_cndmask_b32_e64 v11, v44, v11, s[14:15]
	v_cndmask_b32_e64 v10, v45, v10, s[14:15]
	s_lshl_b32 s14, s98, 3
	v_add_u32_e32 v8, s14, v8
	v_ashrrev_i32_e32 v9, 31, v8
	v_lshl_add_u64 v[12:13], v[8:9], 2, s[2:3]
	v_add_u32_e32 v8, s14, v8
	v_ashrrev_i32_e32 v9, 31, v8
	v_lshl_add_u64 v[14:15], v[8:9], 2, s[2:3]
	v_add_u32_e32 v8, s14, v8
	v_ashrrev_i32_e32 v9, 31, v8
	v_lshl_add_u64 v[20:21], v[8:9], 2, s[2:3]
	v_add_u32_e32 v8, s14, v8
	v_ashrrev_i32_e32 v9, 31, v8
	v_lshl_add_u64 v[30:31], v[20:21], 0, v[32:33]
	v_lshl_add_u64 v[20:21], v[8:9], 2, s[2:3]
	v_add_u32_e32 v8, s14, v8
	v_ashrrev_i32_e32 v9, 31, v8
	v_lshl_add_u64 v[52:53], v[20:21], 0, v[32:33]
	v_lshl_add_u64 v[20:21], v[8:9], 2, s[2:3]
	v_add_u32_e32 v8, s14, v8
	v_ashrrev_i32_e32 v9, 31, v8
	v_lshl_add_u64 v[24:25], v[20:21], 0, v[32:33]
	;; [unrolled: 4-line block ×3, first 2 shown]
	v_lshl_add_u64 v[12:13], v[12:13], 0, v[32:33]
	v_lshl_add_u64 v[14:15], v[14:15], 0, v[32:33]
	;; [unrolled: 1-line block ×4, first 2 shown]
	v_mov_b32_e32 v32, v33
	v_mov_b32_e32 v34, v33
	;; [unrolled: 1-line block ×3, first 2 shown]
	scratch_store_dwordx4 off, v[32:35], off
	flat_load_dwordx4 v[8:11], v[10:11]
	v_cndmask_b32_e64 v13, v44, v13, s[8:9]
	v_cndmask_b32_e64 v12, v45, v12, s[8:9]
	s_mov_b32 s8, 0
	v_add_u32_e32 v54, 1, v16
	v_add_u32_e32 v55, 2, v16
	;; [unrolled: 1-line block ×5, first 2 shown]
	v_add_f32_e32 v28, 0x40051340, v1
	s_movk_i32 s3, 0x420
	v_cmp_gt_u32_e64 s[14:15], s24, v54
	v_mad_u32_u24 v69, v113, s3, 0
	v_add_f32_e32 v56, 0x40051340, v2
	v_add_f32_e32 v58, 0x40051340, v3
	v_cndmask_b32_e64 v54, v3, v3, s[14:15]
	v_cmp_gt_u32_e64 s[16:17], s24, v55
	v_add_f32_e32 v59, 0x40051340, v4
	v_add_f32_e32 v61, 0x40051340, v5
	v_add_f32_e32 v62, 0x40051340, v6
	v_add_f32_e32 v66, 0x40051340, v7
	s_mov_b32 s23, 0x3fb8aa3b
	s_mov_b32 s22, 0xc2ce8ed0
	s_mov_b32 s21, 0x42b17218
	v_mov_b32_e32 v34, 0x7f800000
	s_mov_b32 s20, 0xc1a00000
	s_mov_b32 s2, 0x5040100
	s_waitcnt vmcnt(0) lgkmcnt(0)
	ds_write_b128 v36, v[8:11]
	flat_load_dwordx4 v[8:11], v[12:13]
	v_cndmask_b32_e64 v13, v44, v15, s[10:11]
	v_cndmask_b32_e64 v12, v45, v14, s[10:11]
	v_mul_u32_u24_e32 v14, 0x210, v18
	v_mov_b32_e32 v15, s8
	s_add_i32 s11, 0, 0xc0
	s_add_i32 s10, 0, 0xa0
	s_waitcnt vmcnt(0) lgkmcnt(0)
	ds_write_b128 v27, v[8:11]
	flat_load_dwordx4 v[8:11], v[12:13]
	v_cndmask_b32_e64 v13, v44, v31, s[12:13]
	v_cndmask_b32_e64 v12, v45, v30, s[12:13]
	v_mbcnt_hi_u32_b32 v30, -1, v74
	v_and_b32_e32 v31, 64, v30
	v_xor_b32_e32 v67, 32, v30
	v_add_u32_e32 v31, 64, v31
	v_xor_b32_e32 v68, 16, v30
	v_cmp_lt_i32_e32 vcc, v67, v31
	s_add_i32 s12, 0, 0xe0
	s_waitcnt vmcnt(0) lgkmcnt(0)
	ds_write_b128 v26, v[8:11]
	flat_load_dwordx4 v[48:51], v[12:13]
	v_mul_u32_u24_e32 v26, 0x108, v18
	v_or_b32_e32 v18, 3, v19
	v_mul_u32_u24_e32 v19, 0x420, v113
	v_add_f32_e32 v8, 0x40051340, v0
	v_max_f32_e32 v10, v42, v42
	v_or_b32_e32 v32, v26, v156
	v_mul_i32_i24_e32 v26, 0x210, v18
	v_add3_u32 v70, 0, 32, v19
	v_add3_u32 v71, 0, 64, v19
	v_cndmask_b32_e64 v19, v44, v53, s[6:7]
	v_cndmask_b32_e64 v18, v45, v52, s[6:7]
	v_max_f32_e32 v27, v10, v8
	v_mov_b32_e32 v8, s8
	v_mov_b32_e32 v9, s8
	;; [unrolled: 1-line block ×6, first 2 shown]
	v_cmp_gt_u32_e64 s[8:9], s24, v16
	s_add_i32 s6, 0, 0x60
	s_add_i32 s7, 0, 0x80
	v_cndmask_b32_e64 v72, v42, v27, s[8:9]
	v_lshlrev_b32_e32 v27, 1, v32
	v_add3_u32 v32, v69, v14, v112
	v_add3_u32 v33, v69, v26, v112
	v_mov_b32_e32 v53, s10
	v_add3_u32 v35, v70, v14, v112
	v_add3_u32 v36, v70, v26, v112
	;; [unrolled: 1-line block ×4, first 2 shown]
	s_waitcnt vmcnt(0) lgkmcnt(0)
	ds_write_b128 v17, v[48:51]
	flat_load_dwordx4 v[16:19], v[18:19]
	v_max_f32_e32 v50, v72, v72
	v_cndmask_b32_e32 v51, v30, v67, vcc
	v_cmp_lt_i32_e32 vcc, v68, v31
	v_max_f32_e32 v50, v50, v28
	v_mov_b32_e32 v67, s11
	v_cndmask_b32_e32 v52, v30, v68, vcc
	v_lshlrev_b32_e32 v30, 2, v51
	v_lshlrev_b32_e32 v28, 2, v52
	v_mov_b32_e32 v51, s6
	v_mov_b32_e32 v52, s7
	v_cndmask_b32_e64 v50, v72, v50, s[14:15]
	v_add_u32_e32 v31, v69, v27
	v_cndmask_b32_e64 v69, v2, v2, s[14:15]
	v_mad_u32_u24 v2, v113, s3, v51
	v_mad_u32_u24 v3, v113, s3, v52
	v_mad_u32_u24 v52, v113, s3, v67
	v_max_f32_e32 v67, v50, v50
	v_add_u32_e32 v82, v2, v27
	v_add3_u32 v83, v2, v14, v112
	v_add3_u32 v84, v2, v26, v112
	v_max_f32_e32 v2, v67, v56
	v_cndmask_b32_e64 v2, v50, v2, s[16:17]
	v_add_u32_e32 v85, v3, v27
	v_add3_u32 v86, v3, v14, v112
	v_add3_u32 v87, v3, v26, v112
	v_max_f32_e32 v3, v2, v2
	v_mov_b32_e32 v68, s12
	v_max_f32_e32 v3, v3, v58
	v_cmp_gt_u32_e64 s[12:13], s24, v57
	v_mad_u32_u24 v51, v113, s3, v53
	v_add_u32_e32 v88, v51, v27
	v_cndmask_b32_e64 v50, v2, v3, s[12:13]
	v_add3_u32 v89, v51, v14, v112
	v_add3_u32 v90, v51, v26, v112
	v_max_f32_e32 v51, v50, v50
	v_cndmask_b32_e64 v2, v45, v24, s[18:19]
	v_max_f32_e32 v24, v51, v59
	v_cmp_gt_u32_e64 s[6:7], s24, v39
	v_cndmask_b32_e64 v3, v44, v25, s[18:19]
	v_cmp_gt_u32_e64 s[10:11], s24, v60
	v_cndmask_b32_e64 v24, v50, v24, s[6:7]
	v_max_f32_e32 v25, v24, v24
	v_max_f32_e32 v25, v25, v61
	v_cndmask_b32_e64 v24, v24, v25, s[10:11]
	v_max_f32_e32 v25, v24, v24
	v_max_f32_e32 v25, v25, v62
	v_cmp_gt_u32_e64 s[18:19], s24, v41
	v_cmp_gt_u32_e32 vcc, s24, v63
	v_cndmask_b32_e64 v50, v45, v22, s[0:1]
	v_cndmask_b32_e64 v24, v24, v25, s[18:19]
	v_max_f32_e32 v25, v24, v24
	v_max_f32_e32 v25, v25, v66
	v_cndmask_b32_e32 v24, v24, v25, vcc
	ds_bpermute_b32 v25, v30, v24
	v_cndmask_b32_e64 v39, v7, v7, s[6:7]
	v_max_f32_e32 v7, v24, v24
	v_cndmask_b32_e64 v51, v44, v23, s[0:1]
	v_mad_u32_u24 v53, v113, s3, v68
	s_waitcnt lgkmcnt(0)
	v_max_f32_e32 v22, v25, v25
	v_max_f32_e32 v41, v7, v22
	v_cndmask_b32_e64 v7, v44, v21, s[4:5]
	v_add_u32_e32 v94, v53, v27
	v_add3_u32 v95, v53, v14, v112
	v_add3_u32 v96, v53, v26, v112
	v_cndmask_b32_e64 v5, v5, v5, s[6:7]
	v_add_u32_e32 v49, v70, v27
	v_add_u32_e32 v91, v52, v27
	v_add3_u32 v92, v52, v14, v112
	v_add3_u32 v93, v52, v26, v112
	v_add_u32_e32 v48, v71, v27
	s_waitcnt vmcnt(0)
	ds_write_b128 v43, v[16:19]
	flat_load_dwordx4 v[22:25], v[2:3]
	ds_bpermute_b32 v2, v28, v41
	v_cndmask_b32_e64 v3, v6, v6, s[6:7]
	v_cndmask_b32_e64 v6, v45, v20, s[4:5]
	s_movk_i32 s4, 0x210
	s_waitcnt lgkmcnt(0)
	v_max_f32_e32 v2, v2, v2
	v_max_f32_e32 v16, v41, v2
	v_sub_f32_e32 v17, v0, v16
	v_sub_f32_e32 v18, v1, v16
	;; [unrolled: 1-line block ×5, first 2 shown]
	v_mul_f32_e32 v0, 0x3fb8aa3b, v17
	v_mul_f32_e32 v1, 0x3fb8aa3b, v18
	;; [unrolled: 1-line block ×4, first 2 shown]
	v_fma_f32 v53, v17, s23, -v0
	v_rndne_f32_e32 v54, v0
	v_fma_f32 v55, v18, s23, -v1
	v_rndne_f32_e32 v56, v1
	;; [unrolled: 2-line block ×4, first 2 shown]
	v_fmac_f32_e32 v53, 0x32a5705f, v17
	v_sub_f32_e32 v0, v0, v54
	v_fmac_f32_e32 v55, 0x32a5705f, v18
	v_sub_f32_e32 v1, v1, v56
	;; [unrolled: 2-line block ×4, first 2 shown]
	v_add_f32_e32 v53, v0, v53
	v_add_f32_e32 v55, v1, v55
	;; [unrolled: 1-line block ×4, first 2 shown]
	v_sub_f32_e32 v4, v4, v16
	v_sub_f32_e32 v5, v5, v16
	;; [unrolled: 1-line block ×3, first 2 shown]
	v_mul_f32_e32 v42, 0x3fb8aa3b, v4
	v_cvt_i32_f32_e32 v54, v54
	v_mul_f32_e32 v43, 0x3fb8aa3b, v5
	v_fma_f32 v61, v4, s23, -v42
	v_rndne_f32_e32 v62, v42
	v_cvt_i32_f32_e32 v56, v56
	v_sub_f32_e32 v39, v39, v16
	v_mul_f32_e32 v44, 0x3fb8aa3b, v21
	v_fma_f32 v63, v5, s23, -v43
	v_rndne_f32_e32 v66, v43
	v_cvt_i32_f32_e32 v58, v58
	v_fmac_f32_e32 v61, 0x32a5705f, v4
	v_sub_f32_e32 v42, v42, v62
	v_mul_f32_e32 v45, 0x3fb8aa3b, v39
	v_fma_f32 v67, v21, s23, -v44
	v_rndne_f32_e32 v68, v44
	v_cvt_i32_f32_e32 v60, v60
	v_fmac_f32_e32 v63, 0x32a5705f, v5
	v_sub_f32_e32 v43, v43, v66
	v_add_f32_e32 v42, v42, v61
	v_mul_f32_e32 v52, 0x3fb8aa3b, v41
	v_fma_f32 v69, v39, s23, -v45
	v_rndne_f32_e32 v70, v45
	v_cvt_i32_f32_e32 v62, v62
	v_fmac_f32_e32 v67, 0x32a5705f, v21
	v_sub_f32_e32 v44, v44, v68
	v_add_f32_e32 v43, v43, v63
	v_cmp_ngt_f32_e64 s[0:1], s22, v17
	v_fma_f32 v71, v41, s23, -v52
	v_rndne_f32_e32 v72, v52
	v_cvt_i32_f32_e32 v66, v66
	v_fmac_f32_e32 v69, 0x32a5705f, v39
	v_sub_f32_e32 v45, v45, v70
	v_add_f32_e32 v44, v44, v67
	v_cvt_i32_f32_e32 v68, v68
	v_fmac_f32_e32 v71, 0x32a5705f, v41
	v_sub_f32_e32 v52, v52, v72
	v_add_f32_e32 v45, v45, v69
	v_cvt_i32_f32_e32 v70, v70
	v_add_f32_e32 v52, v52, v71
	s_waitcnt vmcnt(0)
	ds_write_b128 v38, v[22:25]
	flat_load_dwordx4 v[0:3], v[50:51]
	v_exp_f32_e32 v22, v53
	v_exp_f32_e32 v23, v55
	v_exp_f32_e32 v24, v57
	v_exp_f32_e32 v25, v59
	v_exp_f32_e32 v38, v42
	v_ldexp_f32 v22, v22, v54
	v_exp_f32_e32 v42, v43
	v_ldexp_f32 v23, v23, v56
	v_cndmask_b32_e64 v22, 0, v22, s[0:1]
	v_cmp_ngt_f32_e64 s[0:1], s22, v18
	v_exp_f32_e32 v43, v44
	v_ldexp_f32 v24, v24, v58
	v_cndmask_b32_e64 v23, 0, v23, s[0:1]
	v_cmp_ngt_f32_e64 s[0:1], s22, v19
	;; [unrolled: 4-line block ×3, first 2 shown]
	v_cvt_i32_f32_e32 v72, v72
	v_exp_f32_e32 v45, v52
	v_ldexp_f32 v38, v38, v62
	v_cndmask_b32_e64 v25, 0, v25, s[0:1]
	v_cmp_ngt_f32_e64 s[0:1], s22, v4
	v_ldexp_f32 v42, v42, v66
	v_ldexp_f32 v43, v43, v68
	v_cndmask_b32_e64 v38, 0, v38, s[0:1]
	v_cmp_ngt_f32_e64 s[0:1], s22, v5
	v_ldexp_f32 v44, v44, v70
	v_ldexp_f32 v45, v45, v72
	v_cndmask_b32_e64 v42, 0, v42, s[0:1]
	v_cmp_ngt_f32_e64 s[0:1], s22, v21
	s_waitcnt vmcnt(0) lgkmcnt(0)
	ds_write_b128 v37, v[0:3]
	v_cndmask_b32_e64 v43, 0, v43, s[0:1]
	v_cmp_ngt_f32_e64 s[0:1], s22, v39
	s_nop 1
	v_cndmask_b32_e64 v44, 0, v44, s[0:1]
	v_cmp_ngt_f32_e64 s[0:1], s22, v41
	s_nop 1
	v_cndmask_b32_e64 v45, 0, v45, s[0:1]
	v_cmp_nlt_f32_e64 s[0:1], s21, v17
	s_nop 1
	v_cndmask_b32_e64 v17, v34, v22, s[0:1]
	v_cmp_nlt_f32_e64 s[0:1], s21, v18
	;; [unrolled: 3-line block ×3, first 2 shown]
	v_cndmask_b32_e64 v15, v15, v18, s[14:15]
	s_nop 0
	v_cndmask_b32_e64 v19, v34, v24, s[0:1]
	v_cmp_nlt_f32_e64 s[0:1], s21, v20
	s_nop 1
	v_cndmask_b32_e64 v20, v34, v25, s[0:1]
	v_cmp_nlt_f32_e64 s[0:1], s21, v4
	v_cndmask_b32_e64 v4, 0, v17, s[8:9]
	v_cndmask_b32_e64 v17, v8, v19, s[16:17]
	v_cndmask_b32_e64 v24, v34, v38, s[0:1]
	v_cmp_nlt_f32_e64 s[0:1], s21, v5
	v_cndmask_b32_e64 v12, v12, v24, s[6:7]
	s_nop 0
	v_cndmask_b32_e64 v25, v34, v42, s[0:1]
	v_cmp_nlt_f32_e64 s[0:1], s21, v21
	v_cndmask_b32_e64 v21, v9, v20, s[12:13]
	v_cndmask_b32_e64 v11, v11, v25, s[10:11]
	;; [unrolled: 1-line block ×3, first 2 shown]
	v_cmp_nlt_f32_e64 s[0:1], s21, v39
	v_cvt_f16_f32_e32 v43, v21
	v_cndmask_b32_e64 v10, v10, v38, s[18:19]
	v_cndmask_b32_e64 v39, v34, v44, s[0:1]
	v_cmp_nlt_f32_e64 s[0:1], s21, v41
	v_cndmask_b32_e32 v13, v13, v39, vcc
	v_cvt_f16_f32_e32 v10, v10
	v_cndmask_b32_e64 v5, v34, v45, s[0:1]
	v_cmp_le_f32_e64 s[0:1], s20, v41
	v_cvt_f16_f32_e32 v34, v4
	v_cvt_f16_f32_e32 v45, v13
	v_cndmask_b32_e64 v8, 0, v5, s[0:1]
	v_add_f32_e32 v5, v18, v4
	v_cndmask_b32_e64 v4, v4, v5, s[14:15]
	v_add_f32_e32 v5, v4, v19
	;; [unrolled: 2-line block ×3, first 2 shown]
	flat_load_dwordx4 v[20:23], v[6:7]
	v_cvt_f16_f32_e32 v9, v8
	v_cvt_f16_f32_e32 v44, v12
	;; [unrolled: 1-line block ×4, first 2 shown]
	v_pack_b32_f16 v5, v10, v45
	v_cndmask_b32_e64 v10, v50, v51, s[12:13]
	v_pk_mul_f16 v52, v9, v120 op_sel_hi:[0,1]
	v_pk_mul_f16 v1, v9, v130 op_sel_hi:[0,1]
	v_pk_mul_f16 v3, v9, v133 op_sel_hi:[0,1]
	v_pk_mul_f16 v59, v9, v135 op_sel_hi:[0,1]
	v_pk_mul_f16 v62, v9, v144 op_sel_hi:[0,1]
	v_pk_mul_f16 v71, v9, v170 op_sel_hi:[0,1]
	v_pk_mul_f16 v75, v9, v247 op_sel_hi:[0,1]
	v_pk_mul_f16 v79, v9, v249 op_sel_hi:[0,1]
	v_pack_b32_f16 v4, v44, v11
	v_add_f32_e32 v11, v24, v10
	v_pk_mul_f16 v0, v9, v118 op_sel_hi:[0,1]
	v_pk_mul_f16 v2, v9, v129 op_sel_hi:[0,1]
	;; [unrolled: 1-line block ×8, first 2 shown]
	v_pack_b32_f16 v7, v42, v43
	v_cvt_f32_f16_e32 v42, v52
	v_cvt_f32_f16_e32 v50, v1
	;; [unrolled: 1-line block ×8, first 2 shown]
	v_cndmask_b32_e64 v10, v10, v11, s[6:7]
	v_cvt_f16_f32_e32 v41, v15
	v_cvt_f32_f16_sdwa v43, v52 dst_sel:DWORD dst_unused:UNUSED_PAD src0_sel:WORD_1
	v_cvt_f32_f16_e32 v44, v0
	v_cvt_f32_f16_sdwa v45, v0 dst_sel:DWORD dst_unused:UNUSED_PAD src0_sel:WORD_1
	v_cvt_f32_f16_sdwa v51, v1 dst_sel:DWORD dst_unused:UNUSED_PAD src0_sel:WORD_1
	v_cvt_f32_f16_e32 v52, v2
	v_cvt_f32_f16_sdwa v53, v2 dst_sel:DWORD dst_unused:UNUSED_PAD src0_sel:WORD_1
	;; [unrolled: 3-line block ×8, first 2 shown]
	v_add_f32_e32 v11, v25, v10
	v_cndmask_b32_e64 v10, v10, v11, s[10:11]
	v_add_f32_e32 v11, v38, v10
	v_pk_mul_f16 v97, v9, v251 op_sel_hi:[0,1]
	v_pk_mul_f16 v98, v9, v250 op_sel_hi:[0,1]
	v_accvgpr_write_b32 a28, v42
	v_accvgpr_write_b32 a24, v50
	;; [unrolled: 1-line block ×8, first 2 shown]
	v_cndmask_b32_e64 v10, v10, v11, s[18:19]
	v_pk_mul_f16 v17, v9, v65 op_sel_hi:[0,1]
	v_pk_mul_f16 v15, v9, v125 op_sel_hi:[0,1]
	;; [unrolled: 1-line block ×4, first 2 shown]
	v_pack_b32_f16 v6, v34, v41
	v_cvt_f32_f16_e32 v0, v97
	v_cvt_f32_f16_sdwa v1, v97 dst_sel:DWORD dst_unused:UNUSED_PAD src0_sel:WORD_1
	v_cvt_f32_f16_e32 v2, v98
	v_cvt_f32_f16_sdwa v3, v98 dst_sel:DWORD dst_unused:UNUSED_PAD src0_sel:WORD_1
	v_accvgpr_write_b32 a29, v43
	v_accvgpr_write_b32 a30, v44
	;; [unrolled: 1-line block ×24, first 2 shown]
	v_add_f32_e32 v11, v39, v10
	s_waitcnt vmcnt(0) lgkmcnt(0)
	ds_write_b128 v29, v[20:23]
	s_waitcnt lgkmcnt(0)
	s_barrier
	ds_read_u16 v21, v32 offset:560
	ds_read_u16 v29, v32 offset:592
	;; [unrolled: 1-line block ×12, first 2 shown]
	ds_read_u16 v23, v33
	ds_read_u16 v44, v32 offset:17952
	ds_read_u16 v45, v33 offset:16896
	;; [unrolled: 1-line block ×28, first 2 shown]
	ds_read_u16 v52, v31
	ds_read_u16 v55, v31 offset:32
	ds_read_u16 v57, v31 offset:64
	;; [unrolled: 1-line block ×46, first 2 shown]
	s_waitcnt lgkmcnt(4)
	v_perm_b32 v23, v23, v53, s2
	v_perm_b32 v22, v22, v52, s2
	s_waitcnt lgkmcnt(2)
	v_perm_b32 v52, v120, v24, s2
	v_perm_b32 v25, v25, v54, s2
	v_perm_b32 v24, v21, v55, s2
	v_mfma_f32_16x16x16_f16 a[28:31], v[22:23], v[6:7], a[28:31]
	v_perm_b32 v23, v42, v71, s2
	v_perm_b32 v22, v34, v75, s2
	v_perm_b32 v33, v41, v56, s2
	v_mfma_f32_16x16x16_f16 a[24:27], v[24:25], v[6:7], a[24:27]
	;; [unrolled: 4-line block ×3, first 2 shown]
	v_perm_b32 v23, v88, v73, s2
	v_perm_b32 v22, v38, v77, s2
	v_accvgpr_read_b32 v21, a28
	v_mfma_f32_16x16x16_f16 a[12:15], v[24:25], v[6:7], a[12:15]
	v_perm_b32 v25, v89, v74, s2
	v_perm_b32 v24, v39, v78, s2
	v_accvgpr_read_b32 v29, a25
	v_mfma_f32_16x16x16_f16 a[8:11], v[22:23], v[6:7], a[8:11]
	v_perm_b32 v23, v90, v103, s2
	v_perm_b32 v22, v95, v79, s2
	v_cvt_f16_f32_e32 v21, v21
	v_mfma_f32_16x16x16_f16 a[4:7], v[24:25], v[6:7], a[4:7]
	v_accvgpr_read_b32 v25, a24
	v_accvgpr_read_b32 v24, a31
	v_cvt_f16_f32_e32 v79, v25
	v_mfma_f32_16x16x16_f16 a[20:23], v[32:33], v[6:7], a[20:23]
	v_accvgpr_read_b32 v32, a26
	v_accvgpr_read_b32 v33, a27
	v_perm_b32 v59, v61, v59, s2
	v_mfma_f32_16x16x16_f16 a[0:3], v[22:23], v[6:7], a[0:3]
	v_accvgpr_read_b32 v22, a29
	v_accvgpr_read_b32 v23, a30
	v_perm_b32 v61, v66, v65, s2
	v_perm_b32 v66, v81, v80, s2
	v_cvt_f16_f32_e32 v76, v22
	v_cvt_f16_f32_e32 v77, v23
	;; [unrolled: 1-line block ×6, first 2 shown]
	v_perm_b32 v55, v36, v35, s2
	v_accvgpr_read_b32 v34, a20
	v_accvgpr_read_b32 v35, a21
	;; [unrolled: 1-line block ×4, first 2 shown]
	v_cvt_f32_f16_e32 v22, v21
	v_cvt_f32_f16_e32 v32, v79
	v_perm_b32 v56, v51, v48, s2
	v_perm_b32 v58, v60, v58, s2
	;; [unrolled: 1-line block ×6, first 2 shown]
	v_accvgpr_read_b32 v51, a4
	v_accvgpr_read_b32 v65, a5
	;; [unrolled: 1-line block ×6, first 2 shown]
	v_cvt_f16_f32_e32 v82, v34
	v_cvt_f16_f32_e32 v83, v35
	;; [unrolled: 1-line block ×4, first 2 shown]
	v_cvt_f32_f16_e32 v23, v76
	v_cvt_f32_f16_e32 v24, v77
	;; [unrolled: 1-line block ×6, first 2 shown]
	v_cvt_f16_f32_e32 v129, v51
	v_cvt_f16_f32_e32 v65, v65
	;; [unrolled: 1-line block ×6, first 2 shown]
	v_accvgpr_write_b32 a0, v22
	v_accvgpr_write_b32 a4, v32
	;; [unrolled: 1-line block ×8, first 2 shown]
	v_cvt_f32_f16_e32 v25, v71
	v_cvt_f32_f16_e32 v32, v72
	;; [unrolled: 1-line block ×8, first 2 shown]
	v_accvgpr_write_b32 a27, v25
	v_accvgpr_write_b32 a28, v32
	v_perm_b32 v21, v20, v104, s2
	v_accvgpr_write_b32 a26, v24
	v_accvgpr_write_b32 a25, v23
	;; [unrolled: 1-line block ×6, first 2 shown]
	ds_read_u16 v20, v31 offset:256
	ds_read_u16 v24, v31 offset:288
	;; [unrolled: 1-line block ×8, first 2 shown]
	s_waitcnt lgkmcnt(7)
	v_perm_b32 v20, v96, v20, s2
	v_accvgpr_read_b32 v36, a22
	v_accvgpr_read_b32 v37, a23
	v_perm_b32 v68, v85, v84, s2
	v_cvt_f16_f32_e32 v84, v36
	v_cvt_f16_f32_e32 v85, v37
	v_accvgpr_write_b32 a35, v3
	v_accvgpr_write_b32 a34, v2
	;; [unrolled: 1-line block ×4, first 2 shown]
	v_accvgpr_read_b32 v38, a16
	v_accvgpr_read_b32 v39, a17
	v_cvt_f32_f16_e32 v36, v82
	v_mfma_f32_16x16x16_f16 a[32:35], v[20:21], v[6:7], a[32:35]
	v_perm_b32 v69, v87, v86, s2
	v_cvt_f16_f32_e32 v86, v38
	v_cvt_f16_f32_e32 v87, v39
	v_cvt_f32_f16_e32 v37, v83
	v_cvt_f32_f16_e32 v38, v84
	;; [unrolled: 1-line block ×3, first 2 shown]
	s_add_i32 s0, 0, 0x100
	v_pk_mul_f16 v18, v9, v252 op_sel_hi:[0,1]
	v_mov_b32_e32 v20, s0
	v_pk_mul_f16 v19, v9, v253 op_sel_hi:[0,1]
	v_perm_b32 v54, v50, v49, s2
	v_perm_b32 v57, v47, v46, s2
	v_accvgpr_read_b32 v47, a8
	v_accvgpr_read_b32 v48, a9
	;; [unrolled: 1-line block ×4, first 2 shown]
	v_accvgpr_write_b32 a8, v36
	v_accvgpr_read_b32 v3, a35
	v_mad_u32_u24 v20, v113, s3, v20
	v_cvt_f32_f16_sdwa v23, v18 dst_sel:DWORD dst_unused:UNUSED_PAD src0_sel:WORD_1
	v_accvgpr_write_b32 a9, v37
	v_accvgpr_write_b32 a10, v38
	;; [unrolled: 1-line block ×3, first 2 shown]
	v_accvgpr_read_b32 v0, a32
	v_accvgpr_read_b32 v1, a33
	v_accvgpr_read_b32 v2, a34
	v_cvt_f16_f32_e32 v3, v3
	v_add_u32_e32 v25, v20, v27
	v_add3_u32 v38, v20, v14, v112
	v_add3_u32 v39, v20, v26, v112
	v_cvt_f32_f16_e32 v20, v19
	v_cvt_f32_f16_sdwa v21, v19 dst_sel:DWORD dst_unused:UNUSED_PAD src0_sel:WORD_1
	v_cvt_f32_f16_e32 v22, v18
	v_perm_b32 v19, v91, v105, s2
	s_waitcnt lgkmcnt(6)
	v_perm_b32 v18, v97, v24, s2
	v_cvt_f16_f32_e32 v0, v0
	v_cvt_f16_f32_e32 v1, v1
	;; [unrolled: 1-line block ×3, first 2 shown]
	v_accvgpr_write_b32 a39, v23
	v_cvt_f32_f16_e32 v3, v3
	v_accvgpr_write_b32 a38, v22
	v_accvgpr_write_b32 a37, v21
	;; [unrolled: 1-line block ×3, first 2 shown]
	v_cvt_f32_f16_e32 v0, v0
	v_cvt_f32_f16_e32 v1, v1
	;; [unrolled: 1-line block ×3, first 2 shown]
	v_mfma_f32_16x16x16_f16 a[36:39], v[18:19], v[6:7], a[36:39]
	v_accvgpr_read_b32 v41, a18
	v_accvgpr_read_b32 v42, a19
	v_accvgpr_write_b32 a35, v3
	v_cvt_f16_f32_e32 v41, v41
	v_cvt_f16_f32_e32 v88, v42
	v_accvgpr_write_b32 a34, v2
	v_accvgpr_write_b32 a33, v1
	;; [unrolled: 1-line block ×3, first 2 shown]
	v_accvgpr_read_b32 v3, a39
	v_accvgpr_read_b32 v0, a36
	;; [unrolled: 1-line block ×4, first 2 shown]
	v_cvt_f16_f32_e32 v3, v3
	v_cvt_f16_f32_e32 v0, v0
	;; [unrolled: 1-line block ×4, first 2 shown]
	v_perm_b32 v53, v45, v44, s2
	v_accvgpr_read_b32 v43, a12
	v_accvgpr_read_b32 v44, a13
	;; [unrolled: 1-line block ×3, first 2 shown]
	v_cvt_f32_f16_e32 v42, v86
	v_cvt_f16_f32_e32 v89, v43
	v_cvt_f16_f32_e32 v90, v44
	;; [unrolled: 1-line block ×3, first 2 shown]
	v_cvt_f32_f16_e32 v43, v87
	v_cvt_f32_f16_e32 v44, v41
	;; [unrolled: 1-line block ×3, first 2 shown]
	s_add_i32 s0, 0, 0x120
	v_cvt_f32_f16_e32 v3, v3
	v_mov_b32_e32 v24, s0
	v_cvt_f32_f16_e32 v0, v0
	v_cvt_f32_f16_e32 v1, v1
	;; [unrolled: 1-line block ×3, first 2 shown]
	v_accvgpr_read_b32 v46, a15
	v_accvgpr_write_b32 a12, v42
	v_mad_u32_u24 v24, v113, s3, v24
	v_accvgpr_write_b32 a13, v43
	v_accvgpr_write_b32 a14, v44
	v_accvgpr_write_b32 a15, v45
	v_add_u32_e32 v41, v24, v27
	v_add3_u32 v42, v24, v14, v112
	v_add3_u32 v24, v24, v26, v112
	ds_read_u16 v43, v25 offset:16896
	ds_read_u16 v44, v38 offset:17424
	;; [unrolled: 1-line block ×8, first 2 shown]
	v_accvgpr_write_b32 a39, v3
	v_accvgpr_write_b32 a38, v2
	;; [unrolled: 1-line block ×4, first 2 shown]
	v_cvt_f32_f16_sdwa v3, v15 dst_sel:DWORD dst_unused:UNUSED_PAD src0_sel:WORD_1
	v_cvt_f32_f16_e32 v0, v17
	v_cvt_f32_f16_sdwa v1, v17 dst_sel:DWORD dst_unused:UNUSED_PAD src0_sel:WORD_1
	v_cvt_f32_f16_e32 v2, v15
	v_perm_b32 v21, v92, v106, s2
	s_waitcnt lgkmcnt(13)
	v_perm_b32 v20, v98, v29, s2
	s_waitcnt lgkmcnt(0)
	v_perm_b32 v19, v45, v42, s2
	v_perm_b32 v18, v41, v39, s2
	v_accvgpr_write_b32 a43, v3
	v_accvgpr_write_b32 a42, v2
	;; [unrolled: 1-line block ×4, first 2 shown]
	v_perm_b32 v25, v38, v25, s2
	v_perm_b32 v24, v44, v43, s2
	v_mfma_f32_16x16x16_f16 a[40:43], v[20:21], v[6:7], a[40:43]
	s_add_i32 s0, 0, 0x140
	v_cvt_f32_f16_sdwa v21, v12 dst_sel:DWORD dst_unused:UNUSED_PAD src0_sel:WORD_1
	v_cvt_f32_f16_e32 v20, v12
	v_mfma_f32_16x16x16_f16 a[36:39], v[18:19], v[4:5], a[36:39]
	v_mov_b32_e32 v18, s0
	v_mad_u32_u24 v18, v113, s3, v18
	v_add_u32_e32 v22, v18, v27
	v_accvgpr_read_b32 v3, a43
	v_mfma_f32_16x16x16_f16 a[32:35], v[24:25], v[4:5], a[32:35]
	v_accvgpr_read_b32 v0, a40
	v_accvgpr_read_b32 v1, a41
	;; [unrolled: 1-line block ×3, first 2 shown]
	v_cvt_f16_f32_e32 v3, v3
	v_add3_u32 v23, v18, v14, v112
	v_add3_u32 v24, v18, v26, v112
	v_cvt_f32_f16_e32 v18, v13
	v_cvt_f32_f16_sdwa v19, v13 dst_sel:DWORD dst_unused:UNUSED_PAD src0_sel:WORD_1
	v_perm_b32 v13, v93, v107, s2
	v_perm_b32 v12, v99, v32, s2
	v_cvt_f16_f32_e32 v0, v0
	v_cvt_f16_f32_e32 v1, v1
	;; [unrolled: 1-line block ×3, first 2 shown]
	v_accvgpr_write_b32 a47, v21
	v_cvt_f32_f16_e32 v3, v3
	v_accvgpr_write_b32 a46, v20
	v_accvgpr_write_b32 a45, v19
	;; [unrolled: 1-line block ×3, first 2 shown]
	v_cvt_f32_f16_e32 v0, v0
	v_cvt_f32_f16_e32 v1, v1
	;; [unrolled: 1-line block ×3, first 2 shown]
	v_mfma_f32_16x16x16_f16 a[44:47], v[12:13], v[6:7], a[44:47]
	v_accvgpr_write_b32 a43, v3
	v_accvgpr_write_b32 a41, v1
	;; [unrolled: 1-line block ×4, first 2 shown]
	s_add_i32 s0, 0, 0x160
	v_mov_b32_e32 v25, s0
	v_mad_u32_u24 v25, v113, s3, v25
	v_accvgpr_read_b32 v3, a47
	v_accvgpr_read_b32 v0, a44
	;; [unrolled: 1-line block ×4, first 2 shown]
	v_cvt_f16_f32_e32 v3, v3
	v_cvt_f16_f32_e32 v0, v0
	;; [unrolled: 1-line block ×4, first 2 shown]
	v_cvt_f32_f16_e32 v3, v3
	v_cvt_f32_f16_e32 v0, v0
	;; [unrolled: 1-line block ×4, first 2 shown]
	v_add_u32_e32 v29, v25, v27
	v_add3_u32 v32, v25, v14, v112
	v_add3_u32 v25, v25, v26, v112
	v_pk_mul_f16 v37, v9, v115 op_sel_hi:[0,1]
	ds_read_u16 v22, v22 offset:16896
	ds_read_u16 v38, v23 offset:17424
	;; [unrolled: 1-line block ×8, first 2 shown]
	v_accvgpr_write_b32 a47, v3
	v_pk_mul_f16 v36, v9, v116 op_sel_hi:[0,1]
	v_accvgpr_write_b32 a46, v2
	v_accvgpr_write_b32 a45, v1
	;; [unrolled: 1-line block ×3, first 2 shown]
	v_cvt_f32_f16_sdwa v3, v37 dst_sel:DWORD dst_unused:UNUSED_PAD src0_sel:WORD_1
	v_cvt_f32_f16_e32 v0, v36
	v_cvt_f32_f16_sdwa v1, v36 dst_sel:DWORD dst_unused:UNUSED_PAD src0_sel:WORD_1
	v_cvt_f32_f16_e32 v2, v37
	v_perm_b32 v19, v94, v108, s2
	v_perm_b32 v18, v100, v33, s2
	s_waitcnt lgkmcnt(0)
	v_perm_b32 v13, v25, v32, s2
	v_perm_b32 v12, v39, v29, s2
	v_accvgpr_write_b32 a51, v3
	v_accvgpr_write_b32 a50, v2
	;; [unrolled: 1-line block ×4, first 2 shown]
	v_perm_b32 v23, v24, v23, s2
	v_perm_b32 v22, v38, v22, s2
	v_mfma_f32_16x16x16_f16 a[48:51], v[18:19], v[6:7], a[48:51]
	s_add_i32 s0, 0, 0x180
	v_pk_mul_f16 v17, v9, v111 op_sel_hi:[0,1]
	v_pk_mul_f16 v15, v9, v114 op_sel_hi:[0,1]
	v_mfma_f32_16x16x16_f16 a[44:47], v[12:13], v[4:5], a[44:47]
	v_mov_b32_e32 v12, s0
	v_mad_u32_u24 v12, v113, s3, v12
	v_cvt_f32_f16_sdwa v21, v17 dst_sel:DWORD dst_unused:UNUSED_PAD src0_sel:WORD_1
	v_accvgpr_read_b32 v3, a51
	v_mfma_f32_16x16x16_f16 a[40:43], v[22:23], v[4:5], a[40:43]
	v_accvgpr_read_b32 v0, a48
	v_accvgpr_read_b32 v1, a49
	;; [unrolled: 1-line block ×3, first 2 shown]
	v_cvt_f16_f32_e32 v3, v3
	v_add_u32_e32 v22, v12, v27
	v_add3_u32 v23, v12, v14, v112
	v_add3_u32 v29, v12, v26, v112
	v_cvt_f32_f16_e32 v18, v15
	v_cvt_f32_f16_sdwa v19, v15 dst_sel:DWORD dst_unused:UNUSED_PAD src0_sel:WORD_1
	v_cvt_f32_f16_e32 v20, v17
	v_perm_b32 v13, v117, v109, s2
	v_perm_b32 v12, v101, v34, s2
	v_cvt_f16_f32_e32 v0, v0
	v_cvt_f16_f32_e32 v1, v1
	;; [unrolled: 1-line block ×3, first 2 shown]
	v_accvgpr_write_b32 a55, v21
	v_cvt_f32_f16_e32 v3, v3
	v_accvgpr_write_b32 a54, v20
	v_accvgpr_write_b32 a53, v19
	;; [unrolled: 1-line block ×3, first 2 shown]
	v_cvt_f32_f16_e32 v0, v0
	v_cvt_f32_f16_e32 v1, v1
	v_cvt_f32_f16_e32 v2, v2
	v_mfma_f32_16x16x16_f16 a[52:55], v[12:13], v[6:7], a[52:55]
	v_accvgpr_write_b32 a51, v3
	v_accvgpr_write_b32 a49, v1
	;; [unrolled: 1-line block ×4, first 2 shown]
	v_pk_mul_f16 v25, v9, v131 op_sel_hi:[0,1]
	v_pk_mul_f16 v24, v9, v124 op_sel_hi:[0,1]
	v_perm_b32 v19, v118, v110, s2
	v_accvgpr_read_b32 v3, a55
	v_accvgpr_read_b32 v0, a52
	;; [unrolled: 1-line block ×4, first 2 shown]
	v_cvt_f16_f32_e32 v3, v3
	v_cvt_f16_f32_e32 v0, v0
	;; [unrolled: 1-line block ×4, first 2 shown]
	v_cvt_f32_f16_e32 v3, v3
	v_cvt_f32_f16_e32 v0, v0
	;; [unrolled: 1-line block ×4, first 2 shown]
	v_accvgpr_write_b32 a55, v3
	v_accvgpr_write_b32 a52, v0
	;; [unrolled: 1-line block ×4, first 2 shown]
	v_cvt_f32_f16_sdwa v3, v25 dst_sel:DWORD dst_unused:UNUSED_PAD src0_sel:WORD_1
	v_cvt_f32_f16_e32 v0, v24
	v_cvt_f32_f16_sdwa v1, v24 dst_sel:DWORD dst_unused:UNUSED_PAD src0_sel:WORD_1
	v_cvt_f32_f16_e32 v2, v25
	v_perm_b32 v18, v102, v35, s2
	s_add_i32 s0, 0, 0x1a0
	v_mov_b32_e32 v15, s0
	v_accvgpr_write_b32 a59, v3
	v_mad_u32_u24 v15, v113, s3, v15
	v_accvgpr_write_b32 a58, v2
	v_accvgpr_write_b32 a57, v1
	;; [unrolled: 1-line block ×3, first 2 shown]
	v_add_u32_e32 v17, v15, v27
	v_add3_u32 v32, v15, v14, v112
	v_add3_u32 v15, v15, v26, v112
	v_mfma_f32_16x16x16_f16 a[56:59], v[18:19], v[6:7], a[56:59]
	ds_read_u16 v22, v22 offset:16896
	ds_read_u16 v33, v23 offset:17424
	;; [unrolled: 1-line block ×8, first 2 shown]
	s_waitcnt lgkmcnt(4)
	v_perm_b32 v23, v29, v23, s2
	v_perm_b32 v22, v33, v22, s2
	v_accvgpr_read_b32 v3, a59
	v_accvgpr_read_b32 v0, a56
	;; [unrolled: 1-line block ×4, first 2 shown]
	v_cvt_f16_f32_e32 v3, v3
	s_waitcnt lgkmcnt(0)
	v_perm_b32 v13, v15, v32, s2
	v_perm_b32 v12, v34, v17, s2
	v_cvt_f16_f32_e32 v0, v0
	v_cvt_f16_f32_e32 v1, v1
	;; [unrolled: 1-line block ×3, first 2 shown]
	v_cvt_f32_f16_e32 v3, v3
	s_add_i32 s0, 0, 0x1c0
	v_cvt_f32_f16_e32 v0, v0
	v_cvt_f32_f16_e32 v1, v1
	;; [unrolled: 1-line block ×3, first 2 shown]
	v_mfma_f32_16x16x16_f16 a[52:55], v[12:13], v[4:5], a[52:55]
	v_mov_b32_e32 v12, s0
	s_add_i32 s0, 0, 0x1e0
	v_mov_b32_e32 v18, s0
	v_pk_mul_f16 v15, v9, v122 op_sel_hi:[0,1]
	v_pk_mul_f16 v9, v9, v121 op_sel_hi:[0,1]
	v_mad_u32_u24 v12, v113, s3, v12
	v_mad_u32_u24 v18, v113, s3, v18
	v_accvgpr_write_b32 a59, v3
	v_add_u32_e32 v13, v12, v27
	v_add3_u32 v17, v12, v14, v112
	v_add3_u32 v12, v12, v26, v112
	v_add_u32_e32 v19, v18, v27
	v_add3_u32 v14, v18, v14, v112
	v_add3_u32 v18, v18, v26, v112
	v_accvgpr_write_b32 a58, v2
	v_accvgpr_write_b32 a57, v1
	;; [unrolled: 1-line block ×3, first 2 shown]
	v_cvt_f32_f16_sdwa v3, v9 dst_sel:DWORD dst_unused:UNUSED_PAD src0_sel:WORD_1
	v_mfma_f32_16x16x16_f16 a[48:51], v[22:23], v[4:5], a[48:51]
	ds_read_u16 v20, v13 offset:16896
	ds_read_u16 v21, v17 offset:17424
	;; [unrolled: 1-line block ×8, first 2 shown]
	v_cvt_f32_f16_e32 v0, v15
	v_cvt_f32_f16_sdwa v1, v15 dst_sel:DWORD dst_unused:UNUSED_PAD src0_sel:WORD_1
	v_cvt_f32_f16_e32 v2, v9
	v_perm_b32 v15, v125, v123, s2
	v_perm_b32 v14, v119, v31, s2
	v_accvgpr_write_b32 a63, v3
	v_accvgpr_write_b32 a62, v2
	;; [unrolled: 1-line block ×4, first 2 shown]
	v_cvt_f16_f32_e32 v120, v47
	v_cvt_f16_f32_e32 v103, v46
	v_mfma_f32_16x16x16_f16 a[60:63], v[14:15], v[6:7], a[60:63]
	v_cvt_f16_f32_e32 v126, v48
	v_cvt_f16_f32_e32 v127, v49
	;; [unrolled: 1-line block ×3, first 2 shown]
	v_cndmask_b32_e32 v10, v10, v11, vcc
	v_fmac_f32_e32 v10, v40, v8
	ds_bpermute_b32 v7, v30, v10
	v_cvt_f32_f16_e32 v46, v89
	v_accvgpr_read_b32 v3, a63
	v_accvgpr_read_b32 v0, a60
	;; [unrolled: 1-line block ×4, first 2 shown]
	v_cvt_f16_f32_e32 v3, v3
	v_cvt_f16_f32_e32 v0, v0
	;; [unrolled: 1-line block ×4, first 2 shown]
	v_cvt_f32_f16_e32 v3, v3
	v_cvt_f32_f16_e32 v50, v120
	;; [unrolled: 1-line block ×9, first 2 shown]
	v_mfma_f32_16x16x16_f16 a[0:3], v[52:53], v[4:5], a[0:3]
	v_cvt_f32_f16_e32 v52, v127
	v_cvt_f32_f16_e32 v53, v128
	s_waitcnt lgkmcnt(5)
	v_perm_b32 v13, v12, v13, s2
	v_perm_b32 v12, v21, v20, s2
	s_waitcnt lgkmcnt(1)
	v_perm_b32 v9, v18, v22, s2
	v_perm_b32 v8, v19, v17, s2
	v_accvgpr_write_b32 a63, v3
	v_accvgpr_write_b32 a16, v46
	;; [unrolled: 1-line block ×6, first 2 shown]
	s_waitcnt lgkmcnt(0)
	v_add_f32_e32 v0, v10, v7
	v_accvgpr_write_b32 a17, v47
	v_accvgpr_write_b32 a18, v48
	v_accvgpr_write_b32 a19, v49
	v_accvgpr_write_b32 a21, v51
	v_accvgpr_write_b32 a22, v52
	v_accvgpr_write_b32 a23, v53
	ds_bpermute_b32 v1, v28, v0
	v_mfma_f32_16x16x16_f16 a[4:7], v[54:55], v[4:5], a[4:7]
	v_cmp_gt_u32_e64 s[0:1], 16, v64
	s_waitcnt lgkmcnt(0)
	s_barrier
	v_mfma_f32_16x16x16_f16 a[8:11], v[56:57], v[4:5], a[8:11]
	v_mfma_f32_16x16x16_f16 a[12:15], v[58:59], v[4:5], a[12:15]
	;; [unrolled: 1-line block ×8, first 2 shown]
	s_and_saveexec_b64 s[2:3], s[0:1]
	s_cbranch_execz .LBB30_600
; %bb.599:
	v_add_f32_e32 v0, v0, v1
	v_or_b32_e32 v1, v137, v64
	v_mad_u32_u24 v1, v1, s4, 0
	ds_write2_b32 v1, v16, v0 offset0:128 offset1:129
.LBB30_600:
	s_or_b64 exec, exec, s[2:3]
	v_cmp_eq_u32_e32 vcc, 0, v139
	v_cmp_eq_u32_e64 s[4:5], 1, v139
	s_waitcnt lgkmcnt(0)
	s_barrier
	s_and_saveexec_b64 s[2:3], s[4:5]
	v_readlane_b32 s8, v254, 23
	v_readlane_b32 s14, v254, 29
	;; [unrolled: 1-line block ×5, first 2 shown]
	s_xor_b64 s[2:3], exec, s[2:3]
	s_mov_b64 s[14:15], s[22:23]
	v_readlane_b32 s9, v254, 24
	v_readlane_b32 s10, v254, 25
	;; [unrolled: 1-line block ×11, first 2 shown]
	s_cbranch_execz .LBB30_602
; %bb.601:
	s_barrier
	s_waitcnt lgkmcnt(0)
                                        ; implicit-def: $vgpr138
                                        ; implicit-def: $vgpr28
.LBB30_602:
	s_andn2_saveexec_b64 s[2:3], s[2:3]
	s_cbranch_execz .LBB30_608
; %bb.603:
	v_and_or_b32 v1, v64, 31, v137
	s_movk_i32 s4, 0x210
	v_mad_u32_u24 v0, v1, s4, 0
	ds_read_b64 v[4:5], v0 offset:512
	s_mov_b32 s4, 0x3fb8aa3b
	s_mov_b32 s6, 0x42b17218
	s_waitcnt lgkmcnt(0)
	s_barrier
	ds_bpermute_b32 v0, v28, v4
	v_max_f32_e32 v2, v4, v4
	s_waitcnt lgkmcnt(0)
	v_max_f32_e32 v0, v0, v0
	v_max_f32_e32 v0, v2, v0
	v_sub_f32_e32 v2, v4, v0
	v_mul_f32_e32 v3, 0x3fb8aa3b, v2
	v_fma_f32 v4, v2, s4, -v3
	v_rndne_f32_e32 v6, v3
	v_fmamk_f32 v4, v2, 0x32a5705f, v4
	v_sub_f32_e32 v3, v3, v6
	v_add_f32_e32 v3, v3, v4
	v_cvt_i32_f32_e32 v6, v6
	v_exp_f32_e32 v3, v3
	s_mov_b32 s4, 0xc2ce8ed0
	v_cmp_ngt_f32_e64 s[4:5], s4, v2
	v_mov_b32_e32 v4, 0x7f800000
	v_ldexp_f32 v3, v3, v6
	v_cndmask_b32_e64 v3, 0, v3, s[4:5]
	v_cmp_nlt_f32_e64 s[4:5], s6, v2
	s_nop 1
	v_cndmask_b32_e64 v2, v4, v3, s[4:5]
	v_mul_f32_e32 v3, v5, v2
	ds_bpermute_b32 v3, v28, v3
	v_cmp_gt_u32_e64 s[4:5], 32, v64
	s_waitcnt lgkmcnt(0)
	v_fmac_f32_e32 v3, v5, v2
	s_and_saveexec_b64 s[6:7], s[4:5]
	s_cbranch_execz .LBB30_605
; %bb.604:
	v_mul_u32_u24_e32 v1, 0x210, v1
	v_add_u32_e32 v1, 0, v1
	ds_write_b64 v1, v[2:3] offset:512
.LBB30_605:
	s_or_b64 exec, exec, s[6:7]
	s_and_saveexec_b64 s[4:5], s[0:1]
	s_cbranch_execz .LBB30_607
; %bb.606:
	s_add_i32 s0, s67, s38
	s_lshl_b32 s0, s0, 5
	s_mov_b32 s1, 0
	s_lshl_b64 s[0:1], s[0:1], 3
	s_add_u32 s0, s14, s0
	v_or_b32_e32 v1, v138, v64
	s_addc_u32 s1, s15, s1
	v_lshlrev_b32_e32 v2, 3, v1
	v_mov_b32_e32 v1, v3
	global_store_dwordx2 v2, v[0:1], s[0:1]
.LBB30_607:
	s_or_b64 exec, exec, s[4:5]
.LBB30_608:
	s_or_b64 exec, exec, s[2:3]
	v_accvgpr_read_b32 v0, a60
	v_accvgpr_read_b32 v1, a61
	;; [unrolled: 1-line block ×3, first 2 shown]
	v_cvt_f16_f32_e32 v0, v0
	v_cvt_f16_f32_e32 v1, v1
	v_accvgpr_read_b32 v62, a2
	v_accvgpr_read_b32 v61, a1
	v_accvgpr_read_b32 v60, a0
	v_accvgpr_read_b32 v59, a7
	v_accvgpr_read_b32 v55, a11
	v_accvgpr_read_b32 v51, a15
	v_accvgpr_read_b32 v47, a19
	v_accvgpr_read_b32 v43, a23
	v_accvgpr_read_b32 v39, a27
	v_accvgpr_read_b32 v35, a31
	v_accvgpr_read_b32 v28, a32
	v_accvgpr_read_b32 v24, a36
	v_accvgpr_read_b32 v20, a40
	v_accvgpr_read_b32 v16, a44
	v_accvgpr_read_b32 v12, a48
	v_accvgpr_read_b32 v8, a52
	v_accvgpr_read_b32 v4, a56
	v_accvgpr_read_b32 v58, a6
	v_accvgpr_read_b32 v57, a5
	v_accvgpr_read_b32 v56, a4
	v_accvgpr_read_b32 v54, a10
	v_accvgpr_read_b32 v53, a9
	v_accvgpr_read_b32 v52, a8
	v_accvgpr_read_b32 v50, a14
	v_accvgpr_read_b32 v49, a13
	v_accvgpr_read_b32 v48, a12
	v_accvgpr_read_b32 v46, a18
	v_accvgpr_read_b32 v45, a17
	v_accvgpr_read_b32 v44, a16
	v_accvgpr_read_b32 v42, a22
	v_accvgpr_read_b32 v41, a21
	v_accvgpr_read_b32 v40, a20
	v_accvgpr_read_b32 v38, a26
	v_accvgpr_read_b32 v37, a25
	v_accvgpr_read_b32 v36, a24
	v_accvgpr_read_b32 v34, a30
	v_accvgpr_read_b32 v33, a29
	v_accvgpr_read_b32 v32, a28
	v_accvgpr_read_b32 v29, a33
	v_accvgpr_read_b32 v30, a34
	v_accvgpr_read_b32 v31, a35
	v_accvgpr_read_b32 v25, a37
	v_accvgpr_read_b32 v26, a38
	v_accvgpr_read_b32 v27, a39
	v_accvgpr_read_b32 v21, a41
	v_accvgpr_read_b32 v22, a42
	v_accvgpr_read_b32 v23, a43
	v_accvgpr_read_b32 v17, a45
	v_accvgpr_read_b32 v18, a46
	v_accvgpr_read_b32 v19, a47
	v_accvgpr_read_b32 v13, a49
	v_accvgpr_read_b32 v14, a50
	v_accvgpr_read_b32 v15, a51
	v_accvgpr_read_b32 v9, a53
	v_accvgpr_read_b32 v10, a54
	v_accvgpr_read_b32 v11, a55
	v_accvgpr_read_b32 v5, a57
	v_accvgpr_read_b32 v6, a58
	v_accvgpr_read_b32 v7, a59
	v_accvgpr_read_b32 v2, a62
	v_accvgpr_read_b32 v3, a63
	v_cvt_f16_f32_e32 v60, v60
	v_cvt_f16_f32_e32 v61, v61
	;; [unrolled: 1-line block ×62, first 2 shown]
	v_pack_b32_f16 v0, v0, v1
	v_or_b32_e32 v1, v137, v156
	s_movk_i32 s0, 0x84
	v_mad_u32_u24 v1, v1, s0, v141
	v_pack_b32_f16 v62, v62, v63
	v_pack_b32_f16 v60, v60, v61
	s_mov_b32 s3, 0
	v_lshl_add_u32 v1, v1, 2, 0
	v_pack_b32_f16 v58, v58, v59
	v_pack_b32_f16 v56, v56, v57
	;; [unrolled: 1-line block ×29, first 2 shown]
	ds_write2_b32 v1, v60, v62 offset1:1
	ds_write2_b32 v1, v56, v58 offset0:8 offset1:9
	ds_write2_b32 v1, v52, v54 offset0:16 offset1:17
	;; [unrolled: 1-line block ×15, first 2 shown]
	s_waitcnt lgkmcnt(0)
	s_barrier
	s_and_saveexec_b64 s[0:1], vcc
	s_cbranch_execz .LBB30_610
; %bb.609:
	s_lshl_b32 s2, s67, 6
	s_lshl_b64 s[4:5], s[2:3], 3
	s_add_u32 s4, s14, s4
	s_addc_u32 s5, s15, s5
	s_lshl_b32 s2, s38, 12
	s_lshl_b64 s[2:3], s[2:3], 3
	s_add_u32 s2, s4, s2
	v_bfe_u32 v1, v194, 1, 4
	s_movk_i32 s4, 0x3e0
	v_and_or_b32 v0, v194, s4, v1
	s_movk_i32 s4, 0x210
	v_mad_u32_u24 v6, v0, s4, 0
	v_add_u32_e32 v0, v6, v140
	ds_read2st64_b32 v[2:3], v0 offset1:1
	ds_read2st64_b32 v[4:5], v0 offset0:33 offset1:34
	ds_read2st64_b32 v[6:7], v6 offset0:2 offset1:35
	v_lshrrev_b32_e32 v0, 1, v194
	s_addc_u32 s3, s5, s3
	s_waitcnt lgkmcnt(2)
	v_cvt_f32_f16_e32 v8, v2
	v_cvt_f32_f16_sdwa v9, v2 dst_sel:DWORD dst_unused:UNUSED_PAD src0_sel:WORD_1
	s_waitcnt lgkmcnt(1)
	v_cvt_f32_f16_e32 v10, v4
	v_cvt_f32_f16_sdwa v11, v4 dst_sel:DWORD dst_unused:UNUSED_PAD src0_sel:WORD_1
	s_waitcnt lgkmcnt(0)
	v_mov_b32_e32 v2, v7
	v_pk_fma_f32 v[8:9], v[6:7], v[8:9], 0 op_sel_hi:[0,1,0]
	v_lshlrev_b32_e32 v4, 6, v194
	v_pk_fma_f32 v[8:9], v[2:3], v[10:11], v[8:9] op_sel_hi:[0,1,1]
	v_cvt_f32_f16_e32 v10, v3
	v_cvt_f32_f16_sdwa v11, v3 dst_sel:DWORD dst_unused:UNUSED_PAD src0_sel:WORD_1
	v_add_lshl_u32 v12, v64, v4, 3
	v_cvt_f32_f16_e32 v4, v5
	v_cvt_f32_f16_sdwa v5, v5 dst_sel:DWORD dst_unused:UNUSED_PAD src0_sel:WORD_1
	v_pk_fma_f32 v[6:7], v[6:7], v[10:11], 0 op_sel_hi:[0,1,0]
	s_movk_i32 s5, 0x7e0
	global_store_dwordx2 v12, v[8:9], s[2:3]
	v_pk_fma_f32 v[2:3], v[2:3], v[4:5], v[6:7] op_sel_hi:[0,1,1]
	v_add_u32_e32 v6, 2, v0
	v_lshlrev_b32_e32 v4, 1, v6
	v_and_b32_e32 v5, 15, v6
	v_and_or_b32 v4, v4, s5, v5
	v_mad_u32_u24 v7, v4, s4, 0
	v_add_u32_e32 v8, v7, v140
	ds_read2st64_b32 v[4:5], v8 offset1:1
	global_store_dwordx2 v12, v[2:3], s[2:3] offset:512
	ds_read2st64_b32 v[2:3], v8 offset0:33 offset1:34
	ds_read2st64_b32 v[8:9], v7 offset0:2 offset1:35
	v_lshlrev_b32_e32 v6, 7, v6
	s_waitcnt lgkmcnt(2)
	v_cvt_f32_f16_e32 v10, v4
	v_cvt_f32_f16_sdwa v11, v4 dst_sel:DWORD dst_unused:UNUSED_PAD src0_sel:WORD_1
	s_waitcnt lgkmcnt(1)
	v_cvt_f32_f16_e32 v12, v2
	v_cvt_f32_f16_sdwa v13, v2 dst_sel:DWORD dst_unused:UNUSED_PAD src0_sel:WORD_1
	s_waitcnt lgkmcnt(0)
	v_mov_b32_e32 v2, v9
	v_pk_fma_f32 v[10:11], v[8:9], v[10:11], 0 op_sel_hi:[0,1,0]
	v_add_lshl_u32 v4, v64, v6, 3
	v_pk_fma_f32 v[10:11], v[2:3], v[12:13], v[10:11] op_sel_hi:[0,1,1]
	global_store_dwordx2 v4, v[10:11], s[2:3]
	v_cvt_f32_f16_e32 v4, v5
	v_cvt_f32_f16_sdwa v5, v5 dst_sel:DWORD dst_unused:UNUSED_PAD src0_sel:WORD_1
	v_cvt_f32_f16_e32 v10, v3
	v_cvt_f32_f16_sdwa v11, v3 dst_sel:DWORD dst_unused:UNUSED_PAD src0_sel:WORD_1
	v_mov_b32_e32 v65, 0
	v_pk_fma_f32 v[4:5], v[8:9], v[4:5], 0 op_sel_hi:[0,1,0]
	v_add_u32_e32 v8, 4, v0
	v_pk_fma_f32 v[2:3], v[2:3], v[10:11], v[4:5] op_sel_hi:[0,1,1]
	v_lshlrev_b32_e32 v4, 1, v8
	v_and_b32_e32 v5, 15, v8
	v_and_or_b32 v4, v4, s5, v5
	v_mov_b32_e32 v7, v65
	v_mad_u32_u24 v9, v4, s4, 0
	v_lshl_add_u64 v[6:7], v[64:65], 0, v[6:7]
	v_add_u32_e32 v10, v9, v140
	v_lshl_add_u64 v[6:7], v[6:7], 3, s[2:3]
	ds_read2st64_b32 v[4:5], v10 offset1:1
	global_store_dwordx2 v[6:7], v[2:3], off offset:512
	ds_read2st64_b32 v[2:3], v10 offset0:33 offset1:34
	v_lshlrev_b32_e32 v6, 7, v8
	ds_read2st64_b32 v[8:9], v9 offset0:2 offset1:35
	s_waitcnt lgkmcnt(2)
	v_cvt_f32_f16_e32 v10, v4
	v_cvt_f32_f16_sdwa v11, v4 dst_sel:DWORD dst_unused:UNUSED_PAD src0_sel:WORD_1
	s_waitcnt lgkmcnt(1)
	v_cvt_f32_f16_e32 v12, v2
	v_cvt_f32_f16_sdwa v13, v2 dst_sel:DWORD dst_unused:UNUSED_PAD src0_sel:WORD_1
	s_waitcnt lgkmcnt(0)
	v_mov_b32_e32 v2, v9
	v_pk_fma_f32 v[10:11], v[8:9], v[10:11], 0 op_sel_hi:[0,1,0]
	v_add_lshl_u32 v4, v64, v6, 3
	v_pk_fma_f32 v[10:11], v[2:3], v[12:13], v[10:11] op_sel_hi:[0,1,1]
	global_store_dwordx2 v4, v[10:11], s[2:3]
	v_cvt_f32_f16_e32 v4, v5
	v_cvt_f32_f16_sdwa v5, v5 dst_sel:DWORD dst_unused:UNUSED_PAD src0_sel:WORD_1
	v_cvt_f32_f16_e32 v10, v3
	v_cvt_f32_f16_sdwa v11, v3 dst_sel:DWORD dst_unused:UNUSED_PAD src0_sel:WORD_1
	v_mov_b32_e32 v7, v65
	v_pk_fma_f32 v[4:5], v[8:9], v[4:5], 0 op_sel_hi:[0,1,0]
	v_add_u32_e32 v8, 6, v0
	v_pk_fma_f32 v[2:3], v[2:3], v[10:11], v[4:5] op_sel_hi:[0,1,1]
	v_lshlrev_b32_e32 v4, 1, v8
	v_and_b32_e32 v5, 15, v8
	v_and_or_b32 v4, v4, s5, v5
	v_mad_u32_u24 v9, v4, s4, 0
	v_lshl_add_u64 v[6:7], v[64:65], 0, v[6:7]
	v_add_u32_e32 v10, v9, v140
	v_lshl_add_u64 v[6:7], v[6:7], 3, s[2:3]
	ds_read2st64_b32 v[4:5], v10 offset1:1
	global_store_dwordx2 v[6:7], v[2:3], off offset:512
	ds_read2st64_b32 v[2:3], v10 offset0:33 offset1:34
	v_lshlrev_b32_e32 v6, 7, v8
	ds_read2st64_b32 v[8:9], v9 offset0:2 offset1:35
	s_waitcnt lgkmcnt(2)
	v_cvt_f32_f16_e32 v10, v4
	v_cvt_f32_f16_sdwa v11, v4 dst_sel:DWORD dst_unused:UNUSED_PAD src0_sel:WORD_1
	s_waitcnt lgkmcnt(1)
	v_cvt_f32_f16_e32 v12, v2
	v_cvt_f32_f16_sdwa v13, v2 dst_sel:DWORD dst_unused:UNUSED_PAD src0_sel:WORD_1
	s_waitcnt lgkmcnt(0)
	v_mov_b32_e32 v2, v9
	v_pk_fma_f32 v[10:11], v[8:9], v[10:11], 0 op_sel_hi:[0,1,0]
	v_add_lshl_u32 v4, v64, v6, 3
	v_pk_fma_f32 v[10:11], v[2:3], v[12:13], v[10:11] op_sel_hi:[0,1,1]
	global_store_dwordx2 v4, v[10:11], s[2:3]
	v_cvt_f32_f16_e32 v4, v5
	v_cvt_f32_f16_sdwa v5, v5 dst_sel:DWORD dst_unused:UNUSED_PAD src0_sel:WORD_1
	v_cvt_f32_f16_e32 v10, v3
	v_cvt_f32_f16_sdwa v11, v3 dst_sel:DWORD dst_unused:UNUSED_PAD src0_sel:WORD_1
	v_mov_b32_e32 v7, v65
	v_pk_fma_f32 v[4:5], v[8:9], v[4:5], 0 op_sel_hi:[0,1,0]
	v_add_u32_e32 v8, 8, v0
	v_pk_fma_f32 v[2:3], v[2:3], v[10:11], v[4:5] op_sel_hi:[0,1,1]
	v_lshlrev_b32_e32 v4, 1, v8
	v_and_b32_e32 v5, 15, v8
	v_and_or_b32 v4, v4, s5, v5
	;; [unrolled: 32-line block ×5, first 2 shown]
	v_mad_u32_u24 v9, v4, s4, 0
	v_lshl_add_u64 v[6:7], v[64:65], 0, v[6:7]
	v_add_u32_e32 v10, v9, v140
	v_lshl_add_u64 v[6:7], v[6:7], 3, s[2:3]
	ds_read2st64_b32 v[4:5], v10 offset1:1
	global_store_dwordx2 v[6:7], v[2:3], off offset:512
	ds_read2st64_b32 v[2:3], v10 offset0:33 offset1:34
	v_lshlrev_b32_e32 v6, 7, v8
	ds_read2st64_b32 v[8:9], v9 offset0:2 offset1:35
	s_waitcnt lgkmcnt(2)
	v_cvt_f32_f16_e32 v10, v4
	v_cvt_f32_f16_sdwa v11, v4 dst_sel:DWORD dst_unused:UNUSED_PAD src0_sel:WORD_1
	s_waitcnt lgkmcnt(1)
	v_cvt_f32_f16_e32 v12, v2
	v_cvt_f32_f16_sdwa v13, v2 dst_sel:DWORD dst_unused:UNUSED_PAD src0_sel:WORD_1
	s_waitcnt lgkmcnt(0)
	v_mov_b32_e32 v2, v9
	v_pk_fma_f32 v[10:11], v[8:9], v[10:11], 0 op_sel_hi:[0,1,0]
	v_add_lshl_u32 v4, v64, v6, 3
	v_pk_fma_f32 v[10:11], v[2:3], v[12:13], v[10:11] op_sel_hi:[0,1,1]
	global_store_dwordx2 v4, v[10:11], s[2:3]
	v_cvt_f32_f16_e32 v4, v5
	v_cvt_f32_f16_sdwa v5, v5 dst_sel:DWORD dst_unused:UNUSED_PAD src0_sel:WORD_1
	v_cvt_f32_f16_e32 v10, v3
	v_cvt_f32_f16_sdwa v11, v3 dst_sel:DWORD dst_unused:UNUSED_PAD src0_sel:WORD_1
	v_mov_b32_e32 v7, v65
	v_pk_fma_f32 v[4:5], v[8:9], v[4:5], 0 op_sel_hi:[0,1,0]
	v_add_u32_e32 v8, 16, v0
	v_pk_fma_f32 v[2:3], v[2:3], v[10:11], v[4:5] op_sel_hi:[0,1,1]
	v_lshlrev_b32_e32 v4, 1, v8
	v_and_or_b32 v1, v4, s5, v1
	v_mad_u32_u24 v1, v1, s4, 0
	v_lshl_add_u64 v[6:7], v[64:65], 0, v[6:7]
	v_add_u32_e32 v9, v1, v140
	v_lshl_add_u64 v[6:7], v[6:7], 3, s[2:3]
	ds_read2st64_b32 v[4:5], v9 offset1:1
	global_store_dwordx2 v[6:7], v[2:3], off offset:512
	ds_read2st64_b32 v[2:3], v9 offset0:33 offset1:34
	v_lshlrev_b32_e32 v6, 7, v8
	ds_read2st64_b32 v[8:9], v1 offset0:2 offset1:35
	s_waitcnt lgkmcnt(2)
	v_cvt_f32_f16_e32 v10, v4
	v_cvt_f32_f16_sdwa v11, v4 dst_sel:DWORD dst_unused:UNUSED_PAD src0_sel:WORD_1
	s_waitcnt lgkmcnt(1)
	v_cvt_f32_f16_e32 v12, v2
	v_cvt_f32_f16_sdwa v13, v2 dst_sel:DWORD dst_unused:UNUSED_PAD src0_sel:WORD_1
	s_waitcnt lgkmcnt(0)
	v_mov_b32_e32 v2, v9
	v_pk_fma_f32 v[10:11], v[8:9], v[10:11], 0 op_sel_hi:[0,1,0]
	v_add_lshl_u32 v1, v64, v6, 3
	v_pk_fma_f32 v[10:11], v[2:3], v[12:13], v[10:11] op_sel_hi:[0,1,1]
	v_cvt_f32_f16_e32 v4, v5
	v_cvt_f32_f16_sdwa v5, v5 dst_sel:DWORD dst_unused:UNUSED_PAD src0_sel:WORD_1
	global_store_dwordx2 v1, v[10:11], s[2:3]
	v_cvt_f32_f16_e32 v10, v3
	v_cvt_f32_f16_sdwa v11, v3 dst_sel:DWORD dst_unused:UNUSED_PAD src0_sel:WORD_1
	v_pk_fma_f32 v[4:5], v[8:9], v[4:5], 0 op_sel_hi:[0,1,0]
	v_add_u32_e32 v1, 18, v0
	v_mov_b32_e32 v7, v65
	v_pk_fma_f32 v[2:3], v[2:3], v[10:11], v[4:5] op_sel_hi:[0,1,1]
	v_lshlrev_b32_e32 v4, 1, v1
	v_and_b32_e32 v5, 15, v1
	v_and_or_b32 v4, v4, s5, v5
	v_mad_u32_u24 v8, v4, s4, 0
	v_lshl_add_u64 v[6:7], v[64:65], 0, v[6:7]
	v_add_u32_e32 v9, v8, v140
	v_lshl_add_u64 v[6:7], v[6:7], 3, s[2:3]
	ds_read2st64_b32 v[4:5], v9 offset1:1
	global_store_dwordx2 v[6:7], v[2:3], off offset:512
	ds_read2st64_b32 v[2:3], v9 offset0:33 offset1:34
	ds_read2st64_b32 v[8:9], v8 offset0:2 offset1:35
	v_lshlrev_b32_e32 v6, 7, v1
	s_waitcnt lgkmcnt(2)
	v_cvt_f32_f16_e32 v10, v4
	v_cvt_f32_f16_sdwa v11, v4 dst_sel:DWORD dst_unused:UNUSED_PAD src0_sel:WORD_1
	s_waitcnt lgkmcnt(1)
	v_cvt_f32_f16_e32 v12, v2
	v_cvt_f32_f16_sdwa v13, v2 dst_sel:DWORD dst_unused:UNUSED_PAD src0_sel:WORD_1
	s_waitcnt lgkmcnt(0)
	v_mov_b32_e32 v2, v9
	v_pk_fma_f32 v[10:11], v[8:9], v[10:11], 0 op_sel_hi:[0,1,0]
	v_add_lshl_u32 v1, v64, v6, 3
	v_pk_fma_f32 v[10:11], v[2:3], v[12:13], v[10:11] op_sel_hi:[0,1,1]
	v_cvt_f32_f16_e32 v4, v5
	v_cvt_f32_f16_sdwa v5, v5 dst_sel:DWORD dst_unused:UNUSED_PAD src0_sel:WORD_1
	global_store_dwordx2 v1, v[10:11], s[2:3]
	v_cvt_f32_f16_e32 v10, v3
	v_cvt_f32_f16_sdwa v11, v3 dst_sel:DWORD dst_unused:UNUSED_PAD src0_sel:WORD_1
	v_pk_fma_f32 v[4:5], v[8:9], v[4:5], 0 op_sel_hi:[0,1,0]
	v_add_u32_e32 v1, 20, v0
	v_mov_b32_e32 v7, v65
	v_pk_fma_f32 v[2:3], v[2:3], v[10:11], v[4:5] op_sel_hi:[0,1,1]
	v_lshlrev_b32_e32 v4, 1, v1
	v_and_b32_e32 v5, 15, v1
	v_and_or_b32 v4, v4, s5, v5
	v_mad_u32_u24 v8, v4, s4, 0
	v_lshl_add_u64 v[6:7], v[64:65], 0, v[6:7]
	v_add_u32_e32 v9, v8, v140
	v_lshl_add_u64 v[6:7], v[6:7], 3, s[2:3]
	ds_read2st64_b32 v[4:5], v9 offset1:1
	global_store_dwordx2 v[6:7], v[2:3], off offset:512
	ds_read2st64_b32 v[2:3], v9 offset0:33 offset1:34
	ds_read2st64_b32 v[8:9], v8 offset0:2 offset1:35
	v_lshlrev_b32_e32 v6, 7, v1
	;; [unrolled: 32-line block ×6, first 2 shown]
	s_waitcnt lgkmcnt(2)
	v_cvt_f32_f16_e32 v10, v4
	v_cvt_f32_f16_sdwa v11, v4 dst_sel:DWORD dst_unused:UNUSED_PAD src0_sel:WORD_1
	s_waitcnt lgkmcnt(1)
	v_cvt_f32_f16_e32 v12, v2
	v_cvt_f32_f16_sdwa v13, v2 dst_sel:DWORD dst_unused:UNUSED_PAD src0_sel:WORD_1
	s_waitcnt lgkmcnt(0)
	v_mov_b32_e32 v2, v9
	v_pk_fma_f32 v[10:11], v[8:9], v[10:11], 0 op_sel_hi:[0,1,0]
	v_add_lshl_u32 v1, v64, v6, 3
	v_pk_fma_f32 v[10:11], v[2:3], v[12:13], v[10:11] op_sel_hi:[0,1,1]
	v_cvt_f32_f16_e32 v4, v5
	v_cvt_f32_f16_sdwa v5, v5 dst_sel:DWORD dst_unused:UNUSED_PAD src0_sel:WORD_1
	global_store_dwordx2 v1, v[10:11], s[2:3]
	v_cvt_f32_f16_e32 v10, v3
	v_cvt_f32_f16_sdwa v11, v3 dst_sel:DWORD dst_unused:UNUSED_PAD src0_sel:WORD_1
	v_pk_fma_f32 v[4:5], v[8:9], v[4:5], 0 op_sel_hi:[0,1,0]
	v_mov_b32_e32 v7, v65
	v_lshl_add_u64 v[6:7], v[64:65], 0, v[6:7]
	v_pk_fma_f32 v[2:3], v[2:3], v[10:11], v[4:5] op_sel_hi:[0,1,1]
	v_add_u32_e32 v4, 30, v0
	v_lshlrev_b32_e32 v0, 1, v4
	v_and_b32_e32 v1, 15, v4
	v_and_or_b32 v0, v0, s5, v1
	v_mad_u32_u24 v5, v0, s4, 0
	v_add_u32_e32 v8, v5, v140
	v_lshl_add_u64 v[6:7], v[6:7], 3, s[2:3]
	ds_read2st64_b32 v[0:1], v8 offset1:1
	global_store_dwordx2 v[6:7], v[2:3], off offset:512
	ds_read2st64_b32 v[2:3], v8 offset0:33 offset1:34
	ds_read2st64_b32 v[6:7], v5 offset0:2 offset1:35
	v_lshlrev_b32_e32 v4, 7, v4
	s_waitcnt lgkmcnt(2)
	v_cvt_f32_f16_e32 v8, v0
	v_cvt_f32_f16_sdwa v9, v0 dst_sel:DWORD dst_unused:UNUSED_PAD src0_sel:WORD_1
	s_waitcnt lgkmcnt(1)
	v_cvt_f32_f16_e32 v10, v2
	v_cvt_f32_f16_sdwa v11, v2 dst_sel:DWORD dst_unused:UNUSED_PAD src0_sel:WORD_1
	s_waitcnt lgkmcnt(0)
	v_mov_b32_e32 v0, v7
	v_pk_fma_f32 v[8:9], v[6:7], v[8:9], 0 op_sel_hi:[0,1,0]
	v_add_lshl_u32 v2, v64, v4, 3
	v_pk_fma_f32 v[8:9], v[0:1], v[10:11], v[8:9] op_sel_hi:[0,1,1]
	global_store_dwordx2 v2, v[8:9], s[2:3]
	v_cvt_f32_f16_e32 v8, v1
	v_cvt_f32_f16_sdwa v9, v1 dst_sel:DWORD dst_unused:UNUSED_PAD src0_sel:WORD_1
	v_cvt_f32_f16_e32 v2, v3
	v_cvt_f32_f16_sdwa v3, v3 dst_sel:DWORD dst_unused:UNUSED_PAD src0_sel:WORD_1
	v_mov_b32_e32 v5, v65
	v_lshl_add_u64 v[4:5], v[64:65], 0, v[4:5]
	v_pk_fma_f32 v[6:7], v[6:7], v[8:9], 0 op_sel_hi:[0,1,0]
	v_lshl_add_u64 v[4:5], v[4:5], 3, s[2:3]
	v_pk_fma_f32 v[0:1], v[0:1], v[2:3], v[6:7] op_sel_hi:[0,1,1]
	global_store_dwordx2 v[4:5], v[0:1], off offset:512
.LBB30_610:
	s_or_b64 exec, exec, s[0:1]
	s_barrier
	s_endpgm
	.section	.rodata,"a",@progbits
	.p2align	6, 0x0
	.amdhsa_kernel _ZL18flash_attn_ext_f16ILi256ELi256ELi32ELi1ELb1ELb0EEvPKcS1_S1_S1_S1_PKiPfP15HIP_vector_typeIfLj2EEffffjfiS5_IjLj3EEiiiiiiiiiiiliiliiiiil
		.amdhsa_group_segment_fixed_size 0
		.amdhsa_private_segment_fixed_size 32
		.amdhsa_kernarg_size 464
		.amdhsa_user_sgpr_count 2
		.amdhsa_user_sgpr_dispatch_ptr 0
		.amdhsa_user_sgpr_queue_ptr 0
		.amdhsa_user_sgpr_kernarg_segment_ptr 1
		.amdhsa_user_sgpr_dispatch_id 0
		.amdhsa_user_sgpr_kernarg_preload_length 0
		.amdhsa_user_sgpr_kernarg_preload_offset 0
		.amdhsa_user_sgpr_private_segment_size 0
		.amdhsa_uses_dynamic_stack 0
		.amdhsa_enable_private_segment 1
		.amdhsa_system_sgpr_workgroup_id_x 1
		.amdhsa_system_sgpr_workgroup_id_y 0
		.amdhsa_system_sgpr_workgroup_id_z 0
		.amdhsa_system_sgpr_workgroup_info 0
		.amdhsa_system_vgpr_workitem_id 1
		.amdhsa_next_free_vgpr 461
		.amdhsa_next_free_sgpr 100
		.amdhsa_accum_offset 256
		.amdhsa_reserve_vcc 1
		.amdhsa_float_round_mode_32 0
		.amdhsa_float_round_mode_16_64 0
		.amdhsa_float_denorm_mode_32 3
		.amdhsa_float_denorm_mode_16_64 3
		.amdhsa_dx10_clamp 1
		.amdhsa_ieee_mode 1
		.amdhsa_fp16_overflow 0
		.amdhsa_tg_split 0
		.amdhsa_exception_fp_ieee_invalid_op 0
		.amdhsa_exception_fp_denorm_src 0
		.amdhsa_exception_fp_ieee_div_zero 0
		.amdhsa_exception_fp_ieee_overflow 0
		.amdhsa_exception_fp_ieee_underflow 0
		.amdhsa_exception_fp_ieee_inexact 0
		.amdhsa_exception_int_div_zero 0
	.end_amdhsa_kernel
	.section	.text._ZL18flash_attn_ext_f16ILi256ELi256ELi32ELi1ELb1ELb0EEvPKcS1_S1_S1_S1_PKiPfP15HIP_vector_typeIfLj2EEffffjfiS5_IjLj3EEiiiiiiiiiiiliiliiiiil,"axG",@progbits,_ZL18flash_attn_ext_f16ILi256ELi256ELi32ELi1ELb1ELb0EEvPKcS1_S1_S1_S1_PKiPfP15HIP_vector_typeIfLj2EEffffjfiS5_IjLj3EEiiiiiiiiiiiliiliiiiil,comdat
.Lfunc_end30:
	.size	_ZL18flash_attn_ext_f16ILi256ELi256ELi32ELi1ELb1ELb0EEvPKcS1_S1_S1_S1_PKiPfP15HIP_vector_typeIfLj2EEffffjfiS5_IjLj3EEiiiiiiiiiiiliiliiiiil, .Lfunc_end30-_ZL18flash_attn_ext_f16ILi256ELi256ELi32ELi1ELb1ELb0EEvPKcS1_S1_S1_S1_PKiPfP15HIP_vector_typeIfLj2EEffffjfiS5_IjLj3EEiiiiiiiiiiiliiliiiiil
                                        ; -- End function
	.section	.AMDGPU.csdata,"",@progbits
; Kernel info:
; codeLenInByte = 111252
; NumSgprs: 106
; NumVgprs: 256
; NumAgprs: 205
; TotalNumVgprs: 461
; ScratchSize: 32
; MemoryBound: 0
; FloatMode: 240
; IeeeMode: 1
; LDSByteSize: 0 bytes/workgroup (compile time only)
; SGPRBlocks: 13
; VGPRBlocks: 57
; NumSGPRsForWavesPerEU: 106
; NumVGPRsForWavesPerEU: 461
; AccumOffset: 256
; Occupancy: 1
; WaveLimiterHint : 1
; COMPUTE_PGM_RSRC2:SCRATCH_EN: 1
; COMPUTE_PGM_RSRC2:USER_SGPR: 2
; COMPUTE_PGM_RSRC2:TRAP_HANDLER: 0
; COMPUTE_PGM_RSRC2:TGID_X_EN: 1
; COMPUTE_PGM_RSRC2:TGID_Y_EN: 0
; COMPUTE_PGM_RSRC2:TGID_Z_EN: 0
; COMPUTE_PGM_RSRC2:TIDIG_COMP_CNT: 1
; COMPUTE_PGM_RSRC3_GFX90A:ACCUM_OFFSET: 63
; COMPUTE_PGM_RSRC3_GFX90A:TG_SPLIT: 0
	.section	.text._ZL33flash_attn_stream_k_fixup_uniformILi256ELi32ELi1EEvPfPK15HIP_vector_typeIfLj2EEiiiiiiS1_IjLj3EES5_S5_,"axG",@progbits,_ZL33flash_attn_stream_k_fixup_uniformILi256ELi32ELi1EEvPfPK15HIP_vector_typeIfLj2EEiiiiiiS1_IjLj3EES5_S5_,comdat
	.globl	_ZL33flash_attn_stream_k_fixup_uniformILi256ELi32ELi1EEvPfPK15HIP_vector_typeIfLj2EEiiiiiiS1_IjLj3EES5_S5_ ; -- Begin function _ZL33flash_attn_stream_k_fixup_uniformILi256ELi32ELi1EEvPfPK15HIP_vector_typeIfLj2EEiiiiiiS1_IjLj3EES5_S5_
	.p2align	8
	.type	_ZL33flash_attn_stream_k_fixup_uniformILi256ELi32ELi1EEvPfPK15HIP_vector_typeIfLj2EEiiiiiiS1_IjLj3EES5_S5_,@function
_ZL33flash_attn_stream_k_fixup_uniformILi256ELi32ELi1EEvPfPK15HIP_vector_typeIfLj2EEiiiiiiS1_IjLj3EES5_S5_: ; @_ZL33flash_attn_stream_k_fixup_uniformILi256ELi32ELi1EEvPfPK15HIP_vector_typeIfLj2EEiiiiiiS1_IjLj3EES5_S5_
; %bb.0:
	s_load_dwordx8 s[8:15], s[0:1], 0x1c
	s_load_dwordx2 s[6:7], s[0:1], 0x10
	s_load_dwordx4 s[20:23], s[0:1], 0x3c
	s_waitcnt lgkmcnt(0)
	s_mul_hi_u32 s5, s11, s2
	s_add_i32 s5, s2, s5
	s_lshr_b32 s5, s5, s12
	s_mul_i32 s11, s5, s13
	s_sub_i32 s11, s2, s11
	s_mul_hi_u32 s12, s11, s14
	s_add_i32 s12, s11, s12
	s_lshr_b32 s16, s12, s15
	s_mul_i32 s12, s16, s20
	s_sub_i32 s12, s11, s12
	;; [unrolled: 5-line block ×3, first 2 shown]
	s_lshl_b32 s12, s17, 5
	s_add_i32 s12, s12, s3
	s_cmp_lt_i32 s12, s6
	s_cselect_b64 s[12:13], -1, 0
	s_add_i32 s14, s11, s4
	s_cmp_lt_i32 s14, s9
	s_cselect_b64 s[14:15], -1, 0
	s_and_b64 s[12:13], s[12:13], s[14:15]
	s_andn2_b64 vcc, exec, s[12:13]
	s_cbranch_vccnz .LBB31_6
; %bb.1:
	s_load_dwordx4 s[12:15], s[0:1], 0x0
	s_mul_i32 s0, s5, s6
	s_add_i32 s0, s0, s3
	s_mul_i32 s0, s0, s7
	s_mul_i32 s16, s16, s9
	s_add_i32 s0, s0, s4
	s_add_i32 s0, s0, s16
	s_mul_i32 s1, s7, s17
	s_add_i32 s0, s0, s11
	s_lshl_b32 s1, s1, 13
	s_lshl_b32 s0, s0, 8
	s_add_i32 s1, s1, s0
	v_or_b32_e32 v4, s1, v0
	s_waitcnt lgkmcnt(0)
	v_mov_b32_e32 v2, s12
	v_mov_b32_e32 v3, s13
	v_ashrrev_i32_e32 v5, 31, v4
	v_lshl_add_u64 v[2:3], v[4:5], 2, v[2:3]
	global_load_dword v7, v[2:3], off
	s_mul_i32 s6, s2, s10
	s_add_i32 s7, s6, s10
	s_add_i32 s3, s3, s4
	s_lshl_b32 s0, s7, 5
	s_add_i32 s0, s3, s0
	s_sub_i32 s0, s0, 32
	s_ashr_i32 s1, s0, 31
	s_lshl_b64 s[0:1], s[0:1], 3
	s_add_u32 s0, s14, s0
	s_addc_u32 s1, s15, s1
	s_load_dword s9, s[0:1], 0x4
	s_add_i32 s4, s7, -2
	s_cmp_lt_i32 s4, s6
	s_cbranch_scc1 .LBB31_4
; %bb.2:
	s_lshl_b32 s4, s8, 7
	s_ashr_i32 s5, s4, 31
	s_lshl_b64 s[4:5], s[4:5], 2
	s_add_u32 s4, s14, s4
	s_addc_u32 s5, s15, s5
	s_add_i32 s2, s2, 1
	s_mul_i32 s2, s10, s2
	s_load_dword s0, s[0:1], 0x0
	s_lshl_b32 s1, s3, 8
	s_lshl_b32 s10, s2, 13
	s_add_i32 s1, s1, s10
	v_or_b32_e32 v0, s1, v0
	s_lshl_b32 s1, s2, 5
	s_add_i32 s1, s3, s1
	s_lshl_b32 s2, s8, 5
	s_add_i32 s1, s1, s2
	s_add_i32 s7, s7, -1
	v_add_u32_e32 v0, 0xffffc000, v0
	s_sub_i32 s2, s1, 64
	s_waitcnt lgkmcnt(0)
	v_mov_b32_e32 v6, s9
	v_mov_b32_e32 v5, s0
	s_mov_b32 s8, 0x3fb8aa3b
	s_mov_b32 s9, 0xc2ce8ed0
	;; [unrolled: 1-line block ×3, first 2 shown]
	v_mov_b32_e32 v4, 0x7f800000
	s_mov_b32 s11, 0xc1a00000
.LBB31_3:                               ; =>This Inner Loop Header: Depth=1
	v_ashrrev_i32_e32 v1, 31, v0
	v_lshl_add_u64 v[8:9], v[0:1], 2, s[4:5]
	global_load_dword v1, v[8:9], off
	s_ashr_i32 s3, s2, 31
	s_lshl_b64 s[0:1], s[2:3], 3
	s_add_u32 s0, s14, s0
	s_addc_u32 s1, s15, s1
	s_load_dwordx2 s[12:13], s[0:1], 0x0
	s_waitcnt vmcnt(1)
	v_mov_b32_e32 v8, v7
	v_max_f32_e32 v7, v5, v5
	v_mov_b32_e32 v9, v6
	s_add_i32 s7, s7, -1
	s_waitcnt lgkmcnt(0)
	v_max_f32_e64 v6, s12, s12
	v_max_f32_e32 v6, v7, v6
	v_sub_f32_e32 v10, s12, v6
	v_sub_f32_e32 v7, v5, v6
	v_mul_f32_e32 v11, 0x3fb8aa3b, v10
	v_mov_b32_e32 v5, v6
	v_mul_f32_e32 v6, 0x3fb8aa3b, v7
	v_fma_f32 v14, v10, s8, -v11
	v_rndne_f32_e32 v15, v11
	v_fma_f32 v12, v7, s8, -v6
	v_rndne_f32_e32 v13, v6
	v_fmac_f32_e32 v14, 0x32a5705f, v10
	v_sub_f32_e32 v11, v11, v15
	v_fmac_f32_e32 v12, 0x32a5705f, v7
	v_sub_f32_e32 v6, v6, v13
	v_add_f32_e32 v11, v11, v14
	v_cvt_i32_f32_e32 v15, v15
	v_add_f32_e32 v6, v6, v12
	v_exp_f32_e32 v11, v11
	v_cvt_i32_f32_e32 v13, v13
	v_exp_f32_e32 v6, v6
	v_cmp_ngt_f32_e32 vcc, s9, v10
	v_ldexp_f32 v11, v11, v15
	v_cmp_ngt_f32_e64 s[0:1], s9, v7
	v_ldexp_f32 v6, v6, v13
	v_cndmask_b32_e32 v11, 0, v11, vcc
	v_cmp_nlt_f32_e32 vcc, s10, v10
	v_cndmask_b32_e64 v6, 0, v6, s[0:1]
	v_cmp_nlt_f32_e64 s[0:1], s10, v7
	v_cndmask_b32_e32 v11, v4, v11, vcc
	v_cmp_le_f32_e32 vcc, s11, v10
	v_cndmask_b32_e64 v6, v4, v6, s[0:1]
	v_cmp_le_f32_e64 s[0:1], s11, v7
	v_cndmask_b32_e32 v7, 0, v11, vcc
	s_sub_i32 s2, s2, 32
	v_cndmask_b32_e64 v10, 0, v6, s[0:1]
	v_mul_f32_e32 v6, s13, v7
	v_add_u32_e32 v0, 0xffffe000, v0
	s_cmp_le_i32 s7, s6
	v_fmac_f32_e32 v6, v9, v10
	s_waitcnt vmcnt(0)
	v_mul_f32_e32 v7, v1, v7
	v_fmac_f32_e32 v7, v8, v10
	s_cbranch_scc0 .LBB31_3
	s_branch .LBB31_5
.LBB31_4:
	s_waitcnt lgkmcnt(0)
	v_mov_b32_e32 v6, s9
.LBB31_5:
	s_waitcnt vmcnt(0)
	v_div_scale_f32 v0, s[0:1], v6, v6, v7
	v_rcp_f32_e32 v1, v0
	v_div_scale_f32 v4, vcc, v7, v6, v7
	v_fma_f32 v5, -v0, v1, 1.0
	v_fmac_f32_e32 v1, v5, v1
	v_mul_f32_e32 v5, v4, v1
	v_fma_f32 v8, -v0, v5, v4
	v_fmac_f32_e32 v5, v8, v1
	v_fma_f32 v0, -v0, v5, v4
	v_div_fmas_f32 v0, v0, v1, v5
	v_div_fixup_f32 v0, v0, v6, v7
	global_store_dword v[2:3], v0, off
.LBB31_6:
	s_endpgm
	.section	.rodata,"a",@progbits
	.p2align	6, 0x0
	.amdhsa_kernel _ZL33flash_attn_stream_k_fixup_uniformILi256ELi32ELi1EEvPfPK15HIP_vector_typeIfLj2EEiiiiiiS1_IjLj3EES5_S5_
		.amdhsa_group_segment_fixed_size 0
		.amdhsa_private_segment_fixed_size 0
		.amdhsa_kernarg_size 76
		.amdhsa_user_sgpr_count 2
		.amdhsa_user_sgpr_dispatch_ptr 0
		.amdhsa_user_sgpr_queue_ptr 0
		.amdhsa_user_sgpr_kernarg_segment_ptr 1
		.amdhsa_user_sgpr_dispatch_id 0
		.amdhsa_user_sgpr_kernarg_preload_length 0
		.amdhsa_user_sgpr_kernarg_preload_offset 0
		.amdhsa_user_sgpr_private_segment_size 0
		.amdhsa_uses_dynamic_stack 0
		.amdhsa_enable_private_segment 0
		.amdhsa_system_sgpr_workgroup_id_x 1
		.amdhsa_system_sgpr_workgroup_id_y 1
		.amdhsa_system_sgpr_workgroup_id_z 1
		.amdhsa_system_sgpr_workgroup_info 0
		.amdhsa_system_vgpr_workitem_id 0
		.amdhsa_next_free_vgpr 16
		.amdhsa_next_free_sgpr 24
		.amdhsa_accum_offset 16
		.amdhsa_reserve_vcc 1
		.amdhsa_float_round_mode_32 0
		.amdhsa_float_round_mode_16_64 0
		.amdhsa_float_denorm_mode_32 3
		.amdhsa_float_denorm_mode_16_64 3
		.amdhsa_dx10_clamp 1
		.amdhsa_ieee_mode 1
		.amdhsa_fp16_overflow 0
		.amdhsa_tg_split 0
		.amdhsa_exception_fp_ieee_invalid_op 0
		.amdhsa_exception_fp_denorm_src 0
		.amdhsa_exception_fp_ieee_div_zero 0
		.amdhsa_exception_fp_ieee_overflow 0
		.amdhsa_exception_fp_ieee_underflow 0
		.amdhsa_exception_fp_ieee_inexact 0
		.amdhsa_exception_int_div_zero 0
	.end_amdhsa_kernel
	.section	.text._ZL33flash_attn_stream_k_fixup_uniformILi256ELi32ELi1EEvPfPK15HIP_vector_typeIfLj2EEiiiiiiS1_IjLj3EES5_S5_,"axG",@progbits,_ZL33flash_attn_stream_k_fixup_uniformILi256ELi32ELi1EEvPfPK15HIP_vector_typeIfLj2EEiiiiiiS1_IjLj3EES5_S5_,comdat
.Lfunc_end31:
	.size	_ZL33flash_attn_stream_k_fixup_uniformILi256ELi32ELi1EEvPfPK15HIP_vector_typeIfLj2EEiiiiiiS1_IjLj3EES5_S5_, .Lfunc_end31-_ZL33flash_attn_stream_k_fixup_uniformILi256ELi32ELi1EEvPfPK15HIP_vector_typeIfLj2EEiiiiiiS1_IjLj3EES5_S5_
                                        ; -- End function
	.section	.AMDGPU.csdata,"",@progbits
; Kernel info:
; codeLenInByte = 820
; NumSgprs: 30
; NumVgprs: 16
; NumAgprs: 0
; TotalNumVgprs: 16
; ScratchSize: 0
; MemoryBound: 0
; FloatMode: 240
; IeeeMode: 1
; LDSByteSize: 0 bytes/workgroup (compile time only)
; SGPRBlocks: 3
; VGPRBlocks: 1
; NumSGPRsForWavesPerEU: 30
; NumVGPRsForWavesPerEU: 16
; AccumOffset: 16
; Occupancy: 8
; WaveLimiterHint : 0
; COMPUTE_PGM_RSRC2:SCRATCH_EN: 0
; COMPUTE_PGM_RSRC2:USER_SGPR: 2
; COMPUTE_PGM_RSRC2:TRAP_HANDLER: 0
; COMPUTE_PGM_RSRC2:TGID_X_EN: 1
; COMPUTE_PGM_RSRC2:TGID_Y_EN: 1
; COMPUTE_PGM_RSRC2:TGID_Z_EN: 1
; COMPUTE_PGM_RSRC2:TIDIG_COMP_CNT: 0
; COMPUTE_PGM_RSRC3_GFX90A:ACCUM_OFFSET: 3
; COMPUTE_PGM_RSRC3_GFX90A:TG_SPLIT: 0
	.section	.text._ZL33flash_attn_stream_k_fixup_generalILi256ELi32ELi1EEvPfPK15HIP_vector_typeIfLj2EEiiiiS1_IjLj3EES5_S5_S5_,"axG",@progbits,_ZL33flash_attn_stream_k_fixup_generalILi256ELi32ELi1EEvPfPK15HIP_vector_typeIfLj2EEiiiiS1_IjLj3EES5_S5_S5_,comdat
	.globl	_ZL33flash_attn_stream_k_fixup_generalILi256ELi32ELi1EEvPfPK15HIP_vector_typeIfLj2EEiiiiS1_IjLj3EES5_S5_S5_ ; -- Begin function _ZL33flash_attn_stream_k_fixup_generalILi256ELi32ELi1EEvPfPK15HIP_vector_typeIfLj2EEiiiiS1_IjLj3EES5_S5_S5_
	.p2align	8
	.type	_ZL33flash_attn_stream_k_fixup_generalILi256ELi32ELi1EEvPfPK15HIP_vector_typeIfLj2EEiiiiS1_IjLj3EES5_S5_S5_,@function
_ZL33flash_attn_stream_k_fixup_generalILi256ELi32ELi1EEvPfPK15HIP_vector_typeIfLj2EEiiiiS1_IjLj3EES5_S5_S5_: ; @_ZL33flash_attn_stream_k_fixup_generalILi256ELi32ELi1EEvPfPK15HIP_vector_typeIfLj2EEiiiiS1_IjLj3EES5_S5_S5_
; %bb.0:
	s_load_dwordx4 s[12:15], s[0:1], 0x10
	s_load_dword s5, s[0:1], 0x50
	s_mov_b32 s8, 0
	s_waitcnt lgkmcnt(0)
	s_mul_hi_i32 s9, s15, s2
	s_cmp_lg_u64 s[8:9], 0
	s_mul_i32 s8, s15, s2
	s_cbranch_scc0 .LBB32_21
; %bb.1:
	v_cvt_f32_u32_e32 v1, s5
	v_cvt_f32_ubyte0_e32 v2, 0
	s_sub_u32 s10, 0, s5
	s_subb_u32 s11, 0, 0
	v_fmamk_f32 v1, v2, 0x4f800000, v1
	v_rcp_f32_e32 v1, v1
	s_nop 0
	v_mul_f32_e32 v1, 0x5f7ffffc, v1
	v_mul_f32_e32 v2, 0x2f800000, v1
	v_trunc_f32_e32 v2, v2
	v_fmamk_f32 v1, v2, 0xcf800000, v1
	v_cvt_u32_f32_e32 v2, v2
	v_cvt_u32_f32_e32 v1, v1
	v_readfirstlane_b32 s16, v2
	v_readfirstlane_b32 s17, v1
	s_mul_i32 s18, s10, s16
	s_mul_hi_u32 s20, s10, s17
	s_mul_i32 s19, s11, s17
	s_add_i32 s18, s20, s18
	s_add_i32 s18, s18, s19
	s_mul_i32 s21, s10, s17
	s_mul_hi_u32 s19, s17, s18
	s_mul_i32 s20, s17, s18
	s_mul_hi_u32 s17, s17, s21
	s_add_u32 s17, s17, s20
	s_addc_u32 s19, 0, s19
	s_mul_hi_u32 s22, s16, s21
	s_mul_i32 s21, s16, s21
	s_add_u32 s17, s17, s21
	s_mul_hi_u32 s20, s16, s18
	s_addc_u32 s17, s19, s22
	s_addc_u32 s19, s20, 0
	s_mul_i32 s18, s16, s18
	s_add_u32 s17, s17, s18
	s_addc_u32 s18, 0, s19
	v_add_co_u32_e32 v1, vcc, s17, v1
	s_cmp_lg_u64 vcc, 0
	s_addc_u32 s16, s16, s18
	v_readfirstlane_b32 s18, v1
	s_mul_i32 s17, s10, s16
	s_mul_hi_u32 s19, s10, s18
	s_add_i32 s17, s19, s17
	s_mul_i32 s11, s11, s18
	s_add_i32 s17, s17, s11
	s_mul_i32 s10, s10, s18
	s_mul_hi_u32 s19, s16, s10
	s_mul_i32 s20, s16, s10
	s_mul_i32 s22, s18, s17
	s_mul_hi_u32 s10, s18, s10
	s_mul_hi_u32 s21, s18, s17
	s_add_u32 s10, s10, s22
	s_addc_u32 s18, 0, s21
	s_add_u32 s10, s10, s20
	s_mul_hi_u32 s11, s16, s17
	s_addc_u32 s10, s18, s19
	s_addc_u32 s11, s11, 0
	s_mul_i32 s17, s16, s17
	s_add_u32 s10, s10, s17
	s_addc_u32 s11, 0, s11
	v_add_co_u32_e32 v1, vcc, s10, v1
	s_cmp_lg_u64 vcc, 0
	s_addc_u32 s18, s16, s11
	s_ashr_i32 s10, s9, 31
	s_add_u32 s16, s8, s10
	s_mov_b32 s11, s10
	s_addc_u32 s17, s9, s10
	s_xor_b64 s[16:17], s[16:17], s[10:11]
	v_readfirstlane_b32 s20, v1
	s_mul_i32 s19, s16, s18
	s_mul_hi_u32 s21, s16, s20
	s_mul_hi_u32 s9, s16, s18
	s_add_u32 s19, s21, s19
	s_addc_u32 s9, 0, s9
	s_mul_hi_u32 s22, s17, s20
	s_mul_i32 s20, s17, s20
	s_add_u32 s19, s19, s20
	s_mul_hi_u32 s21, s17, s18
	s_addc_u32 s9, s9, s22
	s_addc_u32 s19, s21, 0
	s_mul_i32 s18, s17, s18
	s_add_u32 s9, s9, s18
	s_addc_u32 s18, 0, s19
	s_add_u32 s19, s9, 1
	s_addc_u32 s20, s18, 0
	s_add_u32 s21, s9, 2
	s_mul_i32 s23, s5, s18
	s_mul_hi_u32 s24, s5, s9
	s_addc_u32 s22, s18, 0
	s_add_i32 s24, s24, s23
	s_mul_i32 s23, s5, s9
	v_mov_b32_e32 v1, s23
	v_sub_co_u32_e32 v1, vcc, s16, v1
	s_cmp_lg_u64 vcc, 0
	s_subb_u32 s16, s17, s24
	v_subrev_co_u32_e32 v2, vcc, s5, v1
	s_cmp_lg_u64 vcc, 0
	s_subb_u32 s17, s16, 0
	v_readfirstlane_b32 s23, v2
	s_cmp_ge_u32 s23, s5
	s_cselect_b32 s23, -1, 0
	s_cmp_eq_u32 s17, 0
	s_cselect_b32 s17, s23, -1
	s_cmp_lg_u32 s17, 0
	s_cselect_b32 s17, s22, s20
	v_readfirstlane_b32 s20, v1
	s_cselect_b32 s19, s21, s19
	s_cmp_ge_u32 s20, s5
	s_cselect_b32 s20, -1, 0
	s_cmp_eq_u32 s16, 0
	s_cselect_b32 s16, s20, -1
	s_cmp_lg_u32 s16, 0
	s_cselect_b32 s17, s17, s18
	s_cselect_b32 s16, s19, s9
	s_xor_b64 s[16:17], s[16:17], s[10:11]
	s_sub_u32 s20, s16, s10
	s_load_dwordx4 s[16:19], s[0:1], 0x44
	s_cbranch_execnz .LBB32_3
.LBB32_2:
	v_cvt_f32_u32_e32 v1, s5
	s_sub_i32 s6, 0, s5
	v_rcp_iflag_f32_e32 v1, v1
	s_nop 0
	v_mul_f32_e32 v1, 0x4f7ffffe, v1
	v_cvt_u32_f32_e32 v1, v1
	s_nop 0
	v_readfirstlane_b32 s7, v1
	s_mul_i32 s6, s6, s7
	s_mul_hi_u32 s6, s7, s6
	s_add_i32 s7, s7, s6
	s_mul_hi_u32 s6, s8, s7
	s_mul_i32 s9, s6, s5
	s_sub_i32 s8, s8, s9
	s_add_i32 s7, s6, 1
	s_sub_i32 s9, s8, s5
	s_cmp_ge_u32 s8, s5
	s_cselect_b32 s6, s7, s6
	s_cselect_b32 s8, s9, s8
	s_add_i32 s7, s6, 1
	s_cmp_ge_u32 s8, s5
	s_cselect_b32 s20, s7, s6
.LBB32_3:
	s_add_i32 s6, s2, 1
	s_mul_hi_i32 s9, s15, s6
	s_mov_b32 s8, 0
	s_cmp_lg_u64 s[8:9], 0
	s_mul_i32 s8, s15, s6
	s_cbranch_scc0 .LBB32_22
; %bb.4:
	v_cvt_f32_u32_e32 v1, s5
	v_cvt_f32_ubyte0_e32 v2, 0
	s_sub_u32 s10, 0, s5
	s_subb_u32 s11, 0, 0
	v_fmamk_f32 v1, v2, 0x4f800000, v1
	v_rcp_f32_e32 v1, v1
	s_nop 0
	v_mul_f32_e32 v1, 0x5f7ffffc, v1
	v_mul_f32_e32 v2, 0x2f800000, v1
	v_trunc_f32_e32 v2, v2
	v_fmamk_f32 v1, v2, 0xcf800000, v1
	v_cvt_u32_f32_e32 v2, v2
	v_cvt_u32_f32_e32 v1, v1
	s_waitcnt lgkmcnt(0)
	v_readfirstlane_b32 s19, v2
	v_readfirstlane_b32 s21, v1
	s_mul_i32 s22, s10, s19
	s_mul_hi_u32 s24, s10, s21
	s_mul_i32 s23, s11, s21
	s_add_i32 s22, s24, s22
	s_add_i32 s22, s22, s23
	s_mul_i32 s25, s10, s21
	s_mul_hi_u32 s23, s21, s22
	s_mul_i32 s24, s21, s22
	s_mul_hi_u32 s21, s21, s25
	s_add_u32 s21, s21, s24
	s_addc_u32 s23, 0, s23
	s_mul_hi_u32 s26, s19, s25
	s_mul_i32 s25, s19, s25
	s_add_u32 s21, s21, s25
	s_mul_hi_u32 s24, s19, s22
	s_addc_u32 s21, s23, s26
	s_addc_u32 s23, s24, 0
	s_mul_i32 s22, s19, s22
	s_add_u32 s21, s21, s22
	s_addc_u32 s22, 0, s23
	v_add_co_u32_e32 v1, vcc, s21, v1
	s_cmp_lg_u64 vcc, 0
	s_addc_u32 s19, s19, s22
	v_readfirstlane_b32 s22, v1
	s_mul_i32 s21, s10, s19
	s_mul_hi_u32 s23, s10, s22
	s_add_i32 s21, s23, s21
	s_mul_i32 s11, s11, s22
	s_add_i32 s21, s21, s11
	s_mul_i32 s10, s10, s22
	s_mul_hi_u32 s23, s19, s10
	s_mul_i32 s24, s19, s10
	s_mul_i32 s26, s22, s21
	s_mul_hi_u32 s10, s22, s10
	s_mul_hi_u32 s25, s22, s21
	s_add_u32 s10, s10, s26
	s_addc_u32 s22, 0, s25
	s_add_u32 s10, s10, s24
	s_mul_hi_u32 s11, s19, s21
	s_addc_u32 s10, s22, s23
	s_addc_u32 s11, s11, 0
	s_mul_i32 s21, s19, s21
	s_add_u32 s10, s10, s21
	s_addc_u32 s11, 0, s11
	v_add_co_u32_e32 v1, vcc, s10, v1
	s_cmp_lg_u64 vcc, 0
	s_addc_u32 s19, s19, s11
	s_ashr_i32 s10, s9, 31
	s_add_u32 s22, s8, s10
	s_mov_b32 s11, s10
	s_addc_u32 s23, s9, s10
	s_xor_b64 s[22:23], s[22:23], s[10:11]
	v_readfirstlane_b32 s21, v1
	s_mul_i32 s11, s22, s19
	s_mul_hi_u32 s24, s22, s21
	s_mul_hi_u32 s9, s22, s19
	s_add_u32 s11, s24, s11
	s_addc_u32 s9, 0, s9
	s_mul_hi_u32 s25, s23, s21
	s_mul_i32 s21, s23, s21
	s_add_u32 s11, s11, s21
	s_mul_hi_u32 s24, s23, s19
	s_addc_u32 s9, s9, s25
	s_addc_u32 s11, s24, 0
	s_mul_i32 s19, s23, s19
	s_add_u32 s9, s9, s19
	s_addc_u32 s11, 0, s11
	s_mul_i32 s11, s5, s11
	s_mul_hi_u32 s24, s5, s9
	s_add_i32 s24, s24, s11
	s_mul_i32 s11, s5, s9
	v_mov_b32_e32 v1, s11
	s_add_u32 s19, s9, 1
	s_add_u32 s21, s9, 2
	v_sub_co_u32_e32 v1, vcc, s22, v1
	s_cmp_lg_u64 vcc, 0
	s_subb_u32 s11, s23, s24
	v_subrev_co_u32_e32 v2, vcc, s5, v1
	s_cmp_lg_u64 vcc, 0
	s_subb_u32 s22, s11, 0
	v_cmp_le_u32_e32 vcc, s5, v2
	s_cmp_eq_u32 s22, 0
	v_mov_b32_e32 v3, s19
	v_cndmask_b32_e64 v2, 0, -1, vcc
	s_cselect_b64 vcc, -1, 0
	v_cndmask_b32_e32 v2, -1, v2, vcc
	v_mov_b32_e32 v4, s21
	v_cmp_ne_u32_e32 vcc, 0, v2
	s_cmp_eq_u32 s11, 0
	s_nop 0
	v_cndmask_b32_e32 v2, v3, v4, vcc
	v_cmp_le_u32_e32 vcc, s5, v1
	v_mov_b32_e32 v3, s9
	s_nop 0
	v_cndmask_b32_e64 v1, 0, -1, vcc
	s_cselect_b64 vcc, -1, 0
	v_cndmask_b32_e32 v1, -1, v1, vcc
	v_cmp_ne_u32_e32 vcc, 0, v1
	s_nop 1
	v_cndmask_b32_e32 v1, v3, v2, vcc
	v_xor_b32_e32 v1, s10, v1
	v_subrev_co_u32_e32 v2, vcc, s10, v1
	s_cbranch_execnz .LBB32_6
.LBB32_5:
	v_cvt_f32_u32_e32 v1, s5
	s_sub_i32 s6, 0, s5
	s_mov_b32 s7, 0
	v_rcp_iflag_f32_e32 v1, v1
	s_nop 0
	v_mul_f32_e32 v1, 0x4f7ffffe, v1
	v_cvt_u32_f32_e32 v1, v1
	s_nop 0
	v_readfirstlane_b32 s9, v1
	s_mul_i32 s6, s6, s9
	s_mul_hi_u32 s6, s9, s6
	s_add_i32 s9, s9, s6
	s_mul_hi_u32 s6, s8, s9
	s_mul_i32 s10, s6, s5
	s_sub_i32 s8, s8, s10
	s_add_i32 s9, s6, 1
	s_sub_i32 s10, s8, s5
	s_cmp_ge_u32 s8, s5
	s_cselect_b32 s6, s9, s6
	s_cselect_b32 s8, s10, s8
	s_add_i32 s9, s6, 1
	s_cmp_ge_u32 s8, s5
	s_cselect_b32 s6, s9, s6
	v_mov_b64_e32 v[2:3], s[6:7]
.LBB32_6:
	s_waitcnt lgkmcnt(0)
	s_mul_hi_u32 s6, s20, s16
	s_add_i32 s6, s6, s20
	v_mul_hi_u32 v1, v2, s16
	s_lshr_b32 s19, s6, s17
	v_add_u32_e32 v1, v1, v2
	s_mul_i32 s6, s19, s18
	v_lshrrev_b32_e32 v1, s17, v1
	s_cmp_eq_u32 s6, s20
	v_cmp_eq_u32_e64 s[6:7], s19, v1
	v_mul_lo_u32 v1, v1, s18
	v_cmp_eq_u32_e32 vcc, s20, v2
	s_cselect_b64 s[10:11], -1, 0
	v_cmp_ne_u32_e64 s[8:9], v1, v2
	s_and_b64 s[6:7], s[6:7], s[8:9]
	s_or_b64 s[8:9], vcc, s[10:11]
	s_or_b64 s[6:7], s[8:9], s[6:7]
	s_and_b64 vcc, exec, s[6:7]
	s_cbranch_vccnz .LBB32_24
; %bb.7:
	s_load_dwordx8 s[24:31], s[0:1], 0x20
	s_load_dword s6, s[0:1], 0x40
	s_waitcnt lgkmcnt(0)
	s_mul_hi_u32 s7, s20, s24
	s_add_i32 s7, s7, s20
	s_lshr_b32 s7, s7, s25
	s_mul_i32 s8, s7, s26
	s_sub_i32 s8, s20, s8
	s_mul_hi_u32 s9, s8, s27
	s_add_i32 s9, s8, s9
	s_lshr_b32 s23, s9, s28
	s_mul_i32 s9, s23, s29
	s_sub_i32 s8, s8, s9
	;; [unrolled: 5-line block ×3, first 2 shown]
	s_mul_hi_u32 s8, s6, s16
	s_add_i32 s6, s6, s8
	s_lshr_b32 s24, s6, s17
	s_lshl_b32 s6, s24, 5
	s_add_i32 s6, s6, s3
	s_cmp_lt_i32 s6, s12
	s_cselect_b64 s[8:9], -1, 0
	s_add_i32 s6, s22, s4
	s_cmp_lt_i32 s6, s14
	s_cselect_b64 s[10:11], -1, 0
	s_and_b64 s[8:9], s[8:9], s[10:11]
	s_andn2_b64 vcc, exec, s[8:9]
	s_mov_b32 s6, 0
	s_cbranch_vccnz .LBB32_24
; %bb.8:
	s_load_dwordx4 s[8:11], s[0:1], 0x0
	s_lshl_b32 s0, s5, 7
	s_mov_b32 s1, s6
	s_add_i32 s21, s3, s4
	s_lshl_b64 s[0:1], s[0:1], 2
	s_waitcnt lgkmcnt(0)
	v_mov_b32_e32 v2, s8
	s_add_u32 s8, s10, s0
	s_mul_i32 s0, s7, s12
	v_mov_b32_e32 v3, s9
	s_addc_u32 s9, s11, s1
	s_add_i32 s0, s0, s3
	s_mul_i32 s0, s0, s13
	s_mul_i32 s23, s23, s14
	s_add_i32 s0, s0, s4
	s_add_i32 s0, s0, s23
	s_mul_i32 s1, s13, s24
	s_add_i32 s0, s0, s22
	s_lshl_b32 s1, s1, 13
	s_lshl_b32 s0, s0, 8
	s_add_i32 s1, s1, s0
	v_or_b32_e32 v4, s1, v0
	v_ashrrev_i32_e32 v5, 31, v4
	v_lshl_add_u64 v[2:3], v[4:5], 2, v[2:3]
	global_load_dword v5, v[2:3], off
	v_lshl_or_b32 v4, s21, 8, v0
	v_cvt_f32_u32_e32 v0, s5
	v_cvt_f32_ubyte0_e32 v1, 0
	s_lshl_b32 s0, s2, 5
	s_add_i32 s0, s0, s21
	v_fmac_f32_e32 v0, 0x4f800000, v1
	v_rcp_f32_e32 v0, v0
	v_cvt_f32_u32_e32 v1, s5
	s_ashr_i32 s1, s0, 31
	s_lshl_b64 s[0:1], s[0:1], 3
	v_mul_f32_e32 v0, 0x5f7ffffc, v0
	v_rcp_iflag_f32_e32 v1, v1
	s_add_u32 s0, s10, s0
	v_mul_f32_e32 v9, 0x2f800000, v0
	s_addc_u32 s1, s11, s1
	v_trunc_f32_e32 v10, v9
	s_load_dwordx2 s[0:1], s[0:1], 0x0
	v_fmac_f32_e32 v0, 0xcf800000, v10
	v_cvt_u32_f32_e32 v9, v0
	v_mul_f32_e32 v0, 0x4f7ffffe, v1
	v_cvt_u32_f32_e32 v10, v10
	v_cvt_u32_f32_e32 v11, v0
	s_add_i32 s13, s2, -1
	s_waitcnt lgkmcnt(0)
	v_mov_b32_e32 v6, s1
	v_mov_b32_e32 v7, s0
	;; [unrolled: 1-line block ×3, first 2 shown]
	s_mov_b32 s4, 0x3fb8aa3b
	s_mov_b32 s12, 0xc2ce8ed0
	;; [unrolled: 1-line block ×4, first 2 shown]
	v_mov_b32_e32 v12, 0x7f800000
	s_mul_hi_i32 s7, s13, s15
	s_cmp_lg_u64 s[6:7], 0
	s_mul_i32 s2, s13, s15
	s_cbranch_scc0 .LBB32_15
.LBB32_9:
	s_sub_u32 s0, 0, s5
	v_readfirstlane_b32 s3, v9
	v_readfirstlane_b32 s24, v10
	s_subb_u32 s1, 0, 0
	s_mul_hi_u32 s23, s0, s3
	s_mul_i32 s25, s0, s24
	s_mul_i32 s22, s1, s3
	s_add_i32 s23, s23, s25
	s_add_i32 s23, s23, s22
	s_mul_i32 s26, s0, s3
	s_mul_hi_u32 s22, s3, s23
	s_mul_i32 s25, s3, s23
	s_mul_hi_u32 s3, s3, s26
	s_add_u32 s3, s3, s25
	s_addc_u32 s22, 0, s22
	s_mul_hi_u32 s27, s24, s26
	s_mul_i32 s26, s24, s26
	s_add_u32 s3, s3, s26
	s_mul_hi_u32 s25, s24, s23
	s_addc_u32 s3, s22, s27
	s_addc_u32 s22, s25, 0
	s_mul_i32 s23, s24, s23
	s_add_u32 s3, s3, s23
	s_addc_u32 s22, 0, s22
	v_add_co_u32_e32 v0, vcc, s3, v9
	s_cmp_lg_u64 vcc, 0
	s_addc_u32 s3, s24, s22
	v_readfirstlane_b32 s23, v0
	s_mul_i32 s22, s0, s3
	s_mul_hi_u32 s24, s0, s23
	s_add_i32 s22, s24, s22
	s_mul_i32 s1, s1, s23
	s_add_i32 s22, s22, s1
	s_mul_i32 s0, s0, s23
	s_mul_hi_u32 s24, s3, s0
	s_mul_i32 s25, s3, s0
	s_mul_i32 s27, s23, s22
	s_mul_hi_u32 s0, s23, s0
	s_mul_hi_u32 s26, s23, s22
	s_add_u32 s0, s0, s27
	s_addc_u32 s23, 0, s26
	s_add_u32 s0, s0, s25
	s_mul_hi_u32 s1, s3, s22
	s_addc_u32 s0, s23, s24
	s_addc_u32 s1, s1, 0
	s_mul_i32 s22, s3, s22
	s_add_u32 s0, s0, s22
	s_addc_u32 s1, 0, s1
	v_add_co_u32_e32 v0, vcc, s0, v0
	s_cmp_lg_u64 vcc, 0
	s_addc_u32 s3, s3, s1
	s_ashr_i32 s0, s7, 31
	s_add_u32 s22, s2, s0
	s_mov_b32 s1, s0
	s_addc_u32 s23, s7, s0
	s_xor_b64 s[22:23], s[22:23], s[0:1]
	v_readfirstlane_b32 s24, v0
	s_mul_i32 s7, s22, s3
	s_mul_hi_u32 s25, s22, s24
	s_mul_hi_u32 s1, s22, s3
	s_add_u32 s7, s25, s7
	s_addc_u32 s1, 0, s1
	s_mul_hi_u32 s26, s23, s24
	s_mul_i32 s24, s23, s24
	s_add_u32 s7, s7, s24
	s_mul_hi_u32 s25, s23, s3
	s_addc_u32 s1, s1, s26
	s_addc_u32 s7, s25, 0
	s_mul_i32 s3, s23, s3
	s_add_u32 s1, s1, s3
	s_addc_u32 s3, 0, s7
	s_mul_i32 s3, s5, s3
	s_mul_hi_u32 s25, s5, s1
	s_add_i32 s25, s25, s3
	s_mul_i32 s3, s5, s1
	v_mov_b32_e32 v0, s3
	s_add_u32 s7, s1, 1
	s_add_u32 s24, s1, 2
	v_sub_co_u32_e32 v0, vcc, s22, v0
	s_cmp_lg_u64 vcc, 0
	s_subb_u32 s3, s23, s25
	v_subrev_co_u32_e32 v1, vcc, s5, v0
	s_cmp_lg_u64 vcc, 0
	s_subb_u32 s22, s3, 0
	v_cmp_le_u32_e32 vcc, s5, v1
	s_cmp_eq_u32 s22, 0
	v_mov_b32_e32 v13, s7
	v_cndmask_b32_e64 v1, 0, -1, vcc
	s_cselect_b64 vcc, -1, 0
	v_cndmask_b32_e32 v1, -1, v1, vcc
	v_mov_b32_e32 v14, s24
	v_cmp_ne_u32_e32 vcc, 0, v1
	s_cmp_eq_u32 s3, 0
	s_nop 0
	v_cndmask_b32_e32 v1, v13, v14, vcc
	v_cmp_le_u32_e32 vcc, s5, v0
	v_mov_b32_e32 v13, s1
	s_nop 0
	v_cndmask_b32_e64 v0, 0, -1, vcc
	s_cselect_b64 vcc, -1, 0
	v_cndmask_b32_e32 v0, -1, v0, vcc
	v_cmp_ne_u32_e32 vcc, 0, v0
	s_nop 1
	v_cndmask_b32_e32 v0, v13, v1, vcc
	v_xor_b32_e32 v0, s0, v0
	v_subrev_co_u32_e32 v0, vcc, s0, v0
	s_cbranch_execnz .LBB32_11
.LBB32_10:
	s_sub_i32 s0, 0, s5
	v_mul_lo_u32 v0, s0, v11
	v_mul_hi_u32 v0, v11, v0
	v_add_u32_e32 v0, v11, v0
	v_mul_hi_u32 v0, s2, v0
	v_mul_lo_u32 v13, v0, s5
	v_sub_u32_e32 v13, s2, v13
	v_add_u32_e32 v1, 1, v0
	v_subrev_u32_e32 v14, s5, v13
	v_cmp_le_u32_e32 vcc, s5, v13
	s_nop 1
	v_cndmask_b32_e32 v13, v13, v14, vcc
	v_cndmask_b32_e32 v0, v0, v1, vcc
	v_add_u32_e32 v1, 1, v0
	v_cmp_le_u32_e32 vcc, s5, v13
	s_nop 1
	v_cndmask_b32_e32 v0, v0, v1, vcc
.LBB32_11:
	v_cmp_ne_u32_e32 vcc, v8, v0
	s_cbranch_vccz .LBB32_14
; %bb.12:
	s_add_i32 s0, s13, s5
	s_lshl_b32 s0, s0, 5
	v_mul_hi_u32 v1, v0, s16
	s_add_i32 s0, s0, s21
	s_mov_b32 s1, s6
	v_add_u32_e32 v1, v1, v0
	s_lshl_b64 s[0:1], s[0:1], 3
	v_lshrrev_b32_e32 v1, s17, v1
	s_add_u32 s2, s10, s0
	v_mul_lo_u32 v13, v1, s18
	s_addc_u32 s3, s11, s1
	v_cmp_eq_u32_e32 vcc, v13, v0
	v_cmp_gt_u32_e64 s[0:1], s19, v1
	s_or_b64 s[0:1], s[0:1], vcc
	s_and_b64 vcc, exec, s[0:1]
	s_cbranch_vccnz .LBB32_16
; %bb.13:
	s_add_i32 s7, s13, -1
	s_mov_b64 s[0:1], 0
	s_branch .LBB32_17
.LBB32_14:
                                        ; implicit-def: $sgpr0_sgpr1
                                        ; implicit-def: $vgpr14
                                        ; implicit-def: $vgpr1
                                        ; implicit-def: $vgpr13
                                        ; implicit-def: $sgpr7
                                        ; implicit-def: $vgpr0
	s_branch .LBB32_18
.LBB32_15:
                                        ; implicit-def: $vgpr0_vgpr1
	s_branch .LBB32_10
.LBB32_16:
	s_mov_b64 s[0:1], -1
	s_mov_b32 s7, s13
	v_mov_b32_e32 v0, v8
.LBB32_17:
	v_lshl_add_u32 v14, s13, 13, v4
	v_ashrrev_i32_e32 v15, 31, v14
	v_lshl_add_u64 v[14:15], v[14:15], 2, s[8:9]
	global_load_dword v14, v[14:15], off
	s_load_dwordx2 s[2:3], s[2:3], 0x0
	v_max_f32_e32 v1, v7, v7
	s_waitcnt lgkmcnt(0)
	v_max_f32_e64 v13, s2, s2
	v_max_f32_e32 v1, v1, v13
	v_sub_f32_e32 v13, v7, v1
	v_sub_f32_e32 v15, s2, v1
	v_mul_f32_e32 v16, 0x3fb8aa3b, v13
	v_mul_f32_e32 v17, 0x3fb8aa3b, v15
	v_fma_f32 v18, v13, s4, -v16
	v_rndne_f32_e32 v19, v16
	v_fma_f32 v20, v15, s4, -v17
	v_rndne_f32_e32 v21, v17
	v_fmac_f32_e32 v18, 0x32a5705f, v13
	v_sub_f32_e32 v16, v16, v19
	v_fmac_f32_e32 v20, 0x32a5705f, v15
	v_sub_f32_e32 v17, v17, v21
	v_add_f32_e32 v16, v16, v18
	v_cvt_i32_f32_e32 v19, v19
	v_add_f32_e32 v17, v17, v20
	v_exp_f32_e32 v16, v16
	v_cvt_i32_f32_e32 v21, v21
	v_exp_f32_e32 v17, v17
	v_cmp_ngt_f32_e32 vcc, s12, v13
	v_ldexp_f32 v16, v16, v19
	v_ldexp_f32 v17, v17, v21
	v_cndmask_b32_e32 v16, 0, v16, vcc
	v_cmp_ngt_f32_e32 vcc, s12, v15
	s_nop 1
	v_cndmask_b32_e32 v17, 0, v17, vcc
	v_cmp_nlt_f32_e32 vcc, s14, v13
	s_nop 1
	v_cndmask_b32_e32 v16, v12, v16, vcc
	v_cmp_nlt_f32_e32 vcc, s14, v15
	s_nop 1
	v_cndmask_b32_e32 v17, v12, v17, vcc
	v_cmp_le_f32_e32 vcc, s20, v13
	s_nop 1
	v_cndmask_b32_e32 v16, 0, v16, vcc
	v_cmp_le_f32_e32 vcc, s20, v15
	s_nop 1
	v_cndmask_b32_e32 v15, 0, v17, vcc
	v_mul_f32_e32 v13, s3, v15
	v_fmac_f32_e32 v13, v6, v16
	s_waitcnt vmcnt(0)
	v_mul_f32_e32 v14, v14, v15
	v_fmac_f32_e32 v14, v5, v16
	s_cbranch_execnz .LBB32_19
.LBB32_18:
	s_add_i32 s7, s13, -1
	s_mov_b64 s[0:1], 0
	v_mov_b32_e32 v0, v8
	v_mov_b32_e32 v13, v6
	;; [unrolled: 1-line block ×3, first 2 shown]
	s_waitcnt vmcnt(0)
	v_mov_b32_e32 v14, v5
.LBB32_19:
	s_andn2_b64 vcc, exec, s[0:1]
	s_cbranch_vccz .LBB32_23
; %bb.20:
	v_mov_b32_e32 v8, v0
	s_mov_b32 s13, s7
	v_mov_b32_e32 v6, v13
	v_mov_b32_e32 v7, v1
	s_waitcnt vmcnt(0)
	v_mov_b32_e32 v5, v14
	s_mul_hi_i32 s7, s13, s15
	s_cmp_lg_u64 s[6:7], 0
	s_mul_i32 s2, s13, s15
	s_cbranch_scc1 .LBB32_9
	s_branch .LBB32_15
.LBB32_21:
                                        ; implicit-def: $sgpr20_sgpr21
	s_load_dwordx4 s[16:19], s[0:1], 0x44
	s_branch .LBB32_2
.LBB32_22:
                                        ; implicit-def: $vgpr2_vgpr3
	s_branch .LBB32_5
.LBB32_23:
	v_div_scale_f32 v0, s[0:1], v13, v13, v14
	v_rcp_f32_e32 v1, v0
	v_div_scale_f32 v4, vcc, v14, v13, v14
	s_waitcnt vmcnt(0)
	v_fma_f32 v5, -v0, v1, 1.0
	v_fmac_f32_e32 v1, v5, v1
	v_mul_f32_e32 v5, v4, v1
	v_fma_f32 v6, -v0, v5, v4
	v_fmac_f32_e32 v5, v6, v1
	v_fma_f32 v0, -v0, v5, v4
	v_div_fmas_f32 v0, v0, v1, v5
	v_div_fixup_f32 v0, v0, v13, v14
	global_store_dword v[2:3], v0, off
.LBB32_24:
	s_endpgm
	.section	.rodata,"a",@progbits
	.p2align	6, 0x0
	.amdhsa_kernel _ZL33flash_attn_stream_k_fixup_generalILi256ELi32ELi1EEvPfPK15HIP_vector_typeIfLj2EEiiiiS1_IjLj3EES5_S5_S5_
		.amdhsa_group_segment_fixed_size 0
		.amdhsa_private_segment_fixed_size 0
		.amdhsa_kernarg_size 336
		.amdhsa_user_sgpr_count 2
		.amdhsa_user_sgpr_dispatch_ptr 0
		.amdhsa_user_sgpr_queue_ptr 0
		.amdhsa_user_sgpr_kernarg_segment_ptr 1
		.amdhsa_user_sgpr_dispatch_id 0
		.amdhsa_user_sgpr_kernarg_preload_length 0
		.amdhsa_user_sgpr_kernarg_preload_offset 0
		.amdhsa_user_sgpr_private_segment_size 0
		.amdhsa_uses_dynamic_stack 0
		.amdhsa_enable_private_segment 0
		.amdhsa_system_sgpr_workgroup_id_x 1
		.amdhsa_system_sgpr_workgroup_id_y 1
		.amdhsa_system_sgpr_workgroup_id_z 1
		.amdhsa_system_sgpr_workgroup_info 0
		.amdhsa_system_vgpr_workitem_id 0
		.amdhsa_next_free_vgpr 22
		.amdhsa_next_free_sgpr 32
		.amdhsa_accum_offset 24
		.amdhsa_reserve_vcc 1
		.amdhsa_float_round_mode_32 0
		.amdhsa_float_round_mode_16_64 0
		.amdhsa_float_denorm_mode_32 3
		.amdhsa_float_denorm_mode_16_64 3
		.amdhsa_dx10_clamp 1
		.amdhsa_ieee_mode 1
		.amdhsa_fp16_overflow 0
		.amdhsa_tg_split 0
		.amdhsa_exception_fp_ieee_invalid_op 0
		.amdhsa_exception_fp_denorm_src 0
		.amdhsa_exception_fp_ieee_div_zero 0
		.amdhsa_exception_fp_ieee_overflow 0
		.amdhsa_exception_fp_ieee_underflow 0
		.amdhsa_exception_fp_ieee_inexact 0
		.amdhsa_exception_int_div_zero 0
	.end_amdhsa_kernel
	.section	.text._ZL33flash_attn_stream_k_fixup_generalILi256ELi32ELi1EEvPfPK15HIP_vector_typeIfLj2EEiiiiS1_IjLj3EES5_S5_S5_,"axG",@progbits,_ZL33flash_attn_stream_k_fixup_generalILi256ELi32ELi1EEvPfPK15HIP_vector_typeIfLj2EEiiiiS1_IjLj3EES5_S5_S5_,comdat
.Lfunc_end32:
	.size	_ZL33flash_attn_stream_k_fixup_generalILi256ELi32ELi1EEvPfPK15HIP_vector_typeIfLj2EEiiiiS1_IjLj3EES5_S5_S5_, .Lfunc_end32-_ZL33flash_attn_stream_k_fixup_generalILi256ELi32ELi1EEvPfPK15HIP_vector_typeIfLj2EEiiiiS1_IjLj3EES5_S5_S5_
                                        ; -- End function
	.section	.AMDGPU.csdata,"",@progbits
; Kernel info:
; codeLenInByte = 2856
; NumSgprs: 38
; NumVgprs: 22
; NumAgprs: 0
; TotalNumVgprs: 22
; ScratchSize: 0
; MemoryBound: 0
; FloatMode: 240
; IeeeMode: 1
; LDSByteSize: 0 bytes/workgroup (compile time only)
; SGPRBlocks: 4
; VGPRBlocks: 2
; NumSGPRsForWavesPerEU: 38
; NumVGPRsForWavesPerEU: 22
; AccumOffset: 24
; Occupancy: 8
; WaveLimiterHint : 0
; COMPUTE_PGM_RSRC2:SCRATCH_EN: 0
; COMPUTE_PGM_RSRC2:USER_SGPR: 2
; COMPUTE_PGM_RSRC2:TRAP_HANDLER: 0
; COMPUTE_PGM_RSRC2:TGID_X_EN: 1
; COMPUTE_PGM_RSRC2:TGID_Y_EN: 1
; COMPUTE_PGM_RSRC2:TGID_Z_EN: 1
; COMPUTE_PGM_RSRC2:TIDIG_COMP_CNT: 0
; COMPUTE_PGM_RSRC3_GFX90A:ACCUM_OFFSET: 5
; COMPUTE_PGM_RSRC3_GFX90A:TG_SPLIT: 0
	.section	.text._ZL26flash_attn_combine_resultsILi256EEvPKfPK15HIP_vector_typeIfLj2EEPfi,"axG",@progbits,_ZL26flash_attn_combine_resultsILi256EEvPKfPK15HIP_vector_typeIfLj2EEPfi,comdat
	.globl	_ZL26flash_attn_combine_resultsILi256EEvPKfPK15HIP_vector_typeIfLj2EEPfi ; -- Begin function _ZL26flash_attn_combine_resultsILi256EEvPKfPK15HIP_vector_typeIfLj2EEPfi
	.p2align	8
	.type	_ZL26flash_attn_combine_resultsILi256EEvPKfPK15HIP_vector_typeIfLj2EEPfi,@function
_ZL26flash_attn_combine_resultsILi256EEvPKfPK15HIP_vector_typeIfLj2EEPfi: ; @_ZL26flash_attn_combine_resultsILi256EEvPKfPK15HIP_vector_typeIfLj2EEPfi
; %bb.0:
	s_load_dwordx2 s[6:7], s[0:1], 0x20
	s_load_dword s19, s[0:1], 0x18
	s_load_dwordx4 s[8:11], s[0:1], 0x0
	s_load_dwordx2 s[14:15], s[0:1], 0x10
	s_waitcnt lgkmcnt(0)
	s_mul_i32 s0, s6, s4
	s_add_i32 s0, s0, s2
	s_mul_i32 s18, s0, s7
	s_add_i32 s18, s18, s3
	s_lshl_b32 s20, s19, 1
	s_mul_i32 s0, s18, s19
	v_cmp_gt_i32_e32 vcc, s20, v0
	s_and_saveexec_b64 s[2:3], vcc
	s_cbranch_execz .LBB33_13
; %bb.1:
	v_xad_u32 v1, v0, -1, s20
	s_movk_i32 s4, 0xff
	s_ashr_i32 s1, s0, 31
	v_cmp_lt_u32_e32 vcc, s4, v1
	s_mov_b64 s[6:7], -1
	v_mov_b32_e32 v2, v0
	s_and_saveexec_b64 s[4:5], vcc
	s_cbranch_execz .LBB33_10
; %bb.2:
	v_lshrrev_b32_e32 v6, 8, v1
	s_lshl_b64 s[6:7], s[0:1], 3
	v_add_u32_e32 v2, -1, v6
	s_add_u32 s6, s10, s6
	v_or_b32_e32 v1, 0x100, v0
	v_lshrrev_b32_e32 v3, 1, v2
	s_addc_u32 s7, s11, s7
	v_add_u32_e32 v7, 1, v3
	v_cmp_lt_u32_e32 vcc, 13, v2
	v_mov_b32_e32 v4, 0
	v_mov_b64_e32 v[2:3], v[0:1]
	s_and_saveexec_b64 s[12:13], vcc
	s_cbranch_execz .LBB33_6
; %bb.3:
	v_and_b32_e32 v8, -8, v7
	s_mov_b32 s21, 0
	v_lshl_add_u32 v9, v0, 2, 0
	s_mov_b64 s[16:17], 0
	v_mov_b32_e32 v5, 0
	v_mov_b64_e32 v[2:3], v[0:1]
.LBB33_4:                               ; =>This Inner Loop Header: Depth=1
	v_mov_b32_e32 v4, v2
	v_lshl_add_u64 v[24:25], v[4:5], 2, s[6:7]
	v_mov_b32_e32 v4, v3
	v_lshl_add_u64 v[26:27], v[4:5], 2, s[6:7]
	v_add_u32_e32 v4, 0x200, v2
	v_add_u32_e32 v10, 0x200, v3
	v_mov_b32_e32 v11, v5
	global_load_dword v1, v[24:25], off
	global_load_dword v28, v[26:27], off
	v_lshl_add_u64 v[24:25], v[4:5], 2, s[6:7]
	v_add_u32_e32 v4, 0x400, v2
	v_lshl_add_u64 v[10:11], v[10:11], 2, s[6:7]
	v_lshl_add_u64 v[26:27], v[4:5], 2, s[6:7]
	v_add_u32_e32 v4, 0x600, v2
	v_add_u32_e32 v12, 0x400, v3
	v_mov_b32_e32 v13, v5
	v_add_u32_e32 v14, 0x600, v3
	v_mov_b32_e32 v15, v5
	global_load_dword v29, v[24:25], off
	global_load_dword v30, v[10:11], off
	v_lshl_add_u64 v[10:11], v[4:5], 2, s[6:7]
	v_add_u32_e32 v4, 0x800, v2
	v_lshl_add_u64 v[12:13], v[12:13], 2, s[6:7]
	v_lshl_add_u64 v[14:15], v[14:15], 2, s[6:7]
	global_load_dword v24, v[26:27], off
	global_load_dword v25, v[12:13], off
	;; [unrolled: 1-line block ×4, first 2 shown]
	v_lshl_add_u64 v[10:11], v[4:5], 2, s[6:7]
	v_add_u32_e32 v4, 0xa00, v2
	v_add_u32_e32 v16, 0x800, v3
	v_mov_b32_e32 v17, v5
	v_add_u32_e32 v18, 0xa00, v3
	v_mov_b32_e32 v19, v5
	v_lshl_add_u64 v[12:13], v[4:5], 2, s[6:7]
	v_add_u32_e32 v4, 0xc00, v2
	v_add_u32_e32 v20, 0xc00, v3
	v_mov_b32_e32 v21, v5
	v_add_u32_e32 v22, 0xe00, v3
	v_mov_b32_e32 v23, v5
	v_lshl_add_u64 v[16:17], v[16:17], 2, s[6:7]
	v_lshl_add_u64 v[18:19], v[18:19], 2, s[6:7]
	global_load_dword v14, v[10:11], off
	global_load_dword v15, v[16:17], off
	v_lshl_add_u64 v[10:11], v[4:5], 2, s[6:7]
	v_add_u32_e32 v4, 0xe00, v2
	v_lshl_add_u64 v[20:21], v[20:21], 2, s[6:7]
	v_lshl_add_u64 v[22:23], v[22:23], 2, s[6:7]
	global_load_dword v16, v[12:13], off
	global_load_dword v17, v[18:19], off
	v_lshl_add_u64 v[12:13], v[4:5], 2, s[6:7]
	global_load_dword v18, v[10:11], off
	global_load_dword v19, v[20:21], off
	global_load_dword v26, v[12:13], off
	global_load_dword v27, v[22:23], off
	v_add_u32_e32 v8, -8, v8
	s_add_i32 s21, s21, 16
	v_cmp_eq_u32_e32 vcc, 0, v8
	v_add_u32_e32 v3, 0x1000, v3
	v_mov_b32_e32 v4, s21
	s_or_b64 s[16:17], vcc, s[16:17]
	v_add_u32_e32 v2, 0x1000, v2
	s_waitcnt vmcnt(14)
	ds_write2st64_b32 v9, v1, v28 offset1:4
	s_waitcnt vmcnt(12)
	ds_write2st64_b32 v9, v29, v30 offset0:8 offset1:12
	s_waitcnt vmcnt(10)
	ds_write2st64_b32 v9, v24, v25 offset0:16 offset1:20
	;; [unrolled: 2-line block ×7, first 2 shown]
	v_add_u32_e32 v9, 0x4000, v9
	s_andn2_b64 exec, exec, s[16:17]
	s_cbranch_execnz .LBB33_4
; %bb.5:
	s_or_b64 exec, exec, s[16:17]
.LBB33_6:
	s_or_b64 exec, exec, s[12:13]
	v_and_b32_e32 v1, 7, v7
	v_cmp_ne_u32_e32 vcc, 0, v1
	s_and_saveexec_b64 s[12:13], vcc
	s_cbranch_execz .LBB33_9
; %bb.7:
	v_lshlrev_b32_e32 v5, 2, v0
	v_lshl_or_b32 v4, v4, 10, v5
	v_add_u32_e32 v7, 0, v4
	s_mov_b64 s[16:17], 0
	v_mov_b32_e32 v5, 0
.LBB33_8:                               ; =>This Inner Loop Header: Depth=1
	v_mov_b32_e32 v4, v2
	v_lshl_add_u64 v[8:9], v[4:5], 2, s[6:7]
	v_mov_b32_e32 v4, v3
	v_lshl_add_u64 v[10:11], v[4:5], 2, s[6:7]
	global_load_dword v4, v[8:9], off
	global_load_dword v12, v[10:11], off
	v_add_u32_e32 v1, -1, v1
	v_cmp_eq_u32_e32 vcc, 0, v1
	v_add_u32_e32 v2, 0x200, v2
	v_add_u32_e32 v3, 0x200, v3
	s_or_b64 s[16:17], vcc, s[16:17]
	s_waitcnt vmcnt(0)
	ds_write2st64_b32 v7, v4, v12 offset1:4
	v_add_u32_e32 v7, 0x800, v7
	s_andn2_b64 exec, exec, s[16:17]
	s_cbranch_execnz .LBB33_8
.LBB33_9:
	s_or_b64 exec, exec, s[12:13]
	v_add_u32_e32 v1, 1, v6
	v_and_b32_e32 v3, 0x1fffffe, v1
	v_cmp_ne_u32_e32 vcc, v1, v3
	v_lshl_or_b32 v2, v3, 8, v0
	s_orn2_b64 s[6:7], vcc, exec
.LBB33_10:
	s_or_b64 exec, exec, s[4:5]
	s_and_b64 exec, exec, s[6:7]
	s_cbranch_execz .LBB33_13
; %bb.11:
	s_lshl_b64 s[4:5], s[0:1], 3
	s_add_u32 s4, s10, s4
	v_mov_b32_e32 v3, 0
	s_addc_u32 s5, s11, s5
	v_lshl_add_u64 v[4:5], v[2:3], 2, s[4:5]
	v_lshl_add_u32 v1, v2, 2, 0
	s_mov_b64 s[4:5], 0
	s_mov_b64 s[6:7], 0x400
.LBB33_12:                              ; =>This Inner Loop Header: Depth=1
	global_load_dword v3, v[4:5], off
	v_add_u32_e32 v2, 0x100, v2
	v_cmp_le_i32_e32 vcc, s20, v2
	v_lshl_add_u64 v[4:5], v[4:5], 0, s[6:7]
	s_or_b64 s[4:5], vcc, s[4:5]
	s_waitcnt vmcnt(0)
	ds_write_b32 v1, v3
	v_add_u32_e32 v1, 0x400, v1
	s_andn2_b64 exec, exec, s[4:5]
	s_cbranch_execnz .LBB33_12
.LBB33_13:
	s_or_b64 exec, exec, s[2:3]
	v_mov_b32_e32 v1, 0
	s_waitcnt lgkmcnt(0)
	s_barrier
	ds_read_b32 v1, v1
	s_cmp_lt_i32 s19, 2
	s_cbranch_scc1 .LBB33_21
; %bb.14:
	s_add_i32 s1, s19, -1
	s_add_i32 s2, s19, -2
	s_cmp_lt_u32 s2, 7
	s_cbranch_scc1 .LBB33_18
; %bb.15:
	s_mov_b32 s4, 0
	s_add_i32 s2, 0, 8
	s_and_b32 s3, s1, -8
.LBB33_16:                              ; =>This Inner Loop Header: Depth=1
	v_mov_b32_e32 v8, s2
	ds_read2_b32 v[2:3], v8 offset1:2
	ds_read2_b32 v[4:5], v8 offset0:4 offset1:6
	ds_read2_b32 v[6:7], v8 offset0:8 offset1:10
	;; [unrolled: 1-line block ×3, first 2 shown]
	s_mov_b32 s5, s4
	s_waitcnt lgkmcnt(3)
	v_max3_f32 v1, v1, v2, v3
	s_waitcnt lgkmcnt(2)
	v_max3_f32 v1, v1, v4, v5
	s_add_i32 s2, s2, 64
	s_add_i32 s4, s4, 8
	s_waitcnt lgkmcnt(1)
	v_max3_f32 v1, v1, v6, v7
	s_cmp_eq_u32 s3, s4
	s_waitcnt lgkmcnt(0)
	v_max3_f32 v1, v1, v8, v9
	s_cbranch_scc0 .LBB33_16
; %bb.17:
	s_add_i32 s2, s5, 9
	s_and_b32 s1, s1, 7
	s_cmp_eq_u32 s1, 0
	s_cbranch_scc0 .LBB33_19
	s_branch .LBB33_21
.LBB33_18:
	s_mov_b32 s2, 1
	s_and_b32 s1, s1, 7
	s_cmp_eq_u32 s1, 0
	s_cbranch_scc1 .LBB33_21
.LBB33_19:
	s_lshl_b32 s2, s2, 3
	s_add_i32 s2, s2, 0
.LBB33_20:                              ; =>This Inner Loop Header: Depth=1
	v_mov_b32_e32 v2, s2
	ds_read_b32 v2, v2
	s_waitcnt lgkmcnt(1)
	v_max_f32_e32 v1, v1, v1
	s_add_i32 s2, s2, 8
	s_add_i32 s1, s1, -1
	s_cmp_lg_u32 s1, 0
	s_waitcnt lgkmcnt(0)
	v_max_f32_e32 v2, v2, v2
	v_max_f32_e32 v1, v1, v2
	s_cbranch_scc1 .LBB33_20
.LBB33_21:
	s_cmp_lt_i32 s19, 1
	s_cbranch_scc1 .LBB33_26
; %bb.22:
	s_lshl_b32 s0, s0, 8
	s_ashr_i32 s1, s0, 31
	s_lshl_b64 s[0:1], s[0:1], 2
	s_add_u32 s16, s8, s0
	s_addc_u32 s17, s9, s1
	s_cmp_lt_u32 s19, 8
	v_mov_b32_e32 v6, 0
	s_cbranch_scc1 .LBB33_27
; %bb.23:
	s_and_b32 s20, s19, 0x7ffffff8
	v_or_b32_e32 v2, 0x700, v0
	s_mov_b32 s21, 0
	v_mov_b32_e32 v5, 0
	s_mov_b32 s22, 0x3fb8aa3b
	s_mov_b32 s23, 0xc2ce8ed0
	;; [unrolled: 1-line block ×3, first 2 shown]
	v_mov_b32_e32 v8, 0x7f800000
	s_mov_b32 s25, 0
	v_mov_b32_e32 v7, 0
	v_mov_b32_e32 v6, 0
.LBB33_24:                              ; =>This Inner Loop Header: Depth=1
	v_add_u32_e32 v4, 0xfffff900, v2
	v_mov_b32_e32 v9, s21
	v_mov_b32_e32 v3, v5
	v_lshl_add_u64 v[26:27], v[4:5], 2, s[16:17]
	v_add_u32_e32 v4, 0xfffffa00, v2
	ds_read2_b64 v[10:13], v9 offset1:1
	ds_read2_b64 v[14:17], v9 offset0:2 offset1:3
	ds_read2_b64 v[18:21], v9 offset0:4 offset1:5
	;; [unrolled: 1-line block ×3, first 2 shown]
	v_lshl_add_u64 v[28:29], v[2:3], 2, s[16:17]
	v_lshl_add_u64 v[30:31], v[4:5], 2, s[16:17]
	v_add_u32_e32 v4, 0xfffffb00, v2
	global_load_dword v3, v[26:27], off
	global_load_dword v9, v[30:31], off
	s_waitcnt lgkmcnt(3)
	v_sub_f32_e32 v10, v10, v1
	global_load_dword v28, v[28:29], off
	v_lshl_add_u64 v[26:27], v[4:5], 2, s[16:17]
	global_load_dword v32, v[26:27], off
	v_add_u32_e32 v4, 0xfffffc00, v2
	v_lshl_add_u64 v[30:31], v[4:5], 2, s[16:17]
	v_add_u32_e32 v4, 0xfffffd00, v2
	v_lshl_add_u64 v[26:27], v[4:5], 2, s[16:17]
	v_add_u32_e32 v4, 0xfffffe00, v2
	global_load_dword v33, v[30:31], off
	global_load_dword v34, v[26:27], off
	v_lshl_add_u64 v[30:31], v[4:5], 2, s[16:17]
	v_add_u32_e32 v4, 0xffffff00, v2
	v_lshl_add_u64 v[26:27], v[4:5], 2, s[16:17]
	global_load_dword v30, v[30:31], off
	v_sub_f32_e32 v12, v12, v1
	global_load_dword v26, v[26:27], off
	v_mul_f32_e32 v35, 0x3fb8aa3b, v10
	v_mul_f32_e32 v36, 0x3fb8aa3b, v12
	s_waitcnt lgkmcnt(2)
	v_sub_f32_e32 v14, v14, v1
	v_sub_f32_e32 v16, v16, v1
	s_waitcnt lgkmcnt(1)
	v_sub_f32_e32 v18, v18, v1
	v_sub_f32_e32 v20, v20, v1
	s_waitcnt lgkmcnt(0)
	v_sub_f32_e32 v22, v22, v1
	v_fma_f32 v31, v10, s22, -v35
	v_rndne_f32_e32 v42, v35
	v_fma_f32 v43, v12, s22, -v36
	v_rndne_f32_e32 v44, v36
	v_mul_f32_e32 v37, 0x3fb8aa3b, v14
	v_mul_f32_e32 v38, 0x3fb8aa3b, v16
	;; [unrolled: 1-line block ×5, first 2 shown]
	v_fmac_f32_e32 v31, 0x32a5705f, v10
	v_sub_f32_e32 v35, v35, v42
	v_fmac_f32_e32 v43, 0x32a5705f, v12
	v_sub_f32_e32 v36, v36, v44
	v_fma_f32 v45, v14, s22, -v37
	v_rndne_f32_e32 v46, v37
	v_fma_f32 v47, v16, s22, -v38
	v_rndne_f32_e32 v48, v38
	;; [unrolled: 2-line block ×4, first 2 shown]
	v_add_f32_e32 v31, v35, v31
	v_fma_f32 v35, v22, s22, -v41
	v_add_f32_e32 v36, v36, v43
	v_rndne_f32_e32 v43, v41
	v_fmac_f32_e32 v45, 0x32a5705f, v14
	v_sub_f32_e32 v37, v37, v46
	v_fmac_f32_e32 v47, 0x32a5705f, v16
	v_sub_f32_e32 v38, v38, v48
	v_cvt_i32_f32_e32 v42, v42
	v_fmac_f32_e32 v49, 0x32a5705f, v18
	v_sub_f32_e32 v39, v39, v50
	v_fmac_f32_e32 v27, 0x32a5705f, v20
	v_sub_f32_e32 v40, v40, v29
	;; [unrolled: 2-line block ×3, first 2 shown]
	v_exp_f32_e32 v31, v31
	v_add_f32_e32 v37, v37, v45
	v_add_f32_e32 v38, v38, v47
	v_cvt_i32_f32_e32 v44, v44
	v_add_f32_e32 v39, v39, v49
	v_add_f32_e32 v27, v40, v27
	;; [unrolled: 1-line block ×3, first 2 shown]
	v_exp_f32_e32 v36, v36
	v_sub_f32_e32 v24, v24, v1
	v_cvt_i32_f32_e32 v46, v46
	v_cvt_i32_f32_e32 v48, v48
	;; [unrolled: 1-line block ×5, first 2 shown]
	v_exp_f32_e32 v37, v37
	v_exp_f32_e32 v38, v38
	;; [unrolled: 1-line block ×5, first 2 shown]
	v_mul_f32_e32 v4, 0x3fb8aa3b, v24
	v_fma_f32 v45, v24, s22, -v4
	v_rndne_f32_e32 v47, v4
	v_ldexp_f32 v31, v31, v42
	v_cmp_ngt_f32_e64 s[12:13], s23, v10
	v_fmac_f32_e32 v45, 0x32a5705f, v24
	v_sub_f32_e32 v4, v4, v47
	v_ldexp_f32 v36, v36, v44
	v_cmp_ngt_f32_e32 vcc, s23, v12
	v_cndmask_b32_e64 v31, 0, v31, s[12:13]
	v_cmp_nlt_f32_e64 s[12:13], s24, v10
	v_add_f32_e32 v4, v4, v45
	v_ldexp_f32 v37, v37, v46
	v_cmp_ngt_f32_e64 s[0:1], s23, v14
	v_ldexp_f32 v38, v38, v48
	v_cmp_ngt_f32_e64 s[2:3], s23, v16
	;; [unrolled: 2-line block ×5, first 2 shown]
	v_cndmask_b32_e32 v35, 0, v36, vcc
	v_cmp_nlt_f32_e32 vcc, s24, v12
	v_cndmask_b32_e64 v10, v8, v31, s[12:13]
	v_cvt_i32_f32_e32 v47, v47
	v_exp_f32_e32 v4, v4
	v_cndmask_b32_e64 v12, 0, v37, s[0:1]
	v_cmp_nlt_f32_e64 s[0:1], s24, v14
	v_cndmask_b32_e64 v14, 0, v38, s[2:3]
	v_cmp_nlt_f32_e64 s[2:3], s24, v16
	;; [unrolled: 2-line block ×5, first 2 shown]
	v_cndmask_b32_e32 v22, v8, v35, vcc
	v_fmac_f32_e32 v7, v10, v11
	s_waitcnt vmcnt(7)
	v_fmac_f32_e32 v6, v3, v10
	v_cndmask_b32_e64 v12, v8, v12, s[0:1]
	v_fmac_f32_e32 v7, v22, v13
	s_waitcnt vmcnt(6)
	v_fmac_f32_e32 v6, v9, v22
	v_cndmask_b32_e64 v14, v8, v14, s[2:3]
	;; [unrolled: 4-line block ×3, first 2 shown]
	v_fmac_f32_e32 v7, v14, v17
	s_waitcnt vmcnt(3)
	v_fmac_f32_e32 v6, v33, v14
	v_ldexp_f32 v4, v4, v47
	v_cmp_ngt_f32_e64 s[10:11], s23, v24
	v_cndmask_b32_e64 v18, v8, v18, s[6:7]
	v_fmac_f32_e32 v7, v16, v19
	s_waitcnt vmcnt(2)
	v_fmac_f32_e32 v6, v34, v16
	v_cndmask_b32_e64 v4, 0, v4, s[10:11]
	v_cmp_nlt_f32_e64 s[10:11], s24, v24
	v_cndmask_b32_e64 v20, v8, v20, s[8:9]
	v_fmac_f32_e32 v7, v18, v21
	s_waitcnt vmcnt(1)
	v_fmac_f32_e32 v6, v30, v18
	s_add_i32 s25, s25, 8
	s_add_i32 s21, s21, 64
	v_cndmask_b32_e64 v4, v8, v4, s[10:11]
	v_fmac_f32_e32 v7, v20, v23
	s_waitcnt vmcnt(0)
	v_fmac_f32_e32 v6, v26, v20
	s_cmp_eq_u32 s20, s25
	v_add_u32_e32 v2, 0x800, v2
	v_fmac_f32_e32 v7, v4, v25
	v_fmac_f32_e32 v6, v28, v4
	s_cbranch_scc0 .LBB33_24
; %bb.25:
	s_and_b32 s0, s19, 7
	s_cmp_eq_u32 s0, 0
	s_cbranch_scc0 .LBB33_28
	s_branch .LBB33_30
.LBB33_26:
	s_waitcnt lgkmcnt(0)
	v_mov_b32_e32 v1, 0x7fc00000
	s_branch .LBB33_31
.LBB33_27:
	s_mov_b32 s20, 0
	v_mov_b32_e32 v7, 0
	s_and_b32 s0, s19, 7
	s_cmp_eq_u32 s0, 0
	s_cbranch_scc1 .LBB33_30
.LBB33_28:
	s_lshl_b32 s1, s20, 3
	v_lshl_or_b32 v2, s20, 8, v0
	s_add_i32 s1, s1, 0
	s_mov_b32 s2, 0x3fb8aa3b
	s_mov_b32 s3, 0xc2ce8ed0
	;; [unrolled: 1-line block ×3, first 2 shown]
	v_mov_b32_e32 v4, 0x7f800000
	v_mov_b32_e32 v3, 0
.LBB33_29:                              ; =>This Inner Loop Header: Depth=1
	v_lshl_add_u64 v[8:9], v[2:3], 2, s[16:17]
	global_load_dword v5, v[8:9], off
	v_mov_b32_e32 v8, s1
	ds_read_b64 v[8:9], v8
	s_add_i32 s1, s1, 8
	s_add_i32 s0, s0, -1
	v_add_u32_e32 v2, 0x100, v2
	s_cmp_lg_u32 s0, 0
	s_waitcnt lgkmcnt(0)
	v_sub_f32_e32 v8, v8, v1
	v_mul_f32_e32 v10, 0x3fb8aa3b, v8
	v_fma_f32 v11, v8, s2, -v10
	v_rndne_f32_e32 v12, v10
	v_fmac_f32_e32 v11, 0x32a5705f, v8
	v_sub_f32_e32 v10, v10, v12
	v_add_f32_e32 v10, v10, v11
	v_cvt_i32_f32_e32 v12, v12
	v_exp_f32_e32 v10, v10
	v_cmp_ngt_f32_e32 vcc, s3, v8
	v_ldexp_f32 v10, v10, v12
	s_nop 0
	v_cndmask_b32_e32 v10, 0, v10, vcc
	v_cmp_nlt_f32_e32 vcc, s4, v8
	s_nop 1
	v_cndmask_b32_e32 v8, v4, v10, vcc
	v_fmac_f32_e32 v7, v8, v9
	s_waitcnt vmcnt(0)
	v_fmac_f32_e32 v6, v5, v8
	s_cbranch_scc1 .LBB33_29
.LBB33_30:
	s_waitcnt lgkmcnt(0)
	v_div_scale_f32 v1, s[0:1], v7, v7, v6
	v_rcp_f32_e32 v2, v1
	v_div_scale_f32 v3, vcc, v6, v7, v6
	v_fma_f32 v4, -v1, v2, 1.0
	v_fmac_f32_e32 v2, v4, v2
	v_mul_f32_e32 v4, v3, v2
	v_fma_f32 v5, -v1, v4, v3
	v_fmac_f32_e32 v4, v5, v2
	v_fma_f32 v1, -v1, v4, v3
	v_div_fmas_f32 v1, v1, v2, v4
	v_div_fixup_f32 v1, v1, v7, v6
.LBB33_31:
	s_lshl_b32 s0, s18, 8
	s_ashr_i32 s1, s0, 31
	s_lshl_b64 s[0:1], s[0:1], 2
	s_add_u32 s0, s14, s0
	s_addc_u32 s1, s15, s1
	v_lshlrev_b32_e32 v0, 2, v0
	global_store_dword v0, v1, s[0:1]
	s_endpgm
	.section	.rodata,"a",@progbits
	.p2align	6, 0x0
	.amdhsa_kernel _ZL26flash_attn_combine_resultsILi256EEvPKfPK15HIP_vector_typeIfLj2EEPfi
		.amdhsa_group_segment_fixed_size 0
		.amdhsa_private_segment_fixed_size 0
		.amdhsa_kernarg_size 288
		.amdhsa_user_sgpr_count 2
		.amdhsa_user_sgpr_dispatch_ptr 0
		.amdhsa_user_sgpr_queue_ptr 0
		.amdhsa_user_sgpr_kernarg_segment_ptr 1
		.amdhsa_user_sgpr_dispatch_id 0
		.amdhsa_user_sgpr_kernarg_preload_length 0
		.amdhsa_user_sgpr_kernarg_preload_offset 0
		.amdhsa_user_sgpr_private_segment_size 0
		.amdhsa_uses_dynamic_stack 0
		.amdhsa_enable_private_segment 0
		.amdhsa_system_sgpr_workgroup_id_x 1
		.amdhsa_system_sgpr_workgroup_id_y 1
		.amdhsa_system_sgpr_workgroup_id_z 1
		.amdhsa_system_sgpr_workgroup_info 0
		.amdhsa_system_vgpr_workitem_id 0
		.amdhsa_next_free_vgpr 51
		.amdhsa_next_free_sgpr 26
		.amdhsa_accum_offset 52
		.amdhsa_reserve_vcc 1
		.amdhsa_float_round_mode_32 0
		.amdhsa_float_round_mode_16_64 0
		.amdhsa_float_denorm_mode_32 3
		.amdhsa_float_denorm_mode_16_64 3
		.amdhsa_dx10_clamp 1
		.amdhsa_ieee_mode 1
		.amdhsa_fp16_overflow 0
		.amdhsa_tg_split 0
		.amdhsa_exception_fp_ieee_invalid_op 0
		.amdhsa_exception_fp_denorm_src 0
		.amdhsa_exception_fp_ieee_div_zero 0
		.amdhsa_exception_fp_ieee_overflow 0
		.amdhsa_exception_fp_ieee_underflow 0
		.amdhsa_exception_fp_ieee_inexact 0
		.amdhsa_exception_int_div_zero 0
	.end_amdhsa_kernel
	.section	.text._ZL26flash_attn_combine_resultsILi256EEvPKfPK15HIP_vector_typeIfLj2EEPfi,"axG",@progbits,_ZL26flash_attn_combine_resultsILi256EEvPKfPK15HIP_vector_typeIfLj2EEPfi,comdat
.Lfunc_end33:
	.size	_ZL26flash_attn_combine_resultsILi256EEvPKfPK15HIP_vector_typeIfLj2EEPfi, .Lfunc_end33-_ZL26flash_attn_combine_resultsILi256EEvPKfPK15HIP_vector_typeIfLj2EEPfi
                                        ; -- End function
	.section	.AMDGPU.csdata,"",@progbits
; Kernel info:
; codeLenInByte = 2808
; NumSgprs: 32
; NumVgprs: 51
; NumAgprs: 0
; TotalNumVgprs: 51
; ScratchSize: 0
; MemoryBound: 0
; FloatMode: 240
; IeeeMode: 1
; LDSByteSize: 0 bytes/workgroup (compile time only)
; SGPRBlocks: 3
; VGPRBlocks: 6
; NumSGPRsForWavesPerEU: 32
; NumVGPRsForWavesPerEU: 51
; AccumOffset: 52
; Occupancy: 8
; WaveLimiterHint : 0
; COMPUTE_PGM_RSRC2:SCRATCH_EN: 0
; COMPUTE_PGM_RSRC2:USER_SGPR: 2
; COMPUTE_PGM_RSRC2:TRAP_HANDLER: 0
; COMPUTE_PGM_RSRC2:TGID_X_EN: 1
; COMPUTE_PGM_RSRC2:TGID_Y_EN: 1
; COMPUTE_PGM_RSRC2:TGID_Z_EN: 1
; COMPUTE_PGM_RSRC2:TIDIG_COMP_CNT: 0
; COMPUTE_PGM_RSRC3_GFX90A:ACCUM_OFFSET: 12
; COMPUTE_PGM_RSRC3_GFX90A:TG_SPLIT: 0
	.text
	.p2alignl 6, 3212836864
	.fill 256, 4, 3212836864
	.type	.str.1,@object                  ; @.str.1
	.section	.rodata.str1.1,"aMS",@progbits,1
.str.1:
	.asciz	"/root/src/amdgpu-assembly/repos/ggml-org__llama.cpp/ggml/src/ggml-cuda/template-instances/../fattn-mma-f16.cuh"
	.size	.str.1, 111

	.type	__FUNCTION__._ZL18flash_attn_ext_f16ILi64ELi64ELi32ELi1ELb1ELb0EEvPKcS1_S1_S1_S1_PKiPfP15HIP_vector_typeIfLj2EEffffjfiS5_IjLj3EEiiiiiiiiiiiliiliiiiil,@object ; @__FUNCTION__._ZL18flash_attn_ext_f16ILi64ELi64ELi32ELi1ELb1ELb0EEvPKcS1_S1_S1_S1_PKiPfP15HIP_vector_typeIfLj2EEffffjfiS5_IjLj3EEiiiiiiiiiiiliiliiiiil
__FUNCTION__._ZL18flash_attn_ext_f16ILi64ELi64ELi32ELi1ELb1ELb0EEvPKcS1_S1_S1_S1_PKiPfP15HIP_vector_typeIfLj2EEffffjfiS5_IjLj3EEiiiiiiiiiiiliiliiiiil:
	.asciz	"flash_attn_ext_f16"
	.size	__FUNCTION__._ZL18flash_attn_ext_f16ILi64ELi64ELi32ELi1ELb1ELb0EEvPKcS1_S1_S1_S1_PKiPfP15HIP_vector_typeIfLj2EEffffjfiS5_IjLj3EEiiiiiiiiiiiliiliiiiil, 19

	.type	.str.3,@object                  ; @.str.3
.str.3:
	.asciz	"%s:%d: ERROR: HIP kernel %s has no device code compatible with HIP arch %d.\n"
	.size	.str.3, 77

	.type	__hip_cuid_5a48f2de2c2d6fe0,@object ; @__hip_cuid_5a48f2de2c2d6fe0
	.section	.bss,"aw",@nobits
	.globl	__hip_cuid_5a48f2de2c2d6fe0
__hip_cuid_5a48f2de2c2d6fe0:
	.byte	0                               ; 0x0
	.size	__hip_cuid_5a48f2de2c2d6fe0, 1

	.ident	"AMD clang version 19.0.0git (https://github.com/RadeonOpenCompute/llvm-project roc-6.4.0 25133 c7fe45cf4b819c5991fe208aaa96edf142730f1d)"
	.section	".note.GNU-stack","",@progbits
	.addrsig
	.addrsig_sym __hip_cuid_5a48f2de2c2d6fe0
	.amdgpu_metadata
---
amdhsa.kernels:
  - .agpr_count:     0
    .args:
      - .address_space:  global
        .offset:         0
        .size:           8
        .value_kind:     global_buffer
      - .address_space:  global
        .offset:         8
        .size:           8
        .value_kind:     global_buffer
      - .address_space:  global
        .offset:         16
        .size:           8
        .value_kind:     global_buffer
      - .address_space:  global
        .offset:         24
        .size:           8
        .value_kind:     global_buffer
      - .address_space:  global
        .offset:         32
        .size:           8
        .value_kind:     global_buffer
      - .address_space:  global
        .offset:         40
        .size:           8
        .value_kind:     global_buffer
      - .address_space:  global
        .offset:         48
        .size:           8
        .value_kind:     global_buffer
      - .address_space:  global
        .offset:         56
        .size:           8
        .value_kind:     global_buffer
      - .offset:         64
        .size:           4
        .value_kind:     by_value
      - .offset:         68
        .size:           4
        .value_kind:     by_value
      - .offset:         72
        .size:           4
        .value_kind:     by_value
      - .offset:         76
        .size:           4
        .value_kind:     by_value
      - .offset:         80
        .size:           4
        .value_kind:     by_value
      - .offset:         84
        .size:           4
        .value_kind:     by_value
      - .offset:         88
        .size:           4
        .value_kind:     by_value
      - .offset:         92
        .size:           12
        .value_kind:     by_value
      - .offset:         104
        .size:           4
        .value_kind:     by_value
      - .offset:         108
        .size:           4
        .value_kind:     by_value
      - .offset:         112
        .size:           4
        .value_kind:     by_value
      - .offset:         116
        .size:           4
        .value_kind:     by_value
      - .offset:         120
        .size:           4
        .value_kind:     by_value
      - .offset:         124
        .size:           4
        .value_kind:     by_value
      - .offset:         128
        .size:           4
        .value_kind:     by_value
      - .offset:         132
        .size:           4
        .value_kind:     by_value
      - .offset:         136
        .size:           4
        .value_kind:     by_value
      - .offset:         140
        .size:           4
        .value_kind:     by_value
      - .offset:         144
        .size:           4
        .value_kind:     by_value
      - .offset:         152
        .size:           8
        .value_kind:     by_value
      - .offset:         160
        .size:           4
        .value_kind:     by_value
      - .offset:         164
        .size:           4
        .value_kind:     by_value
      - .offset:         168
        .size:           8
        .value_kind:     by_value
      - .offset:         176
        .size:           4
        .value_kind:     by_value
      - .offset:         180
        .size:           4
        .value_kind:     by_value
      - .offset:         184
        .size:           4
        .value_kind:     by_value
      - .offset:         188
        .size:           4
        .value_kind:     by_value
      - .offset:         192
        .size:           4
        .value_kind:     by_value
      - .offset:         200
        .size:           8
        .value_kind:     by_value
      - .offset:         208
        .size:           4
        .value_kind:     hidden_block_count_x
      - .offset:         212
        .size:           4
        .value_kind:     hidden_block_count_y
      - .offset:         216
        .size:           4
        .value_kind:     hidden_block_count_z
      - .offset:         220
        .size:           2
        .value_kind:     hidden_group_size_x
      - .offset:         222
        .size:           2
        .value_kind:     hidden_group_size_y
      - .offset:         224
        .size:           2
        .value_kind:     hidden_group_size_z
      - .offset:         226
        .size:           2
        .value_kind:     hidden_remainder_x
      - .offset:         228
        .size:           2
        .value_kind:     hidden_remainder_y
      - .offset:         230
        .size:           2
        .value_kind:     hidden_remainder_z
      - .offset:         248
        .size:           8
        .value_kind:     hidden_global_offset_x
      - .offset:         256
        .size:           8
        .value_kind:     hidden_global_offset_y
      - .offset:         264
        .size:           8
        .value_kind:     hidden_global_offset_z
      - .offset:         272
        .size:           2
        .value_kind:     hidden_grid_dims
      - .offset:         328
        .size:           4
        .value_kind:     hidden_dynamic_lds_size
    .group_segment_fixed_size: 0
    .kernarg_segment_align: 8
    .kernarg_segment_size: 464
    .language:       OpenCL C
    .language_version:
      - 2
      - 0
    .max_flat_workgroup_size: 256
    .name:           _ZL18flash_attn_ext_f16ILi64ELi64ELi32ELi1ELb0ELb0EEvPKcS1_S1_S1_S1_PKiPfP15HIP_vector_typeIfLj2EEffffjfiS5_IjLj3EEiiiiiiiiiiiliiliiiiil
    .private_segment_fixed_size: 32
    .sgpr_count:     106
    .sgpr_spill_count: 71
    .symbol:         _ZL18flash_attn_ext_f16ILi64ELi64ELi32ELi1ELb0ELb0EEvPKcS1_S1_S1_S1_PKiPfP15HIP_vector_typeIfLj2EEffffjfiS5_IjLj3EEiiiiiiiiiiiliiliiiiil.kd
    .uniform_work_group_size: 1
    .uses_dynamic_stack: false
    .vgpr_count:     192
    .vgpr_spill_count: 0
    .wavefront_size: 64
  - .agpr_count:     0
    .args:
      - .address_space:  global
        .offset:         0
        .size:           8
        .value_kind:     global_buffer
      - .address_space:  global
        .offset:         8
        .size:           8
        .value_kind:     global_buffer
      - .address_space:  global
        .offset:         16
        .size:           8
        .value_kind:     global_buffer
      - .address_space:  global
        .offset:         24
        .size:           8
        .value_kind:     global_buffer
      - .address_space:  global
        .offset:         32
        .size:           8
        .value_kind:     global_buffer
      - .address_space:  global
        .offset:         40
        .size:           8
        .value_kind:     global_buffer
      - .address_space:  global
        .offset:         48
        .size:           8
        .value_kind:     global_buffer
      - .address_space:  global
        .offset:         56
        .size:           8
        .value_kind:     global_buffer
      - .offset:         64
        .size:           4
        .value_kind:     by_value
      - .offset:         68
        .size:           4
        .value_kind:     by_value
      - .offset:         72
        .size:           4
        .value_kind:     by_value
      - .offset:         76
        .size:           4
        .value_kind:     by_value
      - .offset:         80
        .size:           4
        .value_kind:     by_value
      - .offset:         84
        .size:           4
        .value_kind:     by_value
      - .offset:         88
        .size:           4
        .value_kind:     by_value
      - .offset:         92
        .size:           12
        .value_kind:     by_value
      - .offset:         104
        .size:           4
        .value_kind:     by_value
      - .offset:         108
        .size:           4
        .value_kind:     by_value
      - .offset:         112
        .size:           4
        .value_kind:     by_value
      - .offset:         116
        .size:           4
        .value_kind:     by_value
      - .offset:         120
        .size:           4
        .value_kind:     by_value
      - .offset:         124
        .size:           4
        .value_kind:     by_value
      - .offset:         128
        .size:           4
        .value_kind:     by_value
      - .offset:         132
        .size:           4
        .value_kind:     by_value
      - .offset:         136
        .size:           4
        .value_kind:     by_value
      - .offset:         140
        .size:           4
        .value_kind:     by_value
      - .offset:         144
        .size:           4
        .value_kind:     by_value
      - .offset:         152
        .size:           8
        .value_kind:     by_value
      - .offset:         160
        .size:           4
        .value_kind:     by_value
      - .offset:         164
        .size:           4
        .value_kind:     by_value
      - .offset:         168
        .size:           8
        .value_kind:     by_value
      - .offset:         176
        .size:           4
        .value_kind:     by_value
      - .offset:         180
        .size:           4
        .value_kind:     by_value
      - .offset:         184
        .size:           4
        .value_kind:     by_value
      - .offset:         188
        .size:           4
        .value_kind:     by_value
      - .offset:         192
        .size:           4
        .value_kind:     by_value
      - .offset:         200
        .size:           8
        .value_kind:     by_value
      - .offset:         208
        .size:           4
        .value_kind:     hidden_block_count_x
      - .offset:         212
        .size:           4
        .value_kind:     hidden_block_count_y
      - .offset:         216
        .size:           4
        .value_kind:     hidden_block_count_z
      - .offset:         220
        .size:           2
        .value_kind:     hidden_group_size_x
      - .offset:         222
        .size:           2
        .value_kind:     hidden_group_size_y
      - .offset:         224
        .size:           2
        .value_kind:     hidden_group_size_z
      - .offset:         226
        .size:           2
        .value_kind:     hidden_remainder_x
      - .offset:         228
        .size:           2
        .value_kind:     hidden_remainder_y
      - .offset:         230
        .size:           2
        .value_kind:     hidden_remainder_z
      - .offset:         248
        .size:           8
        .value_kind:     hidden_global_offset_x
      - .offset:         256
        .size:           8
        .value_kind:     hidden_global_offset_y
      - .offset:         264
        .size:           8
        .value_kind:     hidden_global_offset_z
      - .offset:         272
        .size:           2
        .value_kind:     hidden_grid_dims
      - .offset:         288
        .size:           8
        .value_kind:     hidden_hostcall_buffer
    .group_segment_fixed_size: 0
    .kernarg_segment_align: 8
    .kernarg_segment_size: 464
    .language:       OpenCL C
    .language_version:
      - 2
      - 0
    .max_flat_workgroup_size: 256
    .name:           _ZL18flash_attn_ext_f16ILi64ELi64ELi32ELi1ELb1ELb0EEvPKcS1_S1_S1_S1_PKiPfP15HIP_vector_typeIfLj2EEffffjfiS5_IjLj3EEiiiiiiiiiiiliiliiiiil
    .private_segment_fixed_size: 16
    .sgpr_count:     40
    .sgpr_spill_count: 0
    .symbol:         _ZL18flash_attn_ext_f16ILi64ELi64ELi32ELi1ELb1ELb0EEvPKcS1_S1_S1_S1_PKiPfP15HIP_vector_typeIfLj2EEffffjfiS5_IjLj3EEiiiiiiiiiiiliiliiiiil.kd
    .uniform_work_group_size: 1
    .uses_dynamic_stack: false
    .vgpr_count:     39
    .vgpr_spill_count: 0
    .wavefront_size: 64
  - .agpr_count:     0
    .args:
      - .actual_access:  read_only
        .address_space:  global
        .offset:         0
        .size:           8
        .value_kind:     global_buffer
      - .actual_access:  write_only
        .address_space:  global
        .offset:         8
        .size:           8
        .value_kind:     global_buffer
      - .offset:         16
        .size:           4
        .value_kind:     by_value
      - .offset:         20
        .size:           4
        .value_kind:     by_value
      - .offset:         24
        .size:           4
        .value_kind:     by_value
      - .offset:         32
        .size:           4
        .value_kind:     hidden_block_count_x
      - .offset:         36
        .size:           4
        .value_kind:     hidden_block_count_y
      - .offset:         40
        .size:           4
        .value_kind:     hidden_block_count_z
      - .offset:         44
        .size:           2
        .value_kind:     hidden_group_size_x
      - .offset:         46
        .size:           2
        .value_kind:     hidden_group_size_y
      - .offset:         48
        .size:           2
        .value_kind:     hidden_group_size_z
      - .offset:         50
        .size:           2
        .value_kind:     hidden_remainder_x
      - .offset:         52
        .size:           2
        .value_kind:     hidden_remainder_y
      - .offset:         54
        .size:           2
        .value_kind:     hidden_remainder_z
      - .offset:         72
        .size:           8
        .value_kind:     hidden_global_offset_x
      - .offset:         80
        .size:           8
        .value_kind:     hidden_global_offset_y
      - .offset:         88
        .size:           8
        .value_kind:     hidden_global_offset_z
      - .offset:         96
        .size:           2
        .value_kind:     hidden_grid_dims
    .group_segment_fixed_size: 128
    .kernarg_segment_align: 8
    .kernarg_segment_size: 288
    .language:       OpenCL C
    .language_version:
      - 2
      - 0
    .max_flat_workgroup_size: 128
    .name:           _ZL25flash_attn_mask_to_KV_maxILi32EEvPK7__half2Piiii
    .private_segment_fixed_size: 0
    .sgpr_count:     106
    .sgpr_spill_count: 44
    .symbol:         _ZL25flash_attn_mask_to_KV_maxILi32EEvPK7__half2Piiii.kd
    .uniform_work_group_size: 1
    .uses_dynamic_stack: false
    .vgpr_count:     13
    .vgpr_spill_count: 0
    .wavefront_size: 64
  - .agpr_count:     0
    .args:
      - .address_space:  global
        .offset:         0
        .size:           8
        .value_kind:     global_buffer
      - .address_space:  global
        .offset:         8
        .size:           8
        .value_kind:     global_buffer
      - .offset:         16
        .size:           4
        .value_kind:     by_value
      - .offset:         20
        .size:           4
        .value_kind:     by_value
      - .offset:         24
        .size:           4
        .value_kind:     by_value
      - .offset:         28
        .size:           4
        .value_kind:     by_value
      - .offset:         32
        .size:           4
        .value_kind:     by_value
      - .offset:         36
        .size:           4
        .value_kind:     by_value
      - .offset:         40
        .size:           12
        .value_kind:     by_value
      - .offset:         52
        .size:           12
        .value_kind:     by_value
      - .offset:         64
        .size:           12
        .value_kind:     by_value
    .group_segment_fixed_size: 0
    .kernarg_segment_align: 8
    .kernarg_segment_size: 76
    .language:       OpenCL C
    .language_version:
      - 2
      - 0
    .max_flat_workgroup_size: 64
    .name:           _ZL33flash_attn_stream_k_fixup_uniformILi64ELi32ELi1EEvPfPK15HIP_vector_typeIfLj2EEiiiiiiS1_IjLj3EES5_S5_
    .private_segment_fixed_size: 0
    .sgpr_count:     30
    .sgpr_spill_count: 0
    .symbol:         _ZL33flash_attn_stream_k_fixup_uniformILi64ELi32ELi1EEvPfPK15HIP_vector_typeIfLj2EEiiiiiiS1_IjLj3EES5_S5_.kd
    .uniform_work_group_size: 1
    .uses_dynamic_stack: false
    .vgpr_count:     16
    .vgpr_spill_count: 0
    .wavefront_size: 64
  - .agpr_count:     0
    .args:
      - .address_space:  global
        .offset:         0
        .size:           8
        .value_kind:     global_buffer
      - .address_space:  global
        .offset:         8
        .size:           8
        .value_kind:     global_buffer
      - .offset:         16
        .size:           4
        .value_kind:     by_value
      - .offset:         20
        .size:           4
        .value_kind:     by_value
      - .offset:         24
        .size:           4
        .value_kind:     by_value
      - .offset:         28
        .size:           4
        .value_kind:     by_value
      - .offset:         32
        .size:           12
        .value_kind:     by_value
      - .offset:         44
        .size:           12
        .value_kind:     by_value
      - .offset:         56
        .size:           12
        .value_kind:     by_value
      - .offset:         68
        .size:           12
        .value_kind:     by_value
      - .offset:         80
        .size:           4
        .value_kind:     hidden_block_count_x
      - .offset:         84
        .size:           4
        .value_kind:     hidden_block_count_y
      - .offset:         88
        .size:           4
        .value_kind:     hidden_block_count_z
      - .offset:         92
        .size:           2
        .value_kind:     hidden_group_size_x
      - .offset:         94
        .size:           2
        .value_kind:     hidden_group_size_y
      - .offset:         96
        .size:           2
        .value_kind:     hidden_group_size_z
      - .offset:         98
        .size:           2
        .value_kind:     hidden_remainder_x
      - .offset:         100
        .size:           2
        .value_kind:     hidden_remainder_y
      - .offset:         102
        .size:           2
        .value_kind:     hidden_remainder_z
      - .offset:         120
        .size:           8
        .value_kind:     hidden_global_offset_x
      - .offset:         128
        .size:           8
        .value_kind:     hidden_global_offset_y
      - .offset:         136
        .size:           8
        .value_kind:     hidden_global_offset_z
      - .offset:         144
        .size:           2
        .value_kind:     hidden_grid_dims
    .group_segment_fixed_size: 0
    .kernarg_segment_align: 8
    .kernarg_segment_size: 336
    .language:       OpenCL C
    .language_version:
      - 2
      - 0
    .max_flat_workgroup_size: 64
    .name:           _ZL33flash_attn_stream_k_fixup_generalILi64ELi32ELi1EEvPfPK15HIP_vector_typeIfLj2EEiiiiS1_IjLj3EES5_S5_S5_
    .private_segment_fixed_size: 0
    .sgpr_count:     38
    .sgpr_spill_count: 0
    .symbol:         _ZL33flash_attn_stream_k_fixup_generalILi64ELi32ELi1EEvPfPK15HIP_vector_typeIfLj2EEiiiiS1_IjLj3EES5_S5_S5_.kd
    .uniform_work_group_size: 1
    .uses_dynamic_stack: false
    .vgpr_count:     22
    .vgpr_spill_count: 0
    .wavefront_size: 64
  - .agpr_count:     0
    .args:
      - .address_space:  global
        .offset:         0
        .size:           8
        .value_kind:     global_buffer
      - .address_space:  global
        .offset:         8
        .size:           8
        .value_kind:     global_buffer
      - .address_space:  global
        .offset:         16
        .size:           8
        .value_kind:     global_buffer
      - .offset:         24
        .size:           4
        .value_kind:     by_value
      - .offset:         32
        .size:           4
        .value_kind:     hidden_block_count_x
      - .offset:         36
        .size:           4
        .value_kind:     hidden_block_count_y
      - .offset:         40
        .size:           4
        .value_kind:     hidden_block_count_z
      - .offset:         44
        .size:           2
        .value_kind:     hidden_group_size_x
      - .offset:         46
        .size:           2
        .value_kind:     hidden_group_size_y
      - .offset:         48
        .size:           2
        .value_kind:     hidden_group_size_z
      - .offset:         50
        .size:           2
        .value_kind:     hidden_remainder_x
      - .offset:         52
        .size:           2
        .value_kind:     hidden_remainder_y
      - .offset:         54
        .size:           2
        .value_kind:     hidden_remainder_z
      - .offset:         72
        .size:           8
        .value_kind:     hidden_global_offset_x
      - .offset:         80
        .size:           8
        .value_kind:     hidden_global_offset_y
      - .offset:         88
        .size:           8
        .value_kind:     hidden_global_offset_z
      - .offset:         96
        .size:           2
        .value_kind:     hidden_grid_dims
      - .offset:         152
        .size:           4
        .value_kind:     hidden_dynamic_lds_size
    .group_segment_fixed_size: 0
    .kernarg_segment_align: 8
    .kernarg_segment_size: 288
    .language:       OpenCL C
    .language_version:
      - 2
      - 0
    .max_flat_workgroup_size: 64
    .name:           _ZL26flash_attn_combine_resultsILi64EEvPKfPK15HIP_vector_typeIfLj2EEPfi
    .private_segment_fixed_size: 0
    .sgpr_count:     32
    .sgpr_spill_count: 0
    .symbol:         _ZL26flash_attn_combine_resultsILi64EEvPKfPK15HIP_vector_typeIfLj2EEPfi.kd
    .uniform_work_group_size: 1
    .uses_dynamic_stack: false
    .vgpr_count:     51
    .vgpr_spill_count: 0
    .wavefront_size: 64
  - .agpr_count:     0
    .args:
      - .address_space:  global
        .offset:         0
        .size:           8
        .value_kind:     global_buffer
      - .address_space:  global
        .offset:         8
        .size:           8
        .value_kind:     global_buffer
      - .address_space:  global
        .offset:         16
        .size:           8
        .value_kind:     global_buffer
      - .address_space:  global
        .offset:         24
        .size:           8
        .value_kind:     global_buffer
      - .address_space:  global
        .offset:         32
        .size:           8
        .value_kind:     global_buffer
      - .address_space:  global
        .offset:         40
        .size:           8
        .value_kind:     global_buffer
      - .address_space:  global
        .offset:         48
        .size:           8
        .value_kind:     global_buffer
      - .address_space:  global
        .offset:         56
        .size:           8
        .value_kind:     global_buffer
      - .offset:         64
        .size:           4
        .value_kind:     by_value
      - .offset:         68
        .size:           4
        .value_kind:     by_value
      - .offset:         72
        .size:           4
        .value_kind:     by_value
      - .offset:         76
        .size:           4
        .value_kind:     by_value
      - .offset:         80
        .size:           4
        .value_kind:     by_value
      - .offset:         84
        .size:           4
        .value_kind:     by_value
      - .offset:         88
        .size:           4
        .value_kind:     by_value
      - .offset:         92
        .size:           12
        .value_kind:     by_value
      - .offset:         104
        .size:           4
        .value_kind:     by_value
      - .offset:         108
        .size:           4
        .value_kind:     by_value
      - .offset:         112
        .size:           4
        .value_kind:     by_value
      - .offset:         116
        .size:           4
        .value_kind:     by_value
      - .offset:         120
        .size:           4
        .value_kind:     by_value
      - .offset:         124
        .size:           4
        .value_kind:     by_value
      - .offset:         128
        .size:           4
        .value_kind:     by_value
      - .offset:         132
        .size:           4
        .value_kind:     by_value
      - .offset:         136
        .size:           4
        .value_kind:     by_value
      - .offset:         140
        .size:           4
        .value_kind:     by_value
      - .offset:         144
        .size:           4
        .value_kind:     by_value
      - .offset:         152
        .size:           8
        .value_kind:     by_value
      - .offset:         160
        .size:           4
        .value_kind:     by_value
      - .offset:         164
        .size:           4
        .value_kind:     by_value
      - .offset:         168
        .size:           8
        .value_kind:     by_value
      - .offset:         176
        .size:           4
        .value_kind:     by_value
      - .offset:         180
        .size:           4
        .value_kind:     by_value
      - .offset:         184
        .size:           4
        .value_kind:     by_value
      - .offset:         188
        .size:           4
        .value_kind:     by_value
      - .offset:         192
        .size:           4
        .value_kind:     by_value
      - .offset:         200
        .size:           8
        .value_kind:     by_value
      - .offset:         208
        .size:           4
        .value_kind:     hidden_block_count_x
      - .offset:         212
        .size:           4
        .value_kind:     hidden_block_count_y
      - .offset:         216
        .size:           4
        .value_kind:     hidden_block_count_z
      - .offset:         220
        .size:           2
        .value_kind:     hidden_group_size_x
      - .offset:         222
        .size:           2
        .value_kind:     hidden_group_size_y
      - .offset:         224
        .size:           2
        .value_kind:     hidden_group_size_z
      - .offset:         226
        .size:           2
        .value_kind:     hidden_remainder_x
      - .offset:         228
        .size:           2
        .value_kind:     hidden_remainder_y
      - .offset:         230
        .size:           2
        .value_kind:     hidden_remainder_z
      - .offset:         248
        .size:           8
        .value_kind:     hidden_global_offset_x
      - .offset:         256
        .size:           8
        .value_kind:     hidden_global_offset_y
      - .offset:         264
        .size:           8
        .value_kind:     hidden_global_offset_z
      - .offset:         272
        .size:           2
        .value_kind:     hidden_grid_dims
      - .offset:         328
        .size:           4
        .value_kind:     hidden_dynamic_lds_size
    .group_segment_fixed_size: 0
    .kernarg_segment_align: 8
    .kernarg_segment_size: 464
    .language:       OpenCL C
    .language_version:
      - 2
      - 0
    .max_flat_workgroup_size: 256
    .name:           _ZL18flash_attn_ext_f16ILi80ELi80ELi32ELi1ELb0ELb0EEvPKcS1_S1_S1_S1_PKiPfP15HIP_vector_typeIfLj2EEffffjfiS5_IjLj3EEiiiiiiiiiiiliiliiiiil
    .private_segment_fixed_size: 32
    .sgpr_count:     106
    .sgpr_spill_count: 83
    .symbol:         _ZL18flash_attn_ext_f16ILi80ELi80ELi32ELi1ELb0ELb0EEvPKcS1_S1_S1_S1_PKiPfP15HIP_vector_typeIfLj2EEffffjfiS5_IjLj3EEiiiiiiiiiiiliiliiiiil.kd
    .uniform_work_group_size: 1
    .uses_dynamic_stack: false
    .vgpr_count:     222
    .vgpr_spill_count: 0
    .wavefront_size: 64
  - .agpr_count:     0
    .args:
      - .address_space:  global
        .offset:         0
        .size:           8
        .value_kind:     global_buffer
      - .address_space:  global
        .offset:         8
        .size:           8
        .value_kind:     global_buffer
      - .address_space:  global
        .offset:         16
        .size:           8
        .value_kind:     global_buffer
      - .address_space:  global
        .offset:         24
        .size:           8
        .value_kind:     global_buffer
      - .address_space:  global
        .offset:         32
        .size:           8
        .value_kind:     global_buffer
      - .address_space:  global
        .offset:         40
        .size:           8
        .value_kind:     global_buffer
      - .address_space:  global
        .offset:         48
        .size:           8
        .value_kind:     global_buffer
      - .address_space:  global
        .offset:         56
        .size:           8
        .value_kind:     global_buffer
      - .offset:         64
        .size:           4
        .value_kind:     by_value
      - .offset:         68
        .size:           4
        .value_kind:     by_value
      - .offset:         72
        .size:           4
        .value_kind:     by_value
      - .offset:         76
        .size:           4
        .value_kind:     by_value
      - .offset:         80
        .size:           4
        .value_kind:     by_value
      - .offset:         84
        .size:           4
        .value_kind:     by_value
      - .offset:         88
        .size:           4
        .value_kind:     by_value
      - .offset:         92
        .size:           12
        .value_kind:     by_value
      - .offset:         104
        .size:           4
        .value_kind:     by_value
      - .offset:         108
        .size:           4
        .value_kind:     by_value
      - .offset:         112
        .size:           4
        .value_kind:     by_value
      - .offset:         116
        .size:           4
        .value_kind:     by_value
      - .offset:         120
        .size:           4
        .value_kind:     by_value
      - .offset:         124
        .size:           4
        .value_kind:     by_value
      - .offset:         128
        .size:           4
        .value_kind:     by_value
      - .offset:         132
        .size:           4
        .value_kind:     by_value
      - .offset:         136
        .size:           4
        .value_kind:     by_value
      - .offset:         140
        .size:           4
        .value_kind:     by_value
      - .offset:         144
        .size:           4
        .value_kind:     by_value
      - .offset:         152
        .size:           8
        .value_kind:     by_value
      - .offset:         160
        .size:           4
        .value_kind:     by_value
      - .offset:         164
        .size:           4
        .value_kind:     by_value
      - .offset:         168
        .size:           8
        .value_kind:     by_value
      - .offset:         176
        .size:           4
        .value_kind:     by_value
      - .offset:         180
        .size:           4
        .value_kind:     by_value
      - .offset:         184
        .size:           4
        .value_kind:     by_value
      - .offset:         188
        .size:           4
        .value_kind:     by_value
      - .offset:         192
        .size:           4
        .value_kind:     by_value
      - .offset:         200
        .size:           8
        .value_kind:     by_value
      - .offset:         208
        .size:           4
        .value_kind:     hidden_block_count_x
      - .offset:         212
        .size:           4
        .value_kind:     hidden_block_count_y
      - .offset:         216
        .size:           4
        .value_kind:     hidden_block_count_z
      - .offset:         220
        .size:           2
        .value_kind:     hidden_group_size_x
      - .offset:         222
        .size:           2
        .value_kind:     hidden_group_size_y
      - .offset:         224
        .size:           2
        .value_kind:     hidden_group_size_z
      - .offset:         226
        .size:           2
        .value_kind:     hidden_remainder_x
      - .offset:         228
        .size:           2
        .value_kind:     hidden_remainder_y
      - .offset:         230
        .size:           2
        .value_kind:     hidden_remainder_z
      - .offset:         248
        .size:           8
        .value_kind:     hidden_global_offset_x
      - .offset:         256
        .size:           8
        .value_kind:     hidden_global_offset_y
      - .offset:         264
        .size:           8
        .value_kind:     hidden_global_offset_z
      - .offset:         272
        .size:           2
        .value_kind:     hidden_grid_dims
      - .offset:         288
        .size:           8
        .value_kind:     hidden_hostcall_buffer
    .group_segment_fixed_size: 0
    .kernarg_segment_align: 8
    .kernarg_segment_size: 464
    .language:       OpenCL C
    .language_version:
      - 2
      - 0
    .max_flat_workgroup_size: 256
    .name:           _ZL18flash_attn_ext_f16ILi80ELi80ELi32ELi1ELb1ELb0EEvPKcS1_S1_S1_S1_PKiPfP15HIP_vector_typeIfLj2EEffffjfiS5_IjLj3EEiiiiiiiiiiiliiliiiiil
    .private_segment_fixed_size: 16
    .sgpr_count:     40
    .sgpr_spill_count: 0
    .symbol:         _ZL18flash_attn_ext_f16ILi80ELi80ELi32ELi1ELb1ELb0EEvPKcS1_S1_S1_S1_PKiPfP15HIP_vector_typeIfLj2EEffffjfiS5_IjLj3EEiiiiiiiiiiiliiliiiiil.kd
    .uniform_work_group_size: 1
    .uses_dynamic_stack: false
    .vgpr_count:     39
    .vgpr_spill_count: 0
    .wavefront_size: 64
  - .agpr_count:     0
    .args:
      - .address_space:  global
        .offset:         0
        .size:           8
        .value_kind:     global_buffer
      - .address_space:  global
        .offset:         8
        .size:           8
        .value_kind:     global_buffer
      - .offset:         16
        .size:           4
        .value_kind:     by_value
      - .offset:         20
        .size:           4
        .value_kind:     by_value
      - .offset:         24
        .size:           4
        .value_kind:     by_value
      - .offset:         28
        .size:           4
        .value_kind:     by_value
      - .offset:         32
        .size:           4
        .value_kind:     by_value
      - .offset:         36
        .size:           4
        .value_kind:     by_value
      - .offset:         40
        .size:           12
        .value_kind:     by_value
      - .offset:         52
        .size:           12
        .value_kind:     by_value
      - .offset:         64
        .size:           12
        .value_kind:     by_value
    .group_segment_fixed_size: 0
    .kernarg_segment_align: 8
    .kernarg_segment_size: 76
    .language:       OpenCL C
    .language_version:
      - 2
      - 0
    .max_flat_workgroup_size: 80
    .name:           _ZL33flash_attn_stream_k_fixup_uniformILi80ELi32ELi1EEvPfPK15HIP_vector_typeIfLj2EEiiiiiiS1_IjLj3EES5_S5_
    .private_segment_fixed_size: 0
    .sgpr_count:     26
    .sgpr_spill_count: 0
    .symbol:         _ZL33flash_attn_stream_k_fixup_uniformILi80ELi32ELi1EEvPfPK15HIP_vector_typeIfLj2EEiiiiiiS1_IjLj3EES5_S5_.kd
    .uniform_work_group_size: 1
    .uses_dynamic_stack: false
    .vgpr_count:     16
    .vgpr_spill_count: 0
    .wavefront_size: 64
  - .agpr_count:     0
    .args:
      - .address_space:  global
        .offset:         0
        .size:           8
        .value_kind:     global_buffer
      - .address_space:  global
        .offset:         8
        .size:           8
        .value_kind:     global_buffer
      - .offset:         16
        .size:           4
        .value_kind:     by_value
      - .offset:         20
        .size:           4
        .value_kind:     by_value
      - .offset:         24
        .size:           4
        .value_kind:     by_value
      - .offset:         28
        .size:           4
        .value_kind:     by_value
      - .offset:         32
        .size:           12
        .value_kind:     by_value
      - .offset:         44
        .size:           12
        .value_kind:     by_value
      - .offset:         56
        .size:           12
        .value_kind:     by_value
      - .offset:         68
        .size:           12
        .value_kind:     by_value
      - .offset:         80
        .size:           4
        .value_kind:     hidden_block_count_x
      - .offset:         84
        .size:           4
        .value_kind:     hidden_block_count_y
      - .offset:         88
        .size:           4
        .value_kind:     hidden_block_count_z
      - .offset:         92
        .size:           2
        .value_kind:     hidden_group_size_x
      - .offset:         94
        .size:           2
        .value_kind:     hidden_group_size_y
      - .offset:         96
        .size:           2
        .value_kind:     hidden_group_size_z
      - .offset:         98
        .size:           2
        .value_kind:     hidden_remainder_x
      - .offset:         100
        .size:           2
        .value_kind:     hidden_remainder_y
      - .offset:         102
        .size:           2
        .value_kind:     hidden_remainder_z
      - .offset:         120
        .size:           8
        .value_kind:     hidden_global_offset_x
      - .offset:         128
        .size:           8
        .value_kind:     hidden_global_offset_y
      - .offset:         136
        .size:           8
        .value_kind:     hidden_global_offset_z
      - .offset:         144
        .size:           2
        .value_kind:     hidden_grid_dims
    .group_segment_fixed_size: 0
    .kernarg_segment_align: 8
    .kernarg_segment_size: 336
    .language:       OpenCL C
    .language_version:
      - 2
      - 0
    .max_flat_workgroup_size: 80
    .name:           _ZL33flash_attn_stream_k_fixup_generalILi80ELi32ELi1EEvPfPK15HIP_vector_typeIfLj2EEiiiiS1_IjLj3EES5_S5_S5_
    .private_segment_fixed_size: 0
    .sgpr_count:     38
    .sgpr_spill_count: 0
    .symbol:         _ZL33flash_attn_stream_k_fixup_generalILi80ELi32ELi1EEvPfPK15HIP_vector_typeIfLj2EEiiiiS1_IjLj3EES5_S5_S5_.kd
    .uniform_work_group_size: 1
    .uses_dynamic_stack: false
    .vgpr_count:     22
    .vgpr_spill_count: 0
    .wavefront_size: 64
  - .agpr_count:     0
    .args:
      - .address_space:  global
        .offset:         0
        .size:           8
        .value_kind:     global_buffer
      - .address_space:  global
        .offset:         8
        .size:           8
        .value_kind:     global_buffer
      - .address_space:  global
        .offset:         16
        .size:           8
        .value_kind:     global_buffer
      - .offset:         24
        .size:           4
        .value_kind:     by_value
      - .offset:         32
        .size:           4
        .value_kind:     hidden_block_count_x
      - .offset:         36
        .size:           4
        .value_kind:     hidden_block_count_y
      - .offset:         40
        .size:           4
        .value_kind:     hidden_block_count_z
      - .offset:         44
        .size:           2
        .value_kind:     hidden_group_size_x
      - .offset:         46
        .size:           2
        .value_kind:     hidden_group_size_y
      - .offset:         48
        .size:           2
        .value_kind:     hidden_group_size_z
      - .offset:         50
        .size:           2
        .value_kind:     hidden_remainder_x
      - .offset:         52
        .size:           2
        .value_kind:     hidden_remainder_y
      - .offset:         54
        .size:           2
        .value_kind:     hidden_remainder_z
      - .offset:         72
        .size:           8
        .value_kind:     hidden_global_offset_x
      - .offset:         80
        .size:           8
        .value_kind:     hidden_global_offset_y
      - .offset:         88
        .size:           8
        .value_kind:     hidden_global_offset_z
      - .offset:         96
        .size:           2
        .value_kind:     hidden_grid_dims
      - .offset:         152
        .size:           4
        .value_kind:     hidden_dynamic_lds_size
    .group_segment_fixed_size: 0
    .kernarg_segment_align: 8
    .kernarg_segment_size: 288
    .language:       OpenCL C
    .language_version:
      - 2
      - 0
    .max_flat_workgroup_size: 80
    .name:           _ZL26flash_attn_combine_resultsILi80EEvPKfPK15HIP_vector_typeIfLj2EEPfi
    .private_segment_fixed_size: 0
    .sgpr_count:     38
    .sgpr_spill_count: 0
    .symbol:         _ZL26flash_attn_combine_resultsILi80EEvPKfPK15HIP_vector_typeIfLj2EEPfi.kd
    .uniform_work_group_size: 1
    .uses_dynamic_stack: false
    .vgpr_count:     51
    .vgpr_spill_count: 0
    .wavefront_size: 64
  - .agpr_count:     0
    .args:
      - .address_space:  global
        .offset:         0
        .size:           8
        .value_kind:     global_buffer
      - .address_space:  global
        .offset:         8
        .size:           8
        .value_kind:     global_buffer
      - .address_space:  global
        .offset:         16
        .size:           8
        .value_kind:     global_buffer
      - .address_space:  global
        .offset:         24
        .size:           8
        .value_kind:     global_buffer
      - .address_space:  global
        .offset:         32
        .size:           8
        .value_kind:     global_buffer
      - .address_space:  global
        .offset:         40
        .size:           8
        .value_kind:     global_buffer
      - .address_space:  global
        .offset:         48
        .size:           8
        .value_kind:     global_buffer
      - .address_space:  global
        .offset:         56
        .size:           8
        .value_kind:     global_buffer
      - .offset:         64
        .size:           4
        .value_kind:     by_value
      - .offset:         68
        .size:           4
        .value_kind:     by_value
      - .offset:         72
        .size:           4
        .value_kind:     by_value
      - .offset:         76
        .size:           4
        .value_kind:     by_value
      - .offset:         80
        .size:           4
        .value_kind:     by_value
      - .offset:         84
        .size:           4
        .value_kind:     by_value
      - .offset:         88
        .size:           4
        .value_kind:     by_value
      - .offset:         92
        .size:           12
        .value_kind:     by_value
      - .offset:         104
        .size:           4
        .value_kind:     by_value
      - .offset:         108
        .size:           4
        .value_kind:     by_value
      - .offset:         112
        .size:           4
        .value_kind:     by_value
      - .offset:         116
        .size:           4
        .value_kind:     by_value
      - .offset:         120
        .size:           4
        .value_kind:     by_value
      - .offset:         124
        .size:           4
        .value_kind:     by_value
      - .offset:         128
        .size:           4
        .value_kind:     by_value
      - .offset:         132
        .size:           4
        .value_kind:     by_value
      - .offset:         136
        .size:           4
        .value_kind:     by_value
      - .offset:         140
        .size:           4
        .value_kind:     by_value
      - .offset:         144
        .size:           4
        .value_kind:     by_value
      - .offset:         152
        .size:           8
        .value_kind:     by_value
      - .offset:         160
        .size:           4
        .value_kind:     by_value
      - .offset:         164
        .size:           4
        .value_kind:     by_value
      - .offset:         168
        .size:           8
        .value_kind:     by_value
      - .offset:         176
        .size:           4
        .value_kind:     by_value
      - .offset:         180
        .size:           4
        .value_kind:     by_value
      - .offset:         184
        .size:           4
        .value_kind:     by_value
      - .offset:         188
        .size:           4
        .value_kind:     by_value
      - .offset:         192
        .size:           4
        .value_kind:     by_value
      - .offset:         200
        .size:           8
        .value_kind:     by_value
      - .offset:         208
        .size:           4
        .value_kind:     hidden_block_count_x
      - .offset:         212
        .size:           4
        .value_kind:     hidden_block_count_y
      - .offset:         216
        .size:           4
        .value_kind:     hidden_block_count_z
      - .offset:         220
        .size:           2
        .value_kind:     hidden_group_size_x
      - .offset:         222
        .size:           2
        .value_kind:     hidden_group_size_y
      - .offset:         224
        .size:           2
        .value_kind:     hidden_group_size_z
      - .offset:         226
        .size:           2
        .value_kind:     hidden_remainder_x
      - .offset:         228
        .size:           2
        .value_kind:     hidden_remainder_y
      - .offset:         230
        .size:           2
        .value_kind:     hidden_remainder_z
      - .offset:         248
        .size:           8
        .value_kind:     hidden_global_offset_x
      - .offset:         256
        .size:           8
        .value_kind:     hidden_global_offset_y
      - .offset:         264
        .size:           8
        .value_kind:     hidden_global_offset_z
      - .offset:         272
        .size:           2
        .value_kind:     hidden_grid_dims
      - .offset:         328
        .size:           4
        .value_kind:     hidden_dynamic_lds_size
    .group_segment_fixed_size: 0
    .kernarg_segment_align: 8
    .kernarg_segment_size: 464
    .language:       OpenCL C
    .language_version:
      - 2
      - 0
    .max_flat_workgroup_size: 256
    .name:           _ZL18flash_attn_ext_f16ILi96ELi96ELi32ELi1ELb0ELb0EEvPKcS1_S1_S1_S1_PKiPfP15HIP_vector_typeIfLj2EEffffjfiS5_IjLj3EEiiiiiiiiiiiliiliiiiil
    .private_segment_fixed_size: 32
    .sgpr_count:     106
    .sgpr_spill_count: 75
    .symbol:         _ZL18flash_attn_ext_f16ILi96ELi96ELi32ELi1ELb0ELb0EEvPKcS1_S1_S1_S1_PKiPfP15HIP_vector_typeIfLj2EEffffjfiS5_IjLj3EEiiiiiiiiiiiliiliiiiil.kd
    .uniform_work_group_size: 1
    .uses_dynamic_stack: false
    .vgpr_count:     239
    .vgpr_spill_count: 0
    .wavefront_size: 64
  - .agpr_count:     0
    .args:
      - .address_space:  global
        .offset:         0
        .size:           8
        .value_kind:     global_buffer
      - .address_space:  global
        .offset:         8
        .size:           8
        .value_kind:     global_buffer
      - .address_space:  global
        .offset:         16
        .size:           8
        .value_kind:     global_buffer
      - .address_space:  global
        .offset:         24
        .size:           8
        .value_kind:     global_buffer
      - .address_space:  global
        .offset:         32
        .size:           8
        .value_kind:     global_buffer
      - .address_space:  global
        .offset:         40
        .size:           8
        .value_kind:     global_buffer
      - .address_space:  global
        .offset:         48
        .size:           8
        .value_kind:     global_buffer
      - .address_space:  global
        .offset:         56
        .size:           8
        .value_kind:     global_buffer
      - .offset:         64
        .size:           4
        .value_kind:     by_value
      - .offset:         68
        .size:           4
        .value_kind:     by_value
      - .offset:         72
        .size:           4
        .value_kind:     by_value
      - .offset:         76
        .size:           4
        .value_kind:     by_value
      - .offset:         80
        .size:           4
        .value_kind:     by_value
      - .offset:         84
        .size:           4
        .value_kind:     by_value
      - .offset:         88
        .size:           4
        .value_kind:     by_value
      - .offset:         92
        .size:           12
        .value_kind:     by_value
      - .offset:         104
        .size:           4
        .value_kind:     by_value
      - .offset:         108
        .size:           4
        .value_kind:     by_value
      - .offset:         112
        .size:           4
        .value_kind:     by_value
      - .offset:         116
        .size:           4
        .value_kind:     by_value
      - .offset:         120
        .size:           4
        .value_kind:     by_value
      - .offset:         124
        .size:           4
        .value_kind:     by_value
      - .offset:         128
        .size:           4
        .value_kind:     by_value
      - .offset:         132
        .size:           4
        .value_kind:     by_value
      - .offset:         136
        .size:           4
        .value_kind:     by_value
      - .offset:         140
        .size:           4
        .value_kind:     by_value
      - .offset:         144
        .size:           4
        .value_kind:     by_value
      - .offset:         152
        .size:           8
        .value_kind:     by_value
      - .offset:         160
        .size:           4
        .value_kind:     by_value
      - .offset:         164
        .size:           4
        .value_kind:     by_value
      - .offset:         168
        .size:           8
        .value_kind:     by_value
      - .offset:         176
        .size:           4
        .value_kind:     by_value
      - .offset:         180
        .size:           4
        .value_kind:     by_value
      - .offset:         184
        .size:           4
        .value_kind:     by_value
      - .offset:         188
        .size:           4
        .value_kind:     by_value
      - .offset:         192
        .size:           4
        .value_kind:     by_value
      - .offset:         200
        .size:           8
        .value_kind:     by_value
      - .offset:         208
        .size:           4
        .value_kind:     hidden_block_count_x
      - .offset:         212
        .size:           4
        .value_kind:     hidden_block_count_y
      - .offset:         216
        .size:           4
        .value_kind:     hidden_block_count_z
      - .offset:         220
        .size:           2
        .value_kind:     hidden_group_size_x
      - .offset:         222
        .size:           2
        .value_kind:     hidden_group_size_y
      - .offset:         224
        .size:           2
        .value_kind:     hidden_group_size_z
      - .offset:         226
        .size:           2
        .value_kind:     hidden_remainder_x
      - .offset:         228
        .size:           2
        .value_kind:     hidden_remainder_y
      - .offset:         230
        .size:           2
        .value_kind:     hidden_remainder_z
      - .offset:         248
        .size:           8
        .value_kind:     hidden_global_offset_x
      - .offset:         256
        .size:           8
        .value_kind:     hidden_global_offset_y
      - .offset:         264
        .size:           8
        .value_kind:     hidden_global_offset_z
      - .offset:         272
        .size:           2
        .value_kind:     hidden_grid_dims
      - .offset:         288
        .size:           8
        .value_kind:     hidden_hostcall_buffer
    .group_segment_fixed_size: 0
    .kernarg_segment_align: 8
    .kernarg_segment_size: 464
    .language:       OpenCL C
    .language_version:
      - 2
      - 0
    .max_flat_workgroup_size: 256
    .name:           _ZL18flash_attn_ext_f16ILi96ELi96ELi32ELi1ELb1ELb0EEvPKcS1_S1_S1_S1_PKiPfP15HIP_vector_typeIfLj2EEffffjfiS5_IjLj3EEiiiiiiiiiiiliiliiiiil
    .private_segment_fixed_size: 16
    .sgpr_count:     40
    .sgpr_spill_count: 0
    .symbol:         _ZL18flash_attn_ext_f16ILi96ELi96ELi32ELi1ELb1ELb0EEvPKcS1_S1_S1_S1_PKiPfP15HIP_vector_typeIfLj2EEffffjfiS5_IjLj3EEiiiiiiiiiiiliiliiiiil.kd
    .uniform_work_group_size: 1
    .uses_dynamic_stack: false
    .vgpr_count:     39
    .vgpr_spill_count: 0
    .wavefront_size: 64
  - .agpr_count:     0
    .args:
      - .address_space:  global
        .offset:         0
        .size:           8
        .value_kind:     global_buffer
      - .address_space:  global
        .offset:         8
        .size:           8
        .value_kind:     global_buffer
      - .offset:         16
        .size:           4
        .value_kind:     by_value
      - .offset:         20
        .size:           4
        .value_kind:     by_value
      - .offset:         24
        .size:           4
        .value_kind:     by_value
      - .offset:         28
        .size:           4
        .value_kind:     by_value
      - .offset:         32
        .size:           4
        .value_kind:     by_value
      - .offset:         36
        .size:           4
        .value_kind:     by_value
      - .offset:         40
        .size:           12
        .value_kind:     by_value
      - .offset:         52
        .size:           12
        .value_kind:     by_value
      - .offset:         64
        .size:           12
        .value_kind:     by_value
    .group_segment_fixed_size: 0
    .kernarg_segment_align: 8
    .kernarg_segment_size: 76
    .language:       OpenCL C
    .language_version:
      - 2
      - 0
    .max_flat_workgroup_size: 96
    .name:           _ZL33flash_attn_stream_k_fixup_uniformILi96ELi32ELi1EEvPfPK15HIP_vector_typeIfLj2EEiiiiiiS1_IjLj3EES5_S5_
    .private_segment_fixed_size: 0
    .sgpr_count:     26
    .sgpr_spill_count: 0
    .symbol:         _ZL33flash_attn_stream_k_fixup_uniformILi96ELi32ELi1EEvPfPK15HIP_vector_typeIfLj2EEiiiiiiS1_IjLj3EES5_S5_.kd
    .uniform_work_group_size: 1
    .uses_dynamic_stack: false
    .vgpr_count:     16
    .vgpr_spill_count: 0
    .wavefront_size: 64
  - .agpr_count:     0
    .args:
      - .address_space:  global
        .offset:         0
        .size:           8
        .value_kind:     global_buffer
      - .address_space:  global
        .offset:         8
        .size:           8
        .value_kind:     global_buffer
      - .offset:         16
        .size:           4
        .value_kind:     by_value
      - .offset:         20
        .size:           4
        .value_kind:     by_value
      - .offset:         24
        .size:           4
        .value_kind:     by_value
      - .offset:         28
        .size:           4
        .value_kind:     by_value
      - .offset:         32
        .size:           12
        .value_kind:     by_value
      - .offset:         44
        .size:           12
        .value_kind:     by_value
      - .offset:         56
        .size:           12
        .value_kind:     by_value
      - .offset:         68
        .size:           12
        .value_kind:     by_value
      - .offset:         80
        .size:           4
        .value_kind:     hidden_block_count_x
      - .offset:         84
        .size:           4
        .value_kind:     hidden_block_count_y
      - .offset:         88
        .size:           4
        .value_kind:     hidden_block_count_z
      - .offset:         92
        .size:           2
        .value_kind:     hidden_group_size_x
      - .offset:         94
        .size:           2
        .value_kind:     hidden_group_size_y
      - .offset:         96
        .size:           2
        .value_kind:     hidden_group_size_z
      - .offset:         98
        .size:           2
        .value_kind:     hidden_remainder_x
      - .offset:         100
        .size:           2
        .value_kind:     hidden_remainder_y
      - .offset:         102
        .size:           2
        .value_kind:     hidden_remainder_z
      - .offset:         120
        .size:           8
        .value_kind:     hidden_global_offset_x
      - .offset:         128
        .size:           8
        .value_kind:     hidden_global_offset_y
      - .offset:         136
        .size:           8
        .value_kind:     hidden_global_offset_z
      - .offset:         144
        .size:           2
        .value_kind:     hidden_grid_dims
    .group_segment_fixed_size: 0
    .kernarg_segment_align: 8
    .kernarg_segment_size: 336
    .language:       OpenCL C
    .language_version:
      - 2
      - 0
    .max_flat_workgroup_size: 96
    .name:           _ZL33flash_attn_stream_k_fixup_generalILi96ELi32ELi1EEvPfPK15HIP_vector_typeIfLj2EEiiiiS1_IjLj3EES5_S5_S5_
    .private_segment_fixed_size: 0
    .sgpr_count:     38
    .sgpr_spill_count: 0
    .symbol:         _ZL33flash_attn_stream_k_fixup_generalILi96ELi32ELi1EEvPfPK15HIP_vector_typeIfLj2EEiiiiS1_IjLj3EES5_S5_S5_.kd
    .uniform_work_group_size: 1
    .uses_dynamic_stack: false
    .vgpr_count:     22
    .vgpr_spill_count: 0
    .wavefront_size: 64
  - .agpr_count:     0
    .args:
      - .address_space:  global
        .offset:         0
        .size:           8
        .value_kind:     global_buffer
      - .address_space:  global
        .offset:         8
        .size:           8
        .value_kind:     global_buffer
      - .address_space:  global
        .offset:         16
        .size:           8
        .value_kind:     global_buffer
      - .offset:         24
        .size:           4
        .value_kind:     by_value
      - .offset:         32
        .size:           4
        .value_kind:     hidden_block_count_x
      - .offset:         36
        .size:           4
        .value_kind:     hidden_block_count_y
      - .offset:         40
        .size:           4
        .value_kind:     hidden_block_count_z
      - .offset:         44
        .size:           2
        .value_kind:     hidden_group_size_x
      - .offset:         46
        .size:           2
        .value_kind:     hidden_group_size_y
      - .offset:         48
        .size:           2
        .value_kind:     hidden_group_size_z
      - .offset:         50
        .size:           2
        .value_kind:     hidden_remainder_x
      - .offset:         52
        .size:           2
        .value_kind:     hidden_remainder_y
      - .offset:         54
        .size:           2
        .value_kind:     hidden_remainder_z
      - .offset:         72
        .size:           8
        .value_kind:     hidden_global_offset_x
      - .offset:         80
        .size:           8
        .value_kind:     hidden_global_offset_y
      - .offset:         88
        .size:           8
        .value_kind:     hidden_global_offset_z
      - .offset:         96
        .size:           2
        .value_kind:     hidden_grid_dims
      - .offset:         152
        .size:           4
        .value_kind:     hidden_dynamic_lds_size
    .group_segment_fixed_size: 0
    .kernarg_segment_align: 8
    .kernarg_segment_size: 288
    .language:       OpenCL C
    .language_version:
      - 2
      - 0
    .max_flat_workgroup_size: 96
    .name:           _ZL26flash_attn_combine_resultsILi96EEvPKfPK15HIP_vector_typeIfLj2EEPfi
    .private_segment_fixed_size: 0
    .sgpr_count:     38
    .sgpr_spill_count: 0
    .symbol:         _ZL26flash_attn_combine_resultsILi96EEvPKfPK15HIP_vector_typeIfLj2EEPfi.kd
    .uniform_work_group_size: 1
    .uses_dynamic_stack: false
    .vgpr_count:     51
    .vgpr_spill_count: 0
    .wavefront_size: 64
  - .agpr_count:     0
    .args:
      - .address_space:  global
        .offset:         0
        .size:           8
        .value_kind:     global_buffer
      - .address_space:  global
        .offset:         8
        .size:           8
        .value_kind:     global_buffer
      - .address_space:  global
        .offset:         16
        .size:           8
        .value_kind:     global_buffer
      - .address_space:  global
        .offset:         24
        .size:           8
        .value_kind:     global_buffer
      - .address_space:  global
        .offset:         32
        .size:           8
        .value_kind:     global_buffer
      - .address_space:  global
        .offset:         40
        .size:           8
        .value_kind:     global_buffer
      - .address_space:  global
        .offset:         48
        .size:           8
        .value_kind:     global_buffer
      - .address_space:  global
        .offset:         56
        .size:           8
        .value_kind:     global_buffer
      - .offset:         64
        .size:           4
        .value_kind:     by_value
      - .offset:         68
        .size:           4
        .value_kind:     by_value
      - .offset:         72
        .size:           4
        .value_kind:     by_value
      - .offset:         76
        .size:           4
        .value_kind:     by_value
      - .offset:         80
        .size:           4
        .value_kind:     by_value
      - .offset:         84
        .size:           4
        .value_kind:     by_value
      - .offset:         88
        .size:           4
        .value_kind:     by_value
      - .offset:         92
        .size:           12
        .value_kind:     by_value
      - .offset:         104
        .size:           4
        .value_kind:     by_value
      - .offset:         108
        .size:           4
        .value_kind:     by_value
      - .offset:         112
        .size:           4
        .value_kind:     by_value
      - .offset:         116
        .size:           4
        .value_kind:     by_value
      - .offset:         120
        .size:           4
        .value_kind:     by_value
      - .offset:         124
        .size:           4
        .value_kind:     by_value
      - .offset:         128
        .size:           4
        .value_kind:     by_value
      - .offset:         132
        .size:           4
        .value_kind:     by_value
      - .offset:         136
        .size:           4
        .value_kind:     by_value
      - .offset:         140
        .size:           4
        .value_kind:     by_value
      - .offset:         144
        .size:           4
        .value_kind:     by_value
      - .offset:         152
        .size:           8
        .value_kind:     by_value
      - .offset:         160
        .size:           4
        .value_kind:     by_value
      - .offset:         164
        .size:           4
        .value_kind:     by_value
      - .offset:         168
        .size:           8
        .value_kind:     by_value
      - .offset:         176
        .size:           4
        .value_kind:     by_value
      - .offset:         180
        .size:           4
        .value_kind:     by_value
      - .offset:         184
        .size:           4
        .value_kind:     by_value
      - .offset:         188
        .size:           4
        .value_kind:     by_value
      - .offset:         192
        .size:           4
        .value_kind:     by_value
      - .offset:         200
        .size:           8
        .value_kind:     by_value
      - .offset:         208
        .size:           4
        .value_kind:     hidden_block_count_x
      - .offset:         212
        .size:           4
        .value_kind:     hidden_block_count_y
      - .offset:         216
        .size:           4
        .value_kind:     hidden_block_count_z
      - .offset:         220
        .size:           2
        .value_kind:     hidden_group_size_x
      - .offset:         222
        .size:           2
        .value_kind:     hidden_group_size_y
      - .offset:         224
        .size:           2
        .value_kind:     hidden_group_size_z
      - .offset:         226
        .size:           2
        .value_kind:     hidden_remainder_x
      - .offset:         228
        .size:           2
        .value_kind:     hidden_remainder_y
      - .offset:         230
        .size:           2
        .value_kind:     hidden_remainder_z
      - .offset:         248
        .size:           8
        .value_kind:     hidden_global_offset_x
      - .offset:         256
        .size:           8
        .value_kind:     hidden_global_offset_y
      - .offset:         264
        .size:           8
        .value_kind:     hidden_global_offset_z
      - .offset:         272
        .size:           2
        .value_kind:     hidden_grid_dims
      - .offset:         328
        .size:           4
        .value_kind:     hidden_dynamic_lds_size
    .group_segment_fixed_size: 0
    .kernarg_segment_align: 8
    .kernarg_segment_size: 464
    .language:       OpenCL C
    .language_version:
      - 2
      - 0
    .max_flat_workgroup_size: 256
    .name:           _ZL18flash_attn_ext_f16ILi112ELi112ELi32ELi1ELb0ELb0EEvPKcS1_S1_S1_S1_PKiPfP15HIP_vector_typeIfLj2EEffffjfiS5_IjLj3EEiiiiiiiiiiiliiliiiiil
    .private_segment_fixed_size: 80
    .sgpr_count:     106
    .sgpr_spill_count: 77
    .symbol:         _ZL18flash_attn_ext_f16ILi112ELi112ELi32ELi1ELb0ELb0EEvPKcS1_S1_S1_S1_PKiPfP15HIP_vector_typeIfLj2EEffffjfiS5_IjLj3EEiiiiiiiiiiiliiliiiiil.kd
    .uniform_work_group_size: 1
    .uses_dynamic_stack: false
    .vgpr_count:     256
    .vgpr_spill_count: 12
    .wavefront_size: 64
  - .agpr_count:     0
    .args:
      - .address_space:  global
        .offset:         0
        .size:           8
        .value_kind:     global_buffer
      - .address_space:  global
        .offset:         8
        .size:           8
        .value_kind:     global_buffer
      - .address_space:  global
        .offset:         16
        .size:           8
        .value_kind:     global_buffer
      - .address_space:  global
        .offset:         24
        .size:           8
        .value_kind:     global_buffer
      - .address_space:  global
        .offset:         32
        .size:           8
        .value_kind:     global_buffer
      - .address_space:  global
        .offset:         40
        .size:           8
        .value_kind:     global_buffer
      - .address_space:  global
        .offset:         48
        .size:           8
        .value_kind:     global_buffer
      - .address_space:  global
        .offset:         56
        .size:           8
        .value_kind:     global_buffer
      - .offset:         64
        .size:           4
        .value_kind:     by_value
      - .offset:         68
        .size:           4
        .value_kind:     by_value
      - .offset:         72
        .size:           4
        .value_kind:     by_value
      - .offset:         76
        .size:           4
        .value_kind:     by_value
      - .offset:         80
        .size:           4
        .value_kind:     by_value
      - .offset:         84
        .size:           4
        .value_kind:     by_value
      - .offset:         88
        .size:           4
        .value_kind:     by_value
      - .offset:         92
        .size:           12
        .value_kind:     by_value
      - .offset:         104
        .size:           4
        .value_kind:     by_value
      - .offset:         108
        .size:           4
        .value_kind:     by_value
      - .offset:         112
        .size:           4
        .value_kind:     by_value
      - .offset:         116
        .size:           4
        .value_kind:     by_value
      - .offset:         120
        .size:           4
        .value_kind:     by_value
      - .offset:         124
        .size:           4
        .value_kind:     by_value
      - .offset:         128
        .size:           4
        .value_kind:     by_value
      - .offset:         132
        .size:           4
        .value_kind:     by_value
      - .offset:         136
        .size:           4
        .value_kind:     by_value
      - .offset:         140
        .size:           4
        .value_kind:     by_value
      - .offset:         144
        .size:           4
        .value_kind:     by_value
      - .offset:         152
        .size:           8
        .value_kind:     by_value
      - .offset:         160
        .size:           4
        .value_kind:     by_value
      - .offset:         164
        .size:           4
        .value_kind:     by_value
      - .offset:         168
        .size:           8
        .value_kind:     by_value
      - .offset:         176
        .size:           4
        .value_kind:     by_value
      - .offset:         180
        .size:           4
        .value_kind:     by_value
      - .offset:         184
        .size:           4
        .value_kind:     by_value
      - .offset:         188
        .size:           4
        .value_kind:     by_value
      - .offset:         192
        .size:           4
        .value_kind:     by_value
      - .offset:         200
        .size:           8
        .value_kind:     by_value
      - .offset:         208
        .size:           4
        .value_kind:     hidden_block_count_x
      - .offset:         212
        .size:           4
        .value_kind:     hidden_block_count_y
      - .offset:         216
        .size:           4
        .value_kind:     hidden_block_count_z
      - .offset:         220
        .size:           2
        .value_kind:     hidden_group_size_x
      - .offset:         222
        .size:           2
        .value_kind:     hidden_group_size_y
      - .offset:         224
        .size:           2
        .value_kind:     hidden_group_size_z
      - .offset:         226
        .size:           2
        .value_kind:     hidden_remainder_x
      - .offset:         228
        .size:           2
        .value_kind:     hidden_remainder_y
      - .offset:         230
        .size:           2
        .value_kind:     hidden_remainder_z
      - .offset:         248
        .size:           8
        .value_kind:     hidden_global_offset_x
      - .offset:         256
        .size:           8
        .value_kind:     hidden_global_offset_y
      - .offset:         264
        .size:           8
        .value_kind:     hidden_global_offset_z
      - .offset:         272
        .size:           2
        .value_kind:     hidden_grid_dims
      - .offset:         288
        .size:           8
        .value_kind:     hidden_hostcall_buffer
    .group_segment_fixed_size: 0
    .kernarg_segment_align: 8
    .kernarg_segment_size: 464
    .language:       OpenCL C
    .language_version:
      - 2
      - 0
    .max_flat_workgroup_size: 256
    .name:           _ZL18flash_attn_ext_f16ILi112ELi112ELi32ELi1ELb1ELb0EEvPKcS1_S1_S1_S1_PKiPfP15HIP_vector_typeIfLj2EEffffjfiS5_IjLj3EEiiiiiiiiiiiliiliiiiil
    .private_segment_fixed_size: 16
    .sgpr_count:     40
    .sgpr_spill_count: 0
    .symbol:         _ZL18flash_attn_ext_f16ILi112ELi112ELi32ELi1ELb1ELb0EEvPKcS1_S1_S1_S1_PKiPfP15HIP_vector_typeIfLj2EEffffjfiS5_IjLj3EEiiiiiiiiiiiliiliiiiil.kd
    .uniform_work_group_size: 1
    .uses_dynamic_stack: false
    .vgpr_count:     39
    .vgpr_spill_count: 0
    .wavefront_size: 64
  - .agpr_count:     0
    .args:
      - .address_space:  global
        .offset:         0
        .size:           8
        .value_kind:     global_buffer
      - .address_space:  global
        .offset:         8
        .size:           8
        .value_kind:     global_buffer
      - .offset:         16
        .size:           4
        .value_kind:     by_value
      - .offset:         20
        .size:           4
        .value_kind:     by_value
      - .offset:         24
        .size:           4
        .value_kind:     by_value
      - .offset:         28
        .size:           4
        .value_kind:     by_value
      - .offset:         32
        .size:           4
        .value_kind:     by_value
      - .offset:         36
        .size:           4
        .value_kind:     by_value
      - .offset:         40
        .size:           12
        .value_kind:     by_value
      - .offset:         52
        .size:           12
        .value_kind:     by_value
      - .offset:         64
        .size:           12
        .value_kind:     by_value
    .group_segment_fixed_size: 0
    .kernarg_segment_align: 8
    .kernarg_segment_size: 76
    .language:       OpenCL C
    .language_version:
      - 2
      - 0
    .max_flat_workgroup_size: 112
    .name:           _ZL33flash_attn_stream_k_fixup_uniformILi112ELi32ELi1EEvPfPK15HIP_vector_typeIfLj2EEiiiiiiS1_IjLj3EES5_S5_
    .private_segment_fixed_size: 0
    .sgpr_count:     26
    .sgpr_spill_count: 0
    .symbol:         _ZL33flash_attn_stream_k_fixup_uniformILi112ELi32ELi1EEvPfPK15HIP_vector_typeIfLj2EEiiiiiiS1_IjLj3EES5_S5_.kd
    .uniform_work_group_size: 1
    .uses_dynamic_stack: false
    .vgpr_count:     16
    .vgpr_spill_count: 0
    .wavefront_size: 64
  - .agpr_count:     0
    .args:
      - .address_space:  global
        .offset:         0
        .size:           8
        .value_kind:     global_buffer
      - .address_space:  global
        .offset:         8
        .size:           8
        .value_kind:     global_buffer
      - .offset:         16
        .size:           4
        .value_kind:     by_value
      - .offset:         20
        .size:           4
        .value_kind:     by_value
      - .offset:         24
        .size:           4
        .value_kind:     by_value
      - .offset:         28
        .size:           4
        .value_kind:     by_value
      - .offset:         32
        .size:           12
        .value_kind:     by_value
      - .offset:         44
        .size:           12
        .value_kind:     by_value
      - .offset:         56
        .size:           12
        .value_kind:     by_value
      - .offset:         68
        .size:           12
        .value_kind:     by_value
      - .offset:         80
        .size:           4
        .value_kind:     hidden_block_count_x
      - .offset:         84
        .size:           4
        .value_kind:     hidden_block_count_y
      - .offset:         88
        .size:           4
        .value_kind:     hidden_block_count_z
      - .offset:         92
        .size:           2
        .value_kind:     hidden_group_size_x
      - .offset:         94
        .size:           2
        .value_kind:     hidden_group_size_y
      - .offset:         96
        .size:           2
        .value_kind:     hidden_group_size_z
      - .offset:         98
        .size:           2
        .value_kind:     hidden_remainder_x
      - .offset:         100
        .size:           2
        .value_kind:     hidden_remainder_y
      - .offset:         102
        .size:           2
        .value_kind:     hidden_remainder_z
      - .offset:         120
        .size:           8
        .value_kind:     hidden_global_offset_x
      - .offset:         128
        .size:           8
        .value_kind:     hidden_global_offset_y
      - .offset:         136
        .size:           8
        .value_kind:     hidden_global_offset_z
      - .offset:         144
        .size:           2
        .value_kind:     hidden_grid_dims
    .group_segment_fixed_size: 0
    .kernarg_segment_align: 8
    .kernarg_segment_size: 336
    .language:       OpenCL C
    .language_version:
      - 2
      - 0
    .max_flat_workgroup_size: 112
    .name:           _ZL33flash_attn_stream_k_fixup_generalILi112ELi32ELi1EEvPfPK15HIP_vector_typeIfLj2EEiiiiS1_IjLj3EES5_S5_S5_
    .private_segment_fixed_size: 0
    .sgpr_count:     38
    .sgpr_spill_count: 0
    .symbol:         _ZL33flash_attn_stream_k_fixup_generalILi112ELi32ELi1EEvPfPK15HIP_vector_typeIfLj2EEiiiiS1_IjLj3EES5_S5_S5_.kd
    .uniform_work_group_size: 1
    .uses_dynamic_stack: false
    .vgpr_count:     22
    .vgpr_spill_count: 0
    .wavefront_size: 64
  - .agpr_count:     0
    .args:
      - .address_space:  global
        .offset:         0
        .size:           8
        .value_kind:     global_buffer
      - .address_space:  global
        .offset:         8
        .size:           8
        .value_kind:     global_buffer
      - .address_space:  global
        .offset:         16
        .size:           8
        .value_kind:     global_buffer
      - .offset:         24
        .size:           4
        .value_kind:     by_value
      - .offset:         32
        .size:           4
        .value_kind:     hidden_block_count_x
      - .offset:         36
        .size:           4
        .value_kind:     hidden_block_count_y
      - .offset:         40
        .size:           4
        .value_kind:     hidden_block_count_z
      - .offset:         44
        .size:           2
        .value_kind:     hidden_group_size_x
      - .offset:         46
        .size:           2
        .value_kind:     hidden_group_size_y
      - .offset:         48
        .size:           2
        .value_kind:     hidden_group_size_z
      - .offset:         50
        .size:           2
        .value_kind:     hidden_remainder_x
      - .offset:         52
        .size:           2
        .value_kind:     hidden_remainder_y
      - .offset:         54
        .size:           2
        .value_kind:     hidden_remainder_z
      - .offset:         72
        .size:           8
        .value_kind:     hidden_global_offset_x
      - .offset:         80
        .size:           8
        .value_kind:     hidden_global_offset_y
      - .offset:         88
        .size:           8
        .value_kind:     hidden_global_offset_z
      - .offset:         96
        .size:           2
        .value_kind:     hidden_grid_dims
      - .offset:         152
        .size:           4
        .value_kind:     hidden_dynamic_lds_size
    .group_segment_fixed_size: 0
    .kernarg_segment_align: 8
    .kernarg_segment_size: 288
    .language:       OpenCL C
    .language_version:
      - 2
      - 0
    .max_flat_workgroup_size: 112
    .name:           _ZL26flash_attn_combine_resultsILi112EEvPKfPK15HIP_vector_typeIfLj2EEPfi
    .private_segment_fixed_size: 0
    .sgpr_count:     38
    .sgpr_spill_count: 0
    .symbol:         _ZL26flash_attn_combine_resultsILi112EEvPKfPK15HIP_vector_typeIfLj2EEPfi.kd
    .uniform_work_group_size: 1
    .uses_dynamic_stack: false
    .vgpr_count:     51
    .vgpr_spill_count: 0
    .wavefront_size: 64
  - .agpr_count:     0
    .args:
      - .address_space:  global
        .offset:         0
        .size:           8
        .value_kind:     global_buffer
      - .address_space:  global
        .offset:         8
        .size:           8
        .value_kind:     global_buffer
      - .address_space:  global
        .offset:         16
        .size:           8
        .value_kind:     global_buffer
      - .address_space:  global
        .offset:         24
        .size:           8
        .value_kind:     global_buffer
      - .address_space:  global
        .offset:         32
        .size:           8
        .value_kind:     global_buffer
      - .address_space:  global
        .offset:         40
        .size:           8
        .value_kind:     global_buffer
      - .address_space:  global
        .offset:         48
        .size:           8
        .value_kind:     global_buffer
      - .address_space:  global
        .offset:         56
        .size:           8
        .value_kind:     global_buffer
      - .offset:         64
        .size:           4
        .value_kind:     by_value
      - .offset:         68
        .size:           4
        .value_kind:     by_value
      - .offset:         72
        .size:           4
        .value_kind:     by_value
      - .offset:         76
        .size:           4
        .value_kind:     by_value
      - .offset:         80
        .size:           4
        .value_kind:     by_value
      - .offset:         84
        .size:           4
        .value_kind:     by_value
      - .offset:         88
        .size:           4
        .value_kind:     by_value
      - .offset:         92
        .size:           12
        .value_kind:     by_value
      - .offset:         104
        .size:           4
        .value_kind:     by_value
      - .offset:         108
        .size:           4
        .value_kind:     by_value
      - .offset:         112
        .size:           4
        .value_kind:     by_value
      - .offset:         116
        .size:           4
        .value_kind:     by_value
      - .offset:         120
        .size:           4
        .value_kind:     by_value
      - .offset:         124
        .size:           4
        .value_kind:     by_value
      - .offset:         128
        .size:           4
        .value_kind:     by_value
      - .offset:         132
        .size:           4
        .value_kind:     by_value
      - .offset:         136
        .size:           4
        .value_kind:     by_value
      - .offset:         140
        .size:           4
        .value_kind:     by_value
      - .offset:         144
        .size:           4
        .value_kind:     by_value
      - .offset:         152
        .size:           8
        .value_kind:     by_value
      - .offset:         160
        .size:           4
        .value_kind:     by_value
      - .offset:         164
        .size:           4
        .value_kind:     by_value
      - .offset:         168
        .size:           8
        .value_kind:     by_value
      - .offset:         176
        .size:           4
        .value_kind:     by_value
      - .offset:         180
        .size:           4
        .value_kind:     by_value
      - .offset:         184
        .size:           4
        .value_kind:     by_value
      - .offset:         188
        .size:           4
        .value_kind:     by_value
      - .offset:         192
        .size:           4
        .value_kind:     by_value
      - .offset:         200
        .size:           8
        .value_kind:     by_value
      - .offset:         208
        .size:           4
        .value_kind:     hidden_block_count_x
      - .offset:         212
        .size:           4
        .value_kind:     hidden_block_count_y
      - .offset:         216
        .size:           4
        .value_kind:     hidden_block_count_z
      - .offset:         220
        .size:           2
        .value_kind:     hidden_group_size_x
      - .offset:         222
        .size:           2
        .value_kind:     hidden_group_size_y
      - .offset:         224
        .size:           2
        .value_kind:     hidden_group_size_z
      - .offset:         226
        .size:           2
        .value_kind:     hidden_remainder_x
      - .offset:         228
        .size:           2
        .value_kind:     hidden_remainder_y
      - .offset:         230
        .size:           2
        .value_kind:     hidden_remainder_z
      - .offset:         248
        .size:           8
        .value_kind:     hidden_global_offset_x
      - .offset:         256
        .size:           8
        .value_kind:     hidden_global_offset_y
      - .offset:         264
        .size:           8
        .value_kind:     hidden_global_offset_z
      - .offset:         272
        .size:           2
        .value_kind:     hidden_grid_dims
      - .offset:         328
        .size:           4
        .value_kind:     hidden_dynamic_lds_size
    .group_segment_fixed_size: 0
    .kernarg_segment_align: 8
    .kernarg_segment_size: 464
    .language:       OpenCL C
    .language_version:
      - 2
      - 0
    .max_flat_workgroup_size: 256
    .name:           _ZL18flash_attn_ext_f16ILi128ELi128ELi32ELi1ELb0ELb0EEvPKcS1_S1_S1_S1_PKiPfP15HIP_vector_typeIfLj2EEffffjfiS5_IjLj3EEiiiiiiiiiiiliiliiiiil
    .private_segment_fixed_size: 128
    .sgpr_count:     106
    .sgpr_spill_count: 75
    .symbol:         _ZL18flash_attn_ext_f16ILi128ELi128ELi32ELi1ELb0ELb0EEvPKcS1_S1_S1_S1_PKiPfP15HIP_vector_typeIfLj2EEffffjfiS5_IjLj3EEiiiiiiiiiiiliiliiiiil.kd
    .uniform_work_group_size: 1
    .uses_dynamic_stack: false
    .vgpr_count:     256
    .vgpr_spill_count: 26
    .wavefront_size: 64
  - .agpr_count:     0
    .args:
      - .address_space:  global
        .offset:         0
        .size:           8
        .value_kind:     global_buffer
      - .address_space:  global
        .offset:         8
        .size:           8
        .value_kind:     global_buffer
      - .address_space:  global
        .offset:         16
        .size:           8
        .value_kind:     global_buffer
      - .address_space:  global
        .offset:         24
        .size:           8
        .value_kind:     global_buffer
      - .address_space:  global
        .offset:         32
        .size:           8
        .value_kind:     global_buffer
      - .address_space:  global
        .offset:         40
        .size:           8
        .value_kind:     global_buffer
      - .address_space:  global
        .offset:         48
        .size:           8
        .value_kind:     global_buffer
      - .address_space:  global
        .offset:         56
        .size:           8
        .value_kind:     global_buffer
      - .offset:         64
        .size:           4
        .value_kind:     by_value
      - .offset:         68
        .size:           4
        .value_kind:     by_value
      - .offset:         72
        .size:           4
        .value_kind:     by_value
      - .offset:         76
        .size:           4
        .value_kind:     by_value
      - .offset:         80
        .size:           4
        .value_kind:     by_value
      - .offset:         84
        .size:           4
        .value_kind:     by_value
      - .offset:         88
        .size:           4
        .value_kind:     by_value
      - .offset:         92
        .size:           12
        .value_kind:     by_value
      - .offset:         104
        .size:           4
        .value_kind:     by_value
      - .offset:         108
        .size:           4
        .value_kind:     by_value
      - .offset:         112
        .size:           4
        .value_kind:     by_value
      - .offset:         116
        .size:           4
        .value_kind:     by_value
      - .offset:         120
        .size:           4
        .value_kind:     by_value
      - .offset:         124
        .size:           4
        .value_kind:     by_value
      - .offset:         128
        .size:           4
        .value_kind:     by_value
      - .offset:         132
        .size:           4
        .value_kind:     by_value
      - .offset:         136
        .size:           4
        .value_kind:     by_value
      - .offset:         140
        .size:           4
        .value_kind:     by_value
      - .offset:         144
        .size:           4
        .value_kind:     by_value
      - .offset:         152
        .size:           8
        .value_kind:     by_value
      - .offset:         160
        .size:           4
        .value_kind:     by_value
      - .offset:         164
        .size:           4
        .value_kind:     by_value
      - .offset:         168
        .size:           8
        .value_kind:     by_value
      - .offset:         176
        .size:           4
        .value_kind:     by_value
      - .offset:         180
        .size:           4
        .value_kind:     by_value
      - .offset:         184
        .size:           4
        .value_kind:     by_value
      - .offset:         188
        .size:           4
        .value_kind:     by_value
      - .offset:         192
        .size:           4
        .value_kind:     by_value
      - .offset:         200
        .size:           8
        .value_kind:     by_value
      - .offset:         208
        .size:           4
        .value_kind:     hidden_block_count_x
      - .offset:         212
        .size:           4
        .value_kind:     hidden_block_count_y
      - .offset:         216
        .size:           4
        .value_kind:     hidden_block_count_z
      - .offset:         220
        .size:           2
        .value_kind:     hidden_group_size_x
      - .offset:         222
        .size:           2
        .value_kind:     hidden_group_size_y
      - .offset:         224
        .size:           2
        .value_kind:     hidden_group_size_z
      - .offset:         226
        .size:           2
        .value_kind:     hidden_remainder_x
      - .offset:         228
        .size:           2
        .value_kind:     hidden_remainder_y
      - .offset:         230
        .size:           2
        .value_kind:     hidden_remainder_z
      - .offset:         248
        .size:           8
        .value_kind:     hidden_global_offset_x
      - .offset:         256
        .size:           8
        .value_kind:     hidden_global_offset_y
      - .offset:         264
        .size:           8
        .value_kind:     hidden_global_offset_z
      - .offset:         272
        .size:           2
        .value_kind:     hidden_grid_dims
      - .offset:         328
        .size:           4
        .value_kind:     hidden_dynamic_lds_size
    .group_segment_fixed_size: 0
    .kernarg_segment_align: 8
    .kernarg_segment_size: 464
    .language:       OpenCL C
    .language_version:
      - 2
      - 0
    .max_flat_workgroup_size: 256
    .name:           _ZL18flash_attn_ext_f16ILi128ELi128ELi32ELi1ELb1ELb0EEvPKcS1_S1_S1_S1_PKiPfP15HIP_vector_typeIfLj2EEffffjfiS5_IjLj3EEiiiiiiiiiiiliiliiiiil
    .private_segment_fixed_size: 128
    .sgpr_count:     106
    .sgpr_spill_count: 90
    .symbol:         _ZL18flash_attn_ext_f16ILi128ELi128ELi32ELi1ELb1ELb0EEvPKcS1_S1_S1_S1_PKiPfP15HIP_vector_typeIfLj2EEffffjfiS5_IjLj3EEiiiiiiiiiiiliiliiiiil.kd
    .uniform_work_group_size: 1
    .uses_dynamic_stack: false
    .vgpr_count:     256
    .vgpr_spill_count: 26
    .wavefront_size: 64
  - .agpr_count:     0
    .args:
      - .address_space:  global
        .offset:         0
        .size:           8
        .value_kind:     global_buffer
      - .address_space:  global
        .offset:         8
        .size:           8
        .value_kind:     global_buffer
      - .offset:         16
        .size:           4
        .value_kind:     by_value
      - .offset:         20
        .size:           4
        .value_kind:     by_value
      - .offset:         24
        .size:           4
        .value_kind:     by_value
      - .offset:         28
        .size:           4
        .value_kind:     by_value
      - .offset:         32
        .size:           4
        .value_kind:     by_value
      - .offset:         36
        .size:           4
        .value_kind:     by_value
      - .offset:         40
        .size:           12
        .value_kind:     by_value
      - .offset:         52
        .size:           12
        .value_kind:     by_value
      - .offset:         64
        .size:           12
        .value_kind:     by_value
    .group_segment_fixed_size: 0
    .kernarg_segment_align: 8
    .kernarg_segment_size: 76
    .language:       OpenCL C
    .language_version:
      - 2
      - 0
    .max_flat_workgroup_size: 128
    .name:           _ZL33flash_attn_stream_k_fixup_uniformILi128ELi32ELi1EEvPfPK15HIP_vector_typeIfLj2EEiiiiiiS1_IjLj3EES5_S5_
    .private_segment_fixed_size: 0
    .sgpr_count:     30
    .sgpr_spill_count: 0
    .symbol:         _ZL33flash_attn_stream_k_fixup_uniformILi128ELi32ELi1EEvPfPK15HIP_vector_typeIfLj2EEiiiiiiS1_IjLj3EES5_S5_.kd
    .uniform_work_group_size: 1
    .uses_dynamic_stack: false
    .vgpr_count:     16
    .vgpr_spill_count: 0
    .wavefront_size: 64
  - .agpr_count:     0
    .args:
      - .address_space:  global
        .offset:         0
        .size:           8
        .value_kind:     global_buffer
      - .address_space:  global
        .offset:         8
        .size:           8
        .value_kind:     global_buffer
      - .offset:         16
        .size:           4
        .value_kind:     by_value
      - .offset:         20
        .size:           4
        .value_kind:     by_value
      - .offset:         24
        .size:           4
        .value_kind:     by_value
      - .offset:         28
        .size:           4
        .value_kind:     by_value
      - .offset:         32
        .size:           12
        .value_kind:     by_value
      - .offset:         44
        .size:           12
        .value_kind:     by_value
      - .offset:         56
        .size:           12
        .value_kind:     by_value
      - .offset:         68
        .size:           12
        .value_kind:     by_value
      - .offset:         80
        .size:           4
        .value_kind:     hidden_block_count_x
      - .offset:         84
        .size:           4
        .value_kind:     hidden_block_count_y
      - .offset:         88
        .size:           4
        .value_kind:     hidden_block_count_z
      - .offset:         92
        .size:           2
        .value_kind:     hidden_group_size_x
      - .offset:         94
        .size:           2
        .value_kind:     hidden_group_size_y
      - .offset:         96
        .size:           2
        .value_kind:     hidden_group_size_z
      - .offset:         98
        .size:           2
        .value_kind:     hidden_remainder_x
      - .offset:         100
        .size:           2
        .value_kind:     hidden_remainder_y
      - .offset:         102
        .size:           2
        .value_kind:     hidden_remainder_z
      - .offset:         120
        .size:           8
        .value_kind:     hidden_global_offset_x
      - .offset:         128
        .size:           8
        .value_kind:     hidden_global_offset_y
      - .offset:         136
        .size:           8
        .value_kind:     hidden_global_offset_z
      - .offset:         144
        .size:           2
        .value_kind:     hidden_grid_dims
    .group_segment_fixed_size: 0
    .kernarg_segment_align: 8
    .kernarg_segment_size: 336
    .language:       OpenCL C
    .language_version:
      - 2
      - 0
    .max_flat_workgroup_size: 128
    .name:           _ZL33flash_attn_stream_k_fixup_generalILi128ELi32ELi1EEvPfPK15HIP_vector_typeIfLj2EEiiiiS1_IjLj3EES5_S5_S5_
    .private_segment_fixed_size: 0
    .sgpr_count:     38
    .sgpr_spill_count: 0
    .symbol:         _ZL33flash_attn_stream_k_fixup_generalILi128ELi32ELi1EEvPfPK15HIP_vector_typeIfLj2EEiiiiS1_IjLj3EES5_S5_S5_.kd
    .uniform_work_group_size: 1
    .uses_dynamic_stack: false
    .vgpr_count:     22
    .vgpr_spill_count: 0
    .wavefront_size: 64
  - .agpr_count:     0
    .args:
      - .address_space:  global
        .offset:         0
        .size:           8
        .value_kind:     global_buffer
      - .address_space:  global
        .offset:         8
        .size:           8
        .value_kind:     global_buffer
      - .address_space:  global
        .offset:         16
        .size:           8
        .value_kind:     global_buffer
      - .offset:         24
        .size:           4
        .value_kind:     by_value
      - .offset:         32
        .size:           4
        .value_kind:     hidden_block_count_x
      - .offset:         36
        .size:           4
        .value_kind:     hidden_block_count_y
      - .offset:         40
        .size:           4
        .value_kind:     hidden_block_count_z
      - .offset:         44
        .size:           2
        .value_kind:     hidden_group_size_x
      - .offset:         46
        .size:           2
        .value_kind:     hidden_group_size_y
      - .offset:         48
        .size:           2
        .value_kind:     hidden_group_size_z
      - .offset:         50
        .size:           2
        .value_kind:     hidden_remainder_x
      - .offset:         52
        .size:           2
        .value_kind:     hidden_remainder_y
      - .offset:         54
        .size:           2
        .value_kind:     hidden_remainder_z
      - .offset:         72
        .size:           8
        .value_kind:     hidden_global_offset_x
      - .offset:         80
        .size:           8
        .value_kind:     hidden_global_offset_y
      - .offset:         88
        .size:           8
        .value_kind:     hidden_global_offset_z
      - .offset:         96
        .size:           2
        .value_kind:     hidden_grid_dims
      - .offset:         152
        .size:           4
        .value_kind:     hidden_dynamic_lds_size
    .group_segment_fixed_size: 0
    .kernarg_segment_align: 8
    .kernarg_segment_size: 288
    .language:       OpenCL C
    .language_version:
      - 2
      - 0
    .max_flat_workgroup_size: 128
    .name:           _ZL26flash_attn_combine_resultsILi128EEvPKfPK15HIP_vector_typeIfLj2EEPfi
    .private_segment_fixed_size: 0
    .sgpr_count:     32
    .sgpr_spill_count: 0
    .symbol:         _ZL26flash_attn_combine_resultsILi128EEvPKfPK15HIP_vector_typeIfLj2EEPfi.kd
    .uniform_work_group_size: 1
    .uses_dynamic_stack: false
    .vgpr_count:     51
    .vgpr_spill_count: 0
    .wavefront_size: 64
  - .agpr_count:     198
    .args:
      - .address_space:  global
        .offset:         0
        .size:           8
        .value_kind:     global_buffer
      - .address_space:  global
        .offset:         8
        .size:           8
        .value_kind:     global_buffer
      - .address_space:  global
        .offset:         16
        .size:           8
        .value_kind:     global_buffer
      - .address_space:  global
        .offset:         24
        .size:           8
        .value_kind:     global_buffer
      - .address_space:  global
        .offset:         32
        .size:           8
        .value_kind:     global_buffer
      - .address_space:  global
        .offset:         40
        .size:           8
        .value_kind:     global_buffer
      - .address_space:  global
        .offset:         48
        .size:           8
        .value_kind:     global_buffer
      - .address_space:  global
        .offset:         56
        .size:           8
        .value_kind:     global_buffer
      - .offset:         64
        .size:           4
        .value_kind:     by_value
      - .offset:         68
        .size:           4
        .value_kind:     by_value
      - .offset:         72
        .size:           4
        .value_kind:     by_value
      - .offset:         76
        .size:           4
        .value_kind:     by_value
      - .offset:         80
        .size:           4
        .value_kind:     by_value
      - .offset:         84
        .size:           4
        .value_kind:     by_value
      - .offset:         88
        .size:           4
        .value_kind:     by_value
      - .offset:         92
        .size:           12
        .value_kind:     by_value
      - .offset:         104
        .size:           4
        .value_kind:     by_value
      - .offset:         108
        .size:           4
        .value_kind:     by_value
      - .offset:         112
        .size:           4
        .value_kind:     by_value
      - .offset:         116
        .size:           4
        .value_kind:     by_value
      - .offset:         120
        .size:           4
        .value_kind:     by_value
      - .offset:         124
        .size:           4
        .value_kind:     by_value
      - .offset:         128
        .size:           4
        .value_kind:     by_value
      - .offset:         132
        .size:           4
        .value_kind:     by_value
      - .offset:         136
        .size:           4
        .value_kind:     by_value
      - .offset:         140
        .size:           4
        .value_kind:     by_value
      - .offset:         144
        .size:           4
        .value_kind:     by_value
      - .offset:         152
        .size:           8
        .value_kind:     by_value
      - .offset:         160
        .size:           4
        .value_kind:     by_value
      - .offset:         164
        .size:           4
        .value_kind:     by_value
      - .offset:         168
        .size:           8
        .value_kind:     by_value
      - .offset:         176
        .size:           4
        .value_kind:     by_value
      - .offset:         180
        .size:           4
        .value_kind:     by_value
      - .offset:         184
        .size:           4
        .value_kind:     by_value
      - .offset:         188
        .size:           4
        .value_kind:     by_value
      - .offset:         192
        .size:           4
        .value_kind:     by_value
      - .offset:         200
        .size:           8
        .value_kind:     by_value
      - .offset:         208
        .size:           4
        .value_kind:     hidden_block_count_x
      - .offset:         212
        .size:           4
        .value_kind:     hidden_block_count_y
      - .offset:         216
        .size:           4
        .value_kind:     hidden_block_count_z
      - .offset:         220
        .size:           2
        .value_kind:     hidden_group_size_x
      - .offset:         222
        .size:           2
        .value_kind:     hidden_group_size_y
      - .offset:         224
        .size:           2
        .value_kind:     hidden_group_size_z
      - .offset:         226
        .size:           2
        .value_kind:     hidden_remainder_x
      - .offset:         228
        .size:           2
        .value_kind:     hidden_remainder_y
      - .offset:         230
        .size:           2
        .value_kind:     hidden_remainder_z
      - .offset:         248
        .size:           8
        .value_kind:     hidden_global_offset_x
      - .offset:         256
        .size:           8
        .value_kind:     hidden_global_offset_y
      - .offset:         264
        .size:           8
        .value_kind:     hidden_global_offset_z
      - .offset:         272
        .size:           2
        .value_kind:     hidden_grid_dims
      - .offset:         328
        .size:           4
        .value_kind:     hidden_dynamic_lds_size
    .group_segment_fixed_size: 0
    .kernarg_segment_align: 8
    .kernarg_segment_size: 464
    .language:       OpenCL C
    .language_version:
      - 2
      - 0
    .max_flat_workgroup_size: 256
    .name:           _ZL18flash_attn_ext_f16ILi256ELi256ELi32ELi1ELb0ELb0EEvPKcS1_S1_S1_S1_PKiPfP15HIP_vector_typeIfLj2EEffffjfiS5_IjLj3EEiiiiiiiiiiiliiliiiiil
    .private_segment_fixed_size: 32
    .sgpr_count:     106
    .sgpr_spill_count: 71
    .symbol:         _ZL18flash_attn_ext_f16ILi256ELi256ELi32ELi1ELb0ELb0EEvPKcS1_S1_S1_S1_PKiPfP15HIP_vector_typeIfLj2EEffffjfiS5_IjLj3EEiiiiiiiiiiiliiliiiiil.kd
    .uniform_work_group_size: 1
    .uses_dynamic_stack: false
    .vgpr_count:     454
    .vgpr_spill_count: 0
    .wavefront_size: 64
  - .agpr_count:     205
    .args:
      - .address_space:  global
        .offset:         0
        .size:           8
        .value_kind:     global_buffer
      - .address_space:  global
        .offset:         8
        .size:           8
        .value_kind:     global_buffer
      - .address_space:  global
        .offset:         16
        .size:           8
        .value_kind:     global_buffer
      - .address_space:  global
        .offset:         24
        .size:           8
        .value_kind:     global_buffer
      - .address_space:  global
        .offset:         32
        .size:           8
        .value_kind:     global_buffer
      - .address_space:  global
        .offset:         40
        .size:           8
        .value_kind:     global_buffer
      - .address_space:  global
        .offset:         48
        .size:           8
        .value_kind:     global_buffer
      - .address_space:  global
        .offset:         56
        .size:           8
        .value_kind:     global_buffer
      - .offset:         64
        .size:           4
        .value_kind:     by_value
      - .offset:         68
        .size:           4
        .value_kind:     by_value
      - .offset:         72
        .size:           4
        .value_kind:     by_value
      - .offset:         76
        .size:           4
        .value_kind:     by_value
      - .offset:         80
        .size:           4
        .value_kind:     by_value
      - .offset:         84
        .size:           4
        .value_kind:     by_value
      - .offset:         88
        .size:           4
        .value_kind:     by_value
      - .offset:         92
        .size:           12
        .value_kind:     by_value
      - .offset:         104
        .size:           4
        .value_kind:     by_value
      - .offset:         108
        .size:           4
        .value_kind:     by_value
      - .offset:         112
        .size:           4
        .value_kind:     by_value
      - .offset:         116
        .size:           4
        .value_kind:     by_value
      - .offset:         120
        .size:           4
        .value_kind:     by_value
      - .offset:         124
        .size:           4
        .value_kind:     by_value
      - .offset:         128
        .size:           4
        .value_kind:     by_value
      - .offset:         132
        .size:           4
        .value_kind:     by_value
      - .offset:         136
        .size:           4
        .value_kind:     by_value
      - .offset:         140
        .size:           4
        .value_kind:     by_value
      - .offset:         144
        .size:           4
        .value_kind:     by_value
      - .offset:         152
        .size:           8
        .value_kind:     by_value
      - .offset:         160
        .size:           4
        .value_kind:     by_value
      - .offset:         164
        .size:           4
        .value_kind:     by_value
      - .offset:         168
        .size:           8
        .value_kind:     by_value
      - .offset:         176
        .size:           4
        .value_kind:     by_value
      - .offset:         180
        .size:           4
        .value_kind:     by_value
      - .offset:         184
        .size:           4
        .value_kind:     by_value
      - .offset:         188
        .size:           4
        .value_kind:     by_value
      - .offset:         192
        .size:           4
        .value_kind:     by_value
      - .offset:         200
        .size:           8
        .value_kind:     by_value
      - .offset:         208
        .size:           4
        .value_kind:     hidden_block_count_x
      - .offset:         212
        .size:           4
        .value_kind:     hidden_block_count_y
      - .offset:         216
        .size:           4
        .value_kind:     hidden_block_count_z
      - .offset:         220
        .size:           2
        .value_kind:     hidden_group_size_x
      - .offset:         222
        .size:           2
        .value_kind:     hidden_group_size_y
      - .offset:         224
        .size:           2
        .value_kind:     hidden_group_size_z
      - .offset:         226
        .size:           2
        .value_kind:     hidden_remainder_x
      - .offset:         228
        .size:           2
        .value_kind:     hidden_remainder_y
      - .offset:         230
        .size:           2
        .value_kind:     hidden_remainder_z
      - .offset:         248
        .size:           8
        .value_kind:     hidden_global_offset_x
      - .offset:         256
        .size:           8
        .value_kind:     hidden_global_offset_y
      - .offset:         264
        .size:           8
        .value_kind:     hidden_global_offset_z
      - .offset:         272
        .size:           2
        .value_kind:     hidden_grid_dims
      - .offset:         328
        .size:           4
        .value_kind:     hidden_dynamic_lds_size
    .group_segment_fixed_size: 0
    .kernarg_segment_align: 8
    .kernarg_segment_size: 464
    .language:       OpenCL C
    .language_version:
      - 2
      - 0
    .max_flat_workgroup_size: 256
    .name:           _ZL18flash_attn_ext_f16ILi256ELi256ELi32ELi1ELb1ELb0EEvPKcS1_S1_S1_S1_PKiPfP15HIP_vector_typeIfLj2EEffffjfiS5_IjLj3EEiiiiiiiiiiiliiliiiiil
    .private_segment_fixed_size: 32
    .sgpr_count:     106
    .sgpr_spill_count: 74
    .symbol:         _ZL18flash_attn_ext_f16ILi256ELi256ELi32ELi1ELb1ELb0EEvPKcS1_S1_S1_S1_PKiPfP15HIP_vector_typeIfLj2EEffffjfiS5_IjLj3EEiiiiiiiiiiiliiliiiiil.kd
    .uniform_work_group_size: 1
    .uses_dynamic_stack: false
    .vgpr_count:     461
    .vgpr_spill_count: 0
    .wavefront_size: 64
  - .agpr_count:     0
    .args:
      - .address_space:  global
        .offset:         0
        .size:           8
        .value_kind:     global_buffer
      - .address_space:  global
        .offset:         8
        .size:           8
        .value_kind:     global_buffer
      - .offset:         16
        .size:           4
        .value_kind:     by_value
      - .offset:         20
        .size:           4
        .value_kind:     by_value
      - .offset:         24
        .size:           4
        .value_kind:     by_value
      - .offset:         28
        .size:           4
        .value_kind:     by_value
      - .offset:         32
        .size:           4
        .value_kind:     by_value
      - .offset:         36
        .size:           4
        .value_kind:     by_value
      - .offset:         40
        .size:           12
        .value_kind:     by_value
      - .offset:         52
        .size:           12
        .value_kind:     by_value
      - .offset:         64
        .size:           12
        .value_kind:     by_value
    .group_segment_fixed_size: 0
    .kernarg_segment_align: 8
    .kernarg_segment_size: 76
    .language:       OpenCL C
    .language_version:
      - 2
      - 0
    .max_flat_workgroup_size: 256
    .name:           _ZL33flash_attn_stream_k_fixup_uniformILi256ELi32ELi1EEvPfPK15HIP_vector_typeIfLj2EEiiiiiiS1_IjLj3EES5_S5_
    .private_segment_fixed_size: 0
    .sgpr_count:     30
    .sgpr_spill_count: 0
    .symbol:         _ZL33flash_attn_stream_k_fixup_uniformILi256ELi32ELi1EEvPfPK15HIP_vector_typeIfLj2EEiiiiiiS1_IjLj3EES5_S5_.kd
    .uniform_work_group_size: 1
    .uses_dynamic_stack: false
    .vgpr_count:     16
    .vgpr_spill_count: 0
    .wavefront_size: 64
  - .agpr_count:     0
    .args:
      - .address_space:  global
        .offset:         0
        .size:           8
        .value_kind:     global_buffer
      - .address_space:  global
        .offset:         8
        .size:           8
        .value_kind:     global_buffer
      - .offset:         16
        .size:           4
        .value_kind:     by_value
      - .offset:         20
        .size:           4
        .value_kind:     by_value
      - .offset:         24
        .size:           4
        .value_kind:     by_value
      - .offset:         28
        .size:           4
        .value_kind:     by_value
      - .offset:         32
        .size:           12
        .value_kind:     by_value
      - .offset:         44
        .size:           12
        .value_kind:     by_value
      - .offset:         56
        .size:           12
        .value_kind:     by_value
      - .offset:         68
        .size:           12
        .value_kind:     by_value
      - .offset:         80
        .size:           4
        .value_kind:     hidden_block_count_x
      - .offset:         84
        .size:           4
        .value_kind:     hidden_block_count_y
      - .offset:         88
        .size:           4
        .value_kind:     hidden_block_count_z
      - .offset:         92
        .size:           2
        .value_kind:     hidden_group_size_x
      - .offset:         94
        .size:           2
        .value_kind:     hidden_group_size_y
      - .offset:         96
        .size:           2
        .value_kind:     hidden_group_size_z
      - .offset:         98
        .size:           2
        .value_kind:     hidden_remainder_x
      - .offset:         100
        .size:           2
        .value_kind:     hidden_remainder_y
      - .offset:         102
        .size:           2
        .value_kind:     hidden_remainder_z
      - .offset:         120
        .size:           8
        .value_kind:     hidden_global_offset_x
      - .offset:         128
        .size:           8
        .value_kind:     hidden_global_offset_y
      - .offset:         136
        .size:           8
        .value_kind:     hidden_global_offset_z
      - .offset:         144
        .size:           2
        .value_kind:     hidden_grid_dims
    .group_segment_fixed_size: 0
    .kernarg_segment_align: 8
    .kernarg_segment_size: 336
    .language:       OpenCL C
    .language_version:
      - 2
      - 0
    .max_flat_workgroup_size: 256
    .name:           _ZL33flash_attn_stream_k_fixup_generalILi256ELi32ELi1EEvPfPK15HIP_vector_typeIfLj2EEiiiiS1_IjLj3EES5_S5_S5_
    .private_segment_fixed_size: 0
    .sgpr_count:     38
    .sgpr_spill_count: 0
    .symbol:         _ZL33flash_attn_stream_k_fixup_generalILi256ELi32ELi1EEvPfPK15HIP_vector_typeIfLj2EEiiiiS1_IjLj3EES5_S5_S5_.kd
    .uniform_work_group_size: 1
    .uses_dynamic_stack: false
    .vgpr_count:     22
    .vgpr_spill_count: 0
    .wavefront_size: 64
  - .agpr_count:     0
    .args:
      - .address_space:  global
        .offset:         0
        .size:           8
        .value_kind:     global_buffer
      - .address_space:  global
        .offset:         8
        .size:           8
        .value_kind:     global_buffer
      - .address_space:  global
        .offset:         16
        .size:           8
        .value_kind:     global_buffer
      - .offset:         24
        .size:           4
        .value_kind:     by_value
      - .offset:         32
        .size:           4
        .value_kind:     hidden_block_count_x
      - .offset:         36
        .size:           4
        .value_kind:     hidden_block_count_y
      - .offset:         40
        .size:           4
        .value_kind:     hidden_block_count_z
      - .offset:         44
        .size:           2
        .value_kind:     hidden_group_size_x
      - .offset:         46
        .size:           2
        .value_kind:     hidden_group_size_y
      - .offset:         48
        .size:           2
        .value_kind:     hidden_group_size_z
      - .offset:         50
        .size:           2
        .value_kind:     hidden_remainder_x
      - .offset:         52
        .size:           2
        .value_kind:     hidden_remainder_y
      - .offset:         54
        .size:           2
        .value_kind:     hidden_remainder_z
      - .offset:         72
        .size:           8
        .value_kind:     hidden_global_offset_x
      - .offset:         80
        .size:           8
        .value_kind:     hidden_global_offset_y
      - .offset:         88
        .size:           8
        .value_kind:     hidden_global_offset_z
      - .offset:         96
        .size:           2
        .value_kind:     hidden_grid_dims
      - .offset:         152
        .size:           4
        .value_kind:     hidden_dynamic_lds_size
    .group_segment_fixed_size: 0
    .kernarg_segment_align: 8
    .kernarg_segment_size: 288
    .language:       OpenCL C
    .language_version:
      - 2
      - 0
    .max_flat_workgroup_size: 256
    .name:           _ZL26flash_attn_combine_resultsILi256EEvPKfPK15HIP_vector_typeIfLj2EEPfi
    .private_segment_fixed_size: 0
    .sgpr_count:     32
    .sgpr_spill_count: 0
    .symbol:         _ZL26flash_attn_combine_resultsILi256EEvPKfPK15HIP_vector_typeIfLj2EEPfi.kd
    .uniform_work_group_size: 1
    .uses_dynamic_stack: false
    .vgpr_count:     51
    .vgpr_spill_count: 0
    .wavefront_size: 64
amdhsa.target:   amdgcn-amd-amdhsa--gfx942
amdhsa.version:
  - 1
  - 2
...

	.end_amdgpu_metadata
